;; amdgpu-corpus repo=ggml-org/llama.cpp kind=compiled arch=gfx1100 opt=O3
	.text
	.amdgcn_target "amdgcn-amd-amdhsa--gfx1100"
	.amdhsa_code_object_version 6
	.section	.text._ZL15flash_attn_tileILi80ELi80ELi8ELi8ELb0EEvPKcS1_S1_S1_S1_PKiPfP15HIP_vector_typeIfLj2EEffffjfiS5_IjLj3EEiiiiiiiiiiiliiliiiiil,"axG",@progbits,_ZL15flash_attn_tileILi80ELi80ELi8ELi8ELb0EEvPKcS1_S1_S1_S1_PKiPfP15HIP_vector_typeIfLj2EEffffjfiS5_IjLj3EEiiiiiiiiiiiliiliiiiil,comdat
	.globl	_ZL15flash_attn_tileILi80ELi80ELi8ELi8ELb0EEvPKcS1_S1_S1_S1_PKiPfP15HIP_vector_typeIfLj2EEffffjfiS5_IjLj3EEiiiiiiiiiiiliiliiiiil ; -- Begin function _ZL15flash_attn_tileILi80ELi80ELi8ELi8ELb0EEvPKcS1_S1_S1_S1_PKiPfP15HIP_vector_typeIfLj2EEffffjfiS5_IjLj3EEiiiiiiiiiiiliiliiiiil
	.p2align	8
	.type	_ZL15flash_attn_tileILi80ELi80ELi8ELi8ELb0EEvPKcS1_S1_S1_S1_PKiPfP15HIP_vector_typeIfLj2EEffffjfiS5_IjLj3EEiiiiiiiiiiiliiliiiiil,@function
_ZL15flash_attn_tileILi80ELi80ELi8ELi8ELb0EEvPKcS1_S1_S1_S1_PKiPfP15HIP_vector_typeIfLj2EEffffjfiS5_IjLj3EEiiiiiiiiiiiliiliiiiil: ; @_ZL15flash_attn_tileILi80ELi80ELi8ELi8ELb0EEvPKcS1_S1_S1_S1_PKiPfP15HIP_vector_typeIfLj2EEffffjfiS5_IjLj3EEiiiiiiiiiiiliiliiiiil
; %bb.0:
	s_clause 0x1
	s_load_b128 s[36:39], s[0:1], 0x5c
	s_load_b64 s[40:41], s[0:1], 0x80
	s_mov_b64 s[42:43], 0
	s_waitcnt lgkmcnt(0)
	s_ashr_i32 s2, s39, 31
	s_delay_alu instid0(SALU_CYCLE_1) | instskip(NEXT) | instid1(SALU_CYCLE_1)
	s_lshr_b32 s2, s2, 29
	s_add_i32 s2, s39, s2
	s_delay_alu instid0(SALU_CYCLE_1) | instskip(NEXT) | instid1(SALU_CYCLE_1)
	s_ashr_i32 s2, s2, 3
	v_cvt_f32_u32_e32 v1, s2
	s_sub_i32 s4, 0, s2
	s_delay_alu instid0(VALU_DEP_1) | instskip(SKIP_2) | instid1(VALU_DEP_1)
	v_rcp_iflag_f32_e32 v1, v1
	s_waitcnt_depctr 0xfff
	v_mul_f32_e32 v1, 0x4f7ffffe, v1
	v_cvt_u32_f32_e32 v1, v1
	s_delay_alu instid0(VALU_DEP_1) | instskip(NEXT) | instid1(VALU_DEP_1)
	v_readfirstlane_b32 s3, v1
	s_mul_i32 s4, s4, s3
	s_delay_alu instid0(SALU_CYCLE_1) | instskip(NEXT) | instid1(SALU_CYCLE_1)
	s_mul_hi_u32 s4, s3, s4
	s_add_i32 s3, s3, s4
	s_delay_alu instid0(SALU_CYCLE_1) | instskip(NEXT) | instid1(SALU_CYCLE_1)
	s_mul_hi_u32 s3, s15, s3
	s_mul_i32 s4, s3, s2
	s_add_i32 s5, s3, 1
	s_sub_i32 s4, s15, s4
	s_delay_alu instid0(SALU_CYCLE_1)
	s_sub_i32 s6, s4, s2
	s_cmp_ge_u32 s4, s2
	s_cselect_b32 s3, s5, s3
	s_cselect_b32 s4, s6, s4
	s_add_i32 s5, s3, 1
	s_cmp_ge_u32 s4, s2
	s_cselect_b32 s33, s5, s3
	s_abs_i32 s2, s41
	s_abs_i32 s5, s39
	v_cvt_f32_u32_e32 v1, s2
	s_sub_i32 s4, 0, s2
	s_xor_b32 s6, s39, s41
	s_delay_alu instid0(SALU_CYCLE_1) | instskip(NEXT) | instid1(VALU_DEP_1)
	s_ashr_i32 s6, s6, 31
	v_rcp_iflag_f32_e32 v1, v1
	s_waitcnt_depctr 0xfff
	v_mul_f32_e32 v1, 0x4f7ffffe, v1
	s_delay_alu instid0(VALU_DEP_1) | instskip(NEXT) | instid1(VALU_DEP_1)
	v_cvt_u32_f32_e32 v1, v1
	v_readfirstlane_b32 s3, v1
	s_delay_alu instid0(VALU_DEP_1) | instskip(NEXT) | instid1(SALU_CYCLE_1)
	s_mul_i32 s4, s4, s3
	s_mul_hi_u32 s4, s3, s4
	s_delay_alu instid0(SALU_CYCLE_1) | instskip(SKIP_2) | instid1(SALU_CYCLE_1)
	s_add_i32 s3, s3, s4
	s_lshl_b32 s4, s15, 3
	s_mul_hi_u32 s3, s5, s3
	s_mul_i32 s7, s3, s2
	s_delay_alu instid0(SALU_CYCLE_1)
	s_sub_i32 s5, s5, s7
	s_add_i32 s7, s3, 1
	s_sub_i32 s8, s5, s2
	s_cmp_ge_u32 s5, s2
	s_cselect_b32 s3, s7, s3
	s_cselect_b32 s5, s8, s5
	s_add_i32 s7, s3, 1
	s_cmp_ge_u32 s5, s2
	s_mul_i32 s5, s33, s39
	s_cselect_b32 s2, s7, s3
	s_delay_alu instid0(SALU_CYCLE_1) | instskip(NEXT) | instid1(SALU_CYCLE_1)
	s_xor_b32 s2, s2, s6
	s_sub_i32 s9, s2, s6
	s_clause 0x1
	s_load_b512 s[16:31], s[0:1], 0x0
	s_load_b64 s[2:3], s[0:1], 0xb8
	s_abs_i32 s8, s9
	s_delay_alu instid0(SALU_CYCLE_1) | instskip(NEXT) | instid1(VALU_DEP_1)
	v_cvt_f32_u32_e32 v1, s8
	v_rcp_iflag_f32_e32 v1, v1
	s_waitcnt_depctr 0xfff
	v_mul_f32_e32 v1, 0x4f7ffffe, v1
	s_waitcnt lgkmcnt(0)
	s_cmp_eq_u64 s[22:23], 0
	s_delay_alu instid0(VALU_DEP_1) | instskip(NEXT) | instid1(VALU_DEP_1)
	v_cvt_u32_f32_e32 v1, v1
	v_readfirstlane_b32 s10, v1
	s_cbranch_scc1 .LBB0_2
; %bb.1:
	s_abs_i32 s2, s2
	s_abs_i32 s11, s33
	v_cvt_f32_u32_e32 v1, s2
	s_sub_i32 s7, 0, s2
	s_delay_alu instid0(VALU_DEP_1) | instskip(SKIP_2) | instid1(VALU_DEP_1)
	v_rcp_iflag_f32_e32 v1, v1
	s_waitcnt_depctr 0xfff
	v_mul_f32_e32 v1, 0x4f7ffffe, v1
	v_cvt_u32_f32_e32 v1, v1
	s_delay_alu instid0(VALU_DEP_1) | instskip(NEXT) | instid1(VALU_DEP_1)
	v_readfirstlane_b32 s6, v1
	s_mul_i32 s7, s7, s6
	s_delay_alu instid0(SALU_CYCLE_1) | instskip(NEXT) | instid1(SALU_CYCLE_1)
	s_mul_hi_u32 s7, s6, s7
	s_add_i32 s12, s6, s7
	s_load_b64 s[6:7], s[0:1], 0xc8
	s_mul_hi_u32 s12, s11, s12
	s_delay_alu instid0(SALU_CYCLE_1) | instskip(NEXT) | instid1(SALU_CYCLE_1)
	s_mul_i32 s12, s12, s2
	s_sub_i32 s11, s11, s12
	s_ashr_i32 s12, s33, 31
	s_sub_i32 s15, s11, s2
	s_cmp_ge_u32 s11, s2
	s_cselect_b32 s11, s15, s11
	s_delay_alu instid0(SALU_CYCLE_1) | instskip(SKIP_2) | instid1(SALU_CYCLE_1)
	s_sub_i32 s15, s11, s2
	s_cmp_ge_u32 s11, s2
	s_cselect_b32 s2, s15, s11
	s_xor_b32 s2, s2, s12
	s_delay_alu instid0(SALU_CYCLE_1)
	s_sub_i32 s2, s2, s12
	s_waitcnt lgkmcnt(0)
	s_mul_i32 s7, s2, s7
	s_mul_hi_u32 s11, s2, s6
	s_ashr_i32 s12, s2, 31
	s_add_i32 s7, s11, s7
	s_mul_i32 s12, s12, s6
	s_mul_i32 s2, s2, s6
	s_add_i32 s7, s7, s12
	s_add_u32 s42, s22, s2
	s_addc_u32 s43, s23, s7
.LBB0_2:
	v_bfe_u32 v8, v0, 10, 10
	v_and_b32_e32 v105, 0x3ff, v0
	s_sub_i32 s34, s4, s5
	s_delay_alu instid0(VALU_DEP_2) | instskip(NEXT) | instid1(VALU_DEP_2)
	v_lshl_add_u32 v106, s13, 3, v8
	v_cmp_gt_u32_e64 s2, 20, v105
	v_lshlrev_b32_e32 v104, 2, v105
	s_delay_alu instid0(VALU_DEP_3) | instskip(NEXT) | instid1(VALU_DEP_1)
	v_mul_hi_u32 v1, s36, v106
	v_add_nc_u32_e32 v1, v106, v1
	s_delay_alu instid0(VALU_DEP_1) | instskip(NEXT) | instid1(VALU_DEP_1)
	v_lshrrev_b32_e32 v1, s37, v1
	v_mul_lo_u32 v1, v1, s38
	s_delay_alu instid0(VALU_DEP_1)
	v_sub_nc_u32_e32 v9, v106, v1
	s_and_saveexec_b32 s11, s2
	s_cbranch_execz .LBB0_4
; %bb.3:
	s_load_b128 s[4:7], s[0:1], 0x70
	v_mul_u32_u24_e32 v34, 0x140, v8
	s_delay_alu instid0(VALU_DEP_1) | instskip(NEXT) | instid1(VALU_DEP_1)
	v_lshlrev_b32_e32 v36, 2, v34
	v_lshl_or_b32 v38, v105, 3, v36
	s_waitcnt lgkmcnt(0)
	s_mul_i32 s6, s33, s6
	s_mul_i32 s7, s34, s5
	s_ashr_i32 s12, s6, 31
	s_add_u32 s6, s16, s6
	s_addc_u32 s12, s17, s12
	s_ashr_i32 s15, s7, 31
	s_add_u32 s22, s6, s7
	s_addc_u32 s12, s12, s15
	s_ashr_i32 s6, s4, 31
	s_ashr_i32 s7, s5, 31
	v_alignbit_b32 v2, s6, s4, 2
	s_lshr_b32 s4, s6, 2
	s_mov_b32 s6, s5
	s_delay_alu instid0(SALU_CYCLE_1) | instskip(NEXT) | instid1(VALU_DEP_1)
	s_lshr_b64 s[16:17], s[6:7], 2
	v_mad_u64_u32 v[0:1], null, v2, v9, 0
	s_lshr_b32 s6, s7, 2
	s_lshl_b64 s[16:17], s[16:17], 3
	s_delay_alu instid0(VALU_DEP_1) | instskip(SKIP_3) | instid1(VALU_DEP_2)
	v_mad_u64_u32 v[2:3], null, s4, v9, v[1:2]
	v_alignbit_b32 v3, s7, s5, 2
	s_and_b32 s4, s5, -4
	s_and_b32 s5, s7, 0x3fffffff
	v_dual_mov_b32 v1, v2 :: v_dual_lshlrev_b32 v2, 2, v104
	s_delay_alu instid0(VALU_DEP_1) | instskip(NEXT) | instid1(VALU_DEP_1)
	v_lshlrev_b64 v[0:1], 2, v[0:1]
	v_add_co_u32 v0, vcc_lo, s22, v0
	s_delay_alu instid0(VALU_DEP_2) | instskip(SKIP_1) | instid1(VALU_DEP_2)
	v_add_co_ci_u32_e32 v1, vcc_lo, s12, v1, vcc_lo
	s_lshl_b64 s[22:23], s[4:5], 2
	v_add_co_u32 v0, vcc_lo, v0, v2
	s_delay_alu instid0(VALU_DEP_2) | instskip(NEXT) | instid1(VALU_DEP_2)
	v_add_co_ci_u32_e32 v1, vcc_lo, 0, v1, vcc_lo
	v_add_co_u32 v4, vcc_lo, v0, s4
	s_delay_alu instid0(VALU_DEP_2) | instskip(SKIP_3) | instid1(VALU_DEP_4)
	v_mad_u64_u32 v[22:23], null, v3, 20, v[0:1]
	v_mad_u64_u32 v[18:19], null, v3, 12, v[0:1]
	;; [unrolled: 1-line block ×4, first 2 shown]
	v_mov_b32_e32 v20, v23
	v_add_co_ci_u32_e32 v5, vcc_lo, s7, v1, vcc_lo
	v_add_co_u32 v10, vcc_lo, v0, s16
	s_delay_alu instid0(VALU_DEP_3)
	v_mad_u64_u32 v[24:25], null, s6, 12, v[19:20]
	v_mov_b32_e32 v21, v27
	v_add_co_ci_u32_e32 v11, vcc_lo, s17, v1, vcc_lo
	v_add_co_u32 v14, vcc_lo, v0, s22
	v_add_co_ci_u32_e32 v15, vcc_lo, s23, v1, vcc_lo
	v_mov_b32_e32 v19, v24
	v_mad_u64_u32 v[27:28], null, s6, 20, v[20:21]
	v_mad_u64_u32 v[28:29], null, s6, 24, v[21:22]
	v_mov_b32_e32 v23, v31
	s_clause 0x3
	global_load_b128 v[0:3], v[0:1], off
	global_load_b128 v[4:7], v[4:5], off
	;; [unrolled: 1-line block ×4, first 2 shown]
	s_load_b32 s4, s[0:1], 0x40
	v_mad_u64_u32 v[31:32], null, s6, 28, v[23:24]
	v_mov_b32_e32 v23, v27
	v_mov_b32_e32 v27, v28
	s_clause 0x3
	global_load_b128 v[18:21], v[18:19], off
	global_load_b128 v[22:25], v[22:23], off
	;; [unrolled: 1-line block ×4, first 2 shown]
	s_waitcnt vmcnt(7) lgkmcnt(0)
	v_fma_mixlo_f16 v34, v0, s4, 0
	v_fma_mixlo_f16 v35, v2, s4, 0
	s_waitcnt vmcnt(6)
	v_fma_mixlo_f16 v0, v4, s4, 0
	s_waitcnt vmcnt(5)
	;; [unrolled: 2-line block ×3, first 2 shown]
	v_fma_mixlo_f16 v36, v14, s4, 0
	v_fma_mixhi_f16 v34, v1, s4, 0
	v_fma_mixlo_f16 v1, v6, s4, 0
	v_fma_mixhi_f16 v35, v3, s4, 0
	v_fma_mixlo_f16 v3, v12, s4, 0
	v_fma_mixhi_f16 v0, v5, s4, 0
	s_waitcnt vmcnt(3)
	v_fma_mixlo_f16 v4, v18, s4, 0
	v_fma_mixlo_f16 v5, v20, s4, 0
	;; [unrolled: 1-line block ×3, first 2 shown]
	v_fma_mixhi_f16 v1, v7, s4, 0
	s_waitcnt vmcnt(2)
	v_fma_mixlo_f16 v6, v22, s4, 0
	v_fma_mixlo_f16 v7, v24, s4, 0
	v_fma_mixhi_f16 v3, v13, s4, 0
	v_fma_mixhi_f16 v2, v11, s4, 0
	s_waitcnt vmcnt(1)
	v_fma_mixlo_f16 v10, v26, s4, 0
	v_fma_mixlo_f16 v11, v28, s4, 0
	s_waitcnt vmcnt(0)
	v_fma_mixlo_f16 v12, v30, s4, 0
	v_fma_mixlo_f16 v13, v32, s4, 0
	v_fma_mixhi_f16 v5, v21, s4, 0
	v_fma_mixhi_f16 v4, v19, s4, 0
	;; [unrolled: 1-line block ×10, first 2 shown]
	ds_store_2addr_b64 v38, v[34:35], v[0:1] offset1:20
	ds_store_2addr_b64 v38, v[2:3], v[4:5] offset0:40 offset1:60
	ds_store_2addr_b64 v38, v[36:37], v[6:7] offset0:80 offset1:100
	;; [unrolled: 1-line block ×3, first 2 shown]
.LBB0_4:
	s_or_b32 exec_lo, exec_lo, s11
	s_cmp_eq_u64 s[26:27], 0
	s_waitcnt lgkmcnt(0)
	s_barrier
	buffer_gl0_inv
	s_cbranch_scc1 .LBB0_6
; %bb.5:
	s_load_b32 s4, s[0:1], 0xd0
	s_mov_b32 s5, 0
	s_waitcnt lgkmcnt(0)
	s_mul_i32 s4, s4, s33
	s_delay_alu instid0(SALU_CYCLE_1) | instskip(NEXT) | instid1(SALU_CYCLE_1)
	s_add_i32 s4, s4, s13
	s_lshl_b64 s[4:5], s[4:5], 2
	s_delay_alu instid0(SALU_CYCLE_1)
	s_add_u32 s4, s26, s4
	s_addc_u32 s5, s27, s5
	s_load_b32 s40, s[4:5], 0x0
.LBB0_6:
	v_mbcnt_lo_u32_b32 v131, -1, 0
	s_lshl_b32 s35, s14, 5
	s_waitcnt lgkmcnt(0)
	s_cmp_lt_i32 s35, s40
	s_cbranch_scc1 .LBB0_8
; %bb.7:
	v_mbcnt_lo_u32_b32 v10, -1, 0
	v_mov_b32_e32 v128, 32
	s_mov_b32 s4, 0
	s_mov_b32 s5, 0xfeffffff
	s_delay_alu instid0(VALU_DEP_2)
	v_xor_b32_e32 v154, 16, v10
	v_xor_b32_e32 v155, 8, v10
	;; [unrolled: 1-line block ×5, first 2 shown]
	s_branch .LBB0_9
.LBB0_8:
	s_mov_b32 s4, -1
                                        ; implicit-def: $sgpr5
                                        ; implicit-def: $vgpr10
                                        ; implicit-def: $vgpr128
                                        ; implicit-def: $vgpr154
                                        ; implicit-def: $vgpr155
                                        ; implicit-def: $vgpr156
                                        ; implicit-def: $vgpr157
                                        ; implicit-def: $vgpr158
.LBB0_9:
	s_delay_alu instid0(SALU_CYCLE_1) | instskip(SKIP_2) | instid1(VALU_DEP_3)
	v_cndmask_b32_e64 v0, 0, 1, s4
	v_dual_mov_b32 v7, s5 :: v_dual_mov_b32 v132, s4
	v_dual_mov_b32 v159, s4 :: v_dual_mov_b32 v6, s5
	v_cmp_ne_u32_e32 vcc_lo, 1, v0
	v_dual_mov_b32 v5, s5 :: v_dual_mov_b32 v4, s5
	v_dual_mov_b32 v3, s5 :: v_dual_mov_b32 v2, s5
	;; [unrolled: 1-line block ×14, first 2 shown]
	s_cbranch_vccnz .LBB0_30
; %bb.10:
	s_clause 0x1
	s_load_b128 s[4:7], s[0:1], 0x98
	s_load_b64 s[12:13], s[0:1], 0x8c
	s_sub_i32 s11, 0, s8
	s_abs_i32 s15, s34
	s_mul_i32 s11, s11, s10
	s_ashr_i32 s22, s34, 31
	s_mul_hi_u32 s11, s10, s11
	s_ashr_i32 s9, s9, 31
	s_add_i32 s10, s10, s11
	s_ashr_i32 s11, s3, 1
	s_mul_hi_u32 s3, s15, s10
	s_ashr_i32 s10, s33, 31
	s_load_b64 s[16:17], s[0:1], 0xa8
	s_mul_i32 s23, s3, s8
	v_lshrrev_b32_e32 v0, 2, v105
	v_dual_mov_b32 v117, 0 :: v_dual_and_b32 v10, 12, v104
	v_lshrrev_b32_e32 v5, 1, v105
	v_mov_b32_e32 v119, 0
	s_delay_alu instid0(VALU_DEP_4)
	v_lshl_add_u32 v3, v8, 3, v0
	s_waitcnt lgkmcnt(0)
	s_ashr_i32 s41, s6, 2
	s_mul_i32 s5, s33, s5
	s_mul_hi_u32 s6, s33, s4
	s_ashr_i32 s44, s12, 2
	s_mul_i32 s12, s10, s4
	s_add_i32 s5, s6, s5
	s_mul_i32 s4, s33, s4
	s_add_i32 s5, s5, s12
	s_add_u32 s4, s18, s4
	s_addc_u32 s5, s19, s5
	s_xor_b32 s6, s22, s9
	s_sub_i32 s9, s15, s23
	s_add_i32 s12, s3, 1
	s_sub_i32 s15, s9, s8
	s_cmp_ge_u32 s9, s8
	s_mul_i32 s10, s10, s16
	s_cselect_b32 s3, s12, s3
	s_cselect_b32 s9, s15, s9
	s_add_i32 s12, s3, 1
	s_cmp_ge_u32 s9, s8
	s_mul_i32 s8, s33, s17
	s_cselect_b32 s3, s12, s3
	s_mul_hi_u32 s9, s33, s16
	s_xor_b32 s3, s3, s6
	s_mul_i32 s12, s33, s16
	s_sub_i32 s3, s3, s6
	v_mul_lo_u32 v2, s44, v3
	s_mul_i32 s6, s3, s13
	s_mul_i32 s3, s3, s7
	s_ashr_i32 s13, s6, 31
	s_add_u32 s45, s4, s6
	s_addc_u32 s46, s5, s13
	s_add_i32 s4, s9, s8
	v_lshlrev_b32_e32 v4, 2, v10
	s_add_i32 s4, s4, s10
	s_add_u32 s5, s20, s12
	s_addc_u32 s6, s21, s4
	s_ashr_i32 s7, s3, 31
	s_add_u32 s47, s5, s3
	v_cmp_gt_u32_e64 s3, 32, v3
	v_mul_u32_u24_e32 v3, 0x60, v3
	v_dual_mov_b32 v121, 0 :: v_dual_and_b32 v140, 28, v104
	v_lshl_add_u32 v1, v8, 5, v105
	v_mul_u32_u24_e32 v135, 0x500, v8
	s_delay_alu instid0(VALU_DEP_4)
	v_add3_u32 v137, v3, v4, 0x3800
	v_lshl_add_u32 v4, v8, 4, v5
	v_lshrrev_b32_e32 v5, 3, v105
	v_lshl_add_u32 v138, v8, 9, 0x2800
	v_and_b32_e32 v139, 4, v104
	v_dual_mov_b32 v128, 32 :: v_dual_lshlrev_b32 v11, 2, v140
	s_delay_alu instid0(VALU_DEP_4)
	v_lshl_add_u32 v5, v8, 2, v5
	v_mul_u32_u24_e32 v6, 0xa0, v4
	s_movk_i32 s4, 0x3840
	v_mul_lo_u32 v0, s44, v1
	v_mad_u32_u24 v136, 0x60, v1, s4
	v_mul_u32_u24_e32 v8, 0xa0, v5
	v_cmp_gt_u32_e64 s4, 16, v4
	v_mul_lo_u32 v4, s41, v4
	v_cmp_gt_u32_e32 vcc_lo, 32, v1
	v_ashrrev_i32_e32 v3, 31, v2
	v_add3_u32 v143, v8, v11, 0x3800
	v_mov_b32_e32 v8, 0xfeffffff
	v_lshl_or_b32 v7, v139, 2, v6
	v_mul_lo_u32 v6, s41, v5
	v_ashrrev_i32_e32 v1, 31, v0
	v_cmp_gt_u32_e64 s5, 16, v5
	v_ashrrev_i32_e32 v5, 31, v4
	v_dual_mov_b32 v123, 0 :: v_dual_add_nc_u32 v142, 0x3880, v7
	v_mov_b32_e32 v116, 0
	v_mad_u64_u32 v[107:108], null, v9, s11, v[105:106]
	v_lshlrev_b32_e32 v9, 4, v105
	v_ashrrev_i32_e32 v7, 31, v6
	v_lshlrev_b64 v[108:109], 2, v[0:1]
	v_lshlrev_b64 v[110:111], 2, v[2:3]
	;; [unrolled: 1-line block ×3, first 2 shown]
	v_mul_u32_u24_e32 v134, 0x60, v105
	v_lshlrev_b64 v[114:115], 2, v[6:7]
	v_dual_mov_b32 v118, 0 :: v_dual_lshlrev_b32 v141, 3, v105
	v_dual_mov_b32 v125, 0 :: v_dual_add_nc_u32 v144, v138, v9
	v_dual_mov_b32 v120, 0 :: v_dual_lshlrev_b32 v145, 2, v10
	v_dual_mov_b32 v122, 0 :: v_dual_mov_b32 v127, 0
	v_dual_mov_b32 v124, 0 :: v_dual_mov_b32 v129, 0
	;; [unrolled: 1-line block ×11, first 2 shown]
	v_mov_b32_e32 v146, 0
	s_addc_u32 s48, s6, s7
	s_add_u32 s26, s0, 0xd0
	s_addc_u32 s27, s1, 0
.LBB0_11:                               ; =>This Inner Loop Header: Depth=1
	s_mul_hi_i32 s7, s35, s44
	s_mul_i32 s6, s35, s44
	s_delay_alu instid0(SALU_CYCLE_1) | instskip(NEXT) | instid1(SALU_CYCLE_1)
	s_lshl_b64 s[8:9], s[6:7], 2
	s_add_u32 s7, s45, s8
	s_addc_u32 s8, s46, s9
	s_and_saveexec_b32 s9, vcc_lo
	s_cbranch_execz .LBB0_13
; %bb.12:                               ;   in Loop: Header=BB0_11 Depth=1
	v_add_co_u32 v0, s6, s7, v108
	s_delay_alu instid0(VALU_DEP_1)
	v_add_co_ci_u32_e64 v1, s6, s8, v109, s6
	global_load_b128 v[0:3], v[0:1], off offset:64
	s_waitcnt vmcnt(0)
	ds_store_b128 v136, v[0:3]
.LBB0_13:                               ;   in Loop: Header=BB0_11 Depth=1
	s_or_b32 exec_lo, exec_lo, s9
	s_and_saveexec_b32 s9, s3
	s_cbranch_execz .LBB0_15
; %bb.14:                               ;   in Loop: Header=BB0_11 Depth=1
	v_add_co_u32 v0, s6, s7, v110
	s_delay_alu instid0(VALU_DEP_1) | instskip(NEXT) | instid1(VALU_DEP_2)
	v_add_co_ci_u32_e64 v1, s6, s8, v111, s6
	v_add_co_u32 v0, s6, v0, v145
	s_delay_alu instid0(VALU_DEP_1)
	v_add_co_ci_u32_e64 v1, s6, 0, v1, s6
	global_load_b128 v[0:3], v[0:1], off
	s_waitcnt vmcnt(0)
	ds_store_b128 v137, v[0:3]
.LBB0_15:                               ;   in Loop: Header=BB0_11 Depth=1
	s_or_b32 exec_lo, exec_lo, s9
	s_waitcnt lgkmcnt(0)
	s_barrier
	buffer_gl0_inv
	ds_load_b128 v[16:19], v134 offset:14336
	ds_load_b128 v[20:23], v135
	ds_load_b128 v[24:27], v135 offset:160
	ds_load_b128 v[28:31], v135 offset:320
	ds_load_b128 v[32:35], v135 offset:480
	ds_load_b128 v[36:39], v135 offset:640
	ds_load_b128 v[40:43], v135 offset:800
	ds_load_b128 v[44:47], v135 offset:960
	ds_load_b128 v[48:51], v135 offset:1120
	v_dual_mov_b32 v0, 0 :: v_dual_mov_b32 v1, 0
	v_dual_mov_b32 v2, 0 :: v_dual_mov_b32 v3, 0
	;; [unrolled: 1-line block ×4, first 2 shown]
	s_waitcnt lgkmcnt(7)
	;;#ASMSTART
	v_dot2_f32_f16 v0, v16, v20, v0
	;;#ASMEND
	;;#ASMSTART
	v_dot2_f32_f16 v0, v17, v21, v0
	;;#ASMEND
	;;#ASMSTART
	v_dot2_f32_f16 v0, v18, v22, v0
	;;#ASMEND
	;;#ASMSTART
	v_dot2_f32_f16 v0, v19, v23, v0
	;;#ASMEND
	s_waitcnt lgkmcnt(6)
	;;#ASMSTART
	v_dot2_f32_f16 v1, v16, v24, v1
	;;#ASMEND
	;;#ASMSTART
	v_dot2_f32_f16 v1, v17, v25, v1
	;;#ASMEND
	;;#ASMSTART
	v_dot2_f32_f16 v1, v18, v26, v1
	;;#ASMEND
	;;#ASMSTART
	v_dot2_f32_f16 v1, v19, v27, v1
	;;#ASMEND
	;; [unrolled: 13-line block ×8, first 2 shown]
	ds_load_b128 v[16:19], v134 offset:14352
	ds_load_b128 v[20:23], v135 offset:16
	;; [unrolled: 1-line block ×9, first 2 shown]
	s_waitcnt lgkmcnt(7)
	;;#ASMSTART
	v_dot2_f32_f16 v0, v16, v20, v0
	;;#ASMEND
	;;#ASMSTART
	v_dot2_f32_f16 v0, v17, v21, v0
	;;#ASMEND
	;;#ASMSTART
	v_dot2_f32_f16 v0, v18, v22, v0
	;;#ASMEND
	;;#ASMSTART
	v_dot2_f32_f16 v0, v19, v23, v0
	;;#ASMEND
	s_waitcnt lgkmcnt(6)
	;;#ASMSTART
	v_dot2_f32_f16 v1, v16, v24, v1
	;;#ASMEND
	;;#ASMSTART
	v_dot2_f32_f16 v1, v17, v25, v1
	;;#ASMEND
	;;#ASMSTART
	v_dot2_f32_f16 v1, v18, v26, v1
	;;#ASMEND
	;;#ASMSTART
	v_dot2_f32_f16 v1, v19, v27, v1
	;;#ASMEND
	;; [unrolled: 13-line block ×8, first 2 shown]
	ds_load_b128 v[16:19], v134 offset:14368
	ds_load_b128 v[20:23], v135 offset:32
	;; [unrolled: 1-line block ×9, first 2 shown]
	s_waitcnt lgkmcnt(7)
	;;#ASMSTART
	v_dot2_f32_f16 v0, v16, v20, v0
	;;#ASMEND
	;;#ASMSTART
	v_dot2_f32_f16 v0, v17, v21, v0
	;;#ASMEND
	;;#ASMSTART
	v_dot2_f32_f16 v0, v18, v22, v0
	;;#ASMEND
	;;#ASMSTART
	v_dot2_f32_f16 v0, v19, v23, v0
	;;#ASMEND
	s_waitcnt lgkmcnt(6)
	;;#ASMSTART
	v_dot2_f32_f16 v1, v16, v24, v1
	;;#ASMEND
	;;#ASMSTART
	v_dot2_f32_f16 v1, v17, v25, v1
	;;#ASMEND
	;;#ASMSTART
	v_dot2_f32_f16 v1, v18, v26, v1
	;;#ASMEND
	;;#ASMSTART
	v_dot2_f32_f16 v1, v19, v27, v1
	;;#ASMEND
	;; [unrolled: 13-line block ×8, first 2 shown]
	ds_load_b128 v[16:19], v134 offset:14384
	ds_load_b128 v[20:23], v135 offset:48
	;; [unrolled: 1-line block ×9, first 2 shown]
	s_waitcnt lgkmcnt(7)
	;;#ASMSTART
	v_dot2_f32_f16 v0, v16, v20, v0
	;;#ASMEND
	;;#ASMSTART
	v_dot2_f32_f16 v0, v17, v21, v0
	;;#ASMEND
	;;#ASMSTART
	v_dot2_f32_f16 v0, v18, v22, v0
	;;#ASMEND
	;;#ASMSTART
	v_dot2_f32_f16 v0, v19, v23, v0
	;;#ASMEND
	s_waitcnt lgkmcnt(6)
	;;#ASMSTART
	v_dot2_f32_f16 v1, v16, v24, v1
	;;#ASMEND
	;;#ASMSTART
	v_dot2_f32_f16 v1, v17, v25, v1
	;;#ASMEND
	;;#ASMSTART
	v_dot2_f32_f16 v1, v18, v26, v1
	;;#ASMEND
	;;#ASMSTART
	v_dot2_f32_f16 v1, v19, v27, v1
	;;#ASMEND
	;; [unrolled: 13-line block ×8, first 2 shown]
	ds_load_b128 v[16:19], v134 offset:14400
	ds_load_b128 v[20:23], v135 offset:64
	;; [unrolled: 1-line block ×9, first 2 shown]
	s_waitcnt lgkmcnt(7)
	;;#ASMSTART
	v_dot2_f32_f16 v0, v16, v20, v0
	;;#ASMEND
	;;#ASMSTART
	v_dot2_f32_f16 v0, v17, v21, v0
	;;#ASMEND
	;;#ASMSTART
	v_dot2_f32_f16 v0, v18, v22, v0
	;;#ASMEND
	;;#ASMSTART
	v_dot2_f32_f16 v0, v19, v23, v0
	;;#ASMEND
	s_waitcnt lgkmcnt(6)
	;;#ASMSTART
	v_dot2_f32_f16 v1, v16, v24, v1
	;;#ASMEND
	;;#ASMSTART
	v_dot2_f32_f16 v1, v17, v25, v1
	;;#ASMEND
	;;#ASMSTART
	v_dot2_f32_f16 v1, v18, v26, v1
	;;#ASMEND
	;;#ASMSTART
	v_dot2_f32_f16 v1, v19, v27, v1
	;;#ASMEND
	;; [unrolled: 13-line block ×8, first 2 shown]
	s_barrier
	buffer_gl0_inv
	s_and_saveexec_b32 s9, vcc_lo
	s_cbranch_execz .LBB0_17
; %bb.16:                               ;   in Loop: Header=BB0_11 Depth=1
	v_add_co_u32 v16, s6, s7, v108
	s_delay_alu instid0(VALU_DEP_1)
	v_add_co_ci_u32_e64 v17, s6, s8, v109, s6
	global_load_b128 v[16:19], v[16:17], off offset:144
	s_waitcnt vmcnt(0)
	ds_store_b128 v136, v[16:19]
.LBB0_17:                               ;   in Loop: Header=BB0_11 Depth=1
	s_or_b32 exec_lo, exec_lo, s9
	s_and_saveexec_b32 s9, s3
	s_cbranch_execz .LBB0_19
; %bb.18:                               ;   in Loop: Header=BB0_11 Depth=1
	v_add_co_u32 v16, s6, s7, v110
	s_delay_alu instid0(VALU_DEP_1) | instskip(NEXT) | instid1(VALU_DEP_2)
	v_add_co_ci_u32_e64 v17, s6, s8, v111, s6
	v_add_co_u32 v16, s6, v16, v145
	s_delay_alu instid0(VALU_DEP_1)
	v_add_co_ci_u32_e64 v17, s6, 0, v17, s6
	global_load_b128 v[16:19], v[16:17], off offset:80
	s_waitcnt vmcnt(0)
	ds_store_b128 v137, v[16:19]
.LBB0_19:                               ;   in Loop: Header=BB0_11 Depth=1
	s_or_b32 exec_lo, exec_lo, s9
	s_waitcnt lgkmcnt(0)
	s_barrier
	buffer_gl0_inv
	ds_load_b128 v[16:19], v134 offset:14336
	ds_load_b128 v[20:23], v135 offset:80
	;; [unrolled: 1-line block ×9, first 2 shown]
	v_add_nc_u32_e32 v52, s35, v107
	v_xor_b32_e32 v154, 16, v131
	v_xor_b32_e32 v155, 8, v131
	;; [unrolled: 1-line block ×4, first 2 shown]
	v_ashrrev_i32_e32 v53, 31, v52
	v_xor_b32_e32 v158, 1, v131
	s_mul_hi_i32 s37, s35, s41
	s_mul_i32 s36, s35, s41
	s_waitcnt lgkmcnt(7)
	;;#ASMSTART
	v_dot2_f32_f16 v0, v16, v20, v0
	;;#ASMEND
	;;#ASMSTART
	v_dot2_f32_f16 v0, v17, v21, v0
	;;#ASMEND
	;;#ASMSTART
	v_dot2_f32_f16 v0, v18, v22, v0
	;;#ASMEND
	;;#ASMSTART
	v_dot2_f32_f16 v0, v19, v23, v0
	;;#ASMEND
	s_waitcnt lgkmcnt(6)
	;;#ASMSTART
	v_dot2_f32_f16 v1, v16, v24, v1
	;;#ASMEND
	;;#ASMSTART
	v_dot2_f32_f16 v1, v17, v25, v1
	;;#ASMEND
	;;#ASMSTART
	v_dot2_f32_f16 v1, v18, v26, v1
	;;#ASMEND
	;;#ASMSTART
	v_dot2_f32_f16 v1, v19, v27, v1
	;;#ASMEND
	s_waitcnt lgkmcnt(5)
	;;#ASMSTART
	v_dot2_f32_f16 v2, v16, v28, v2
	;;#ASMEND
	;;#ASMSTART
	v_dot2_f32_f16 v2, v17, v29, v2
	;;#ASMEND
	;;#ASMSTART
	v_dot2_f32_f16 v2, v18, v30, v2
	;;#ASMEND
	;;#ASMSTART
	v_dot2_f32_f16 v2, v19, v31, v2
	;;#ASMEND
	s_waitcnt lgkmcnt(4)
	;;#ASMSTART
	v_dot2_f32_f16 v3, v16, v32, v3
	;;#ASMEND
	;;#ASMSTART
	v_dot2_f32_f16 v3, v17, v33, v3
	;;#ASMEND
	;;#ASMSTART
	v_dot2_f32_f16 v3, v18, v34, v3
	;;#ASMEND
	;;#ASMSTART
	v_dot2_f32_f16 v3, v19, v35, v3
	;;#ASMEND
	s_waitcnt lgkmcnt(3)
	;;#ASMSTART
	v_dot2_f32_f16 v4, v16, v36, v4
	;;#ASMEND
	;;#ASMSTART
	v_dot2_f32_f16 v4, v17, v37, v4
	;;#ASMEND
	;;#ASMSTART
	v_dot2_f32_f16 v4, v18, v38, v4
	;;#ASMEND
	;;#ASMSTART
	v_dot2_f32_f16 v4, v19, v39, v4
	;;#ASMEND
	s_waitcnt lgkmcnt(2)
	;;#ASMSTART
	v_dot2_f32_f16 v5, v16, v40, v5
	;;#ASMEND
	;;#ASMSTART
	v_dot2_f32_f16 v5, v17, v41, v5
	;;#ASMEND
	;;#ASMSTART
	v_dot2_f32_f16 v5, v18, v42, v5
	;;#ASMEND
	;;#ASMSTART
	v_dot2_f32_f16 v5, v19, v43, v5
	;;#ASMEND
	s_waitcnt lgkmcnt(1)
	;;#ASMSTART
	v_dot2_f32_f16 v6, v16, v44, v6
	;;#ASMEND
	;;#ASMSTART
	v_dot2_f32_f16 v6, v17, v45, v6
	;;#ASMEND
	;;#ASMSTART
	v_dot2_f32_f16 v6, v18, v46, v6
	;;#ASMEND
	;;#ASMSTART
	v_dot2_f32_f16 v6, v19, v47, v6
	;;#ASMEND
	s_waitcnt lgkmcnt(0)
	;;#ASMSTART
	v_dot2_f32_f16 v7, v16, v48, v7
	;;#ASMEND
	;;#ASMSTART
	v_dot2_f32_f16 v7, v17, v49, v7
	;;#ASMEND
	;;#ASMSTART
	v_dot2_f32_f16 v7, v18, v50, v7
	;;#ASMEND
	;;#ASMSTART
	v_dot2_f32_f16 v7, v19, v51, v7
	;;#ASMEND
	ds_load_b128 v[16:19], v134 offset:14352
	ds_load_b128 v[20:23], v135 offset:96
	;; [unrolled: 1-line block ×9, first 2 shown]
	s_lshl_b64 s[36:37], s[36:37], 2
	s_waitcnt lgkmcnt(7)
	;;#ASMSTART
	v_dot2_f32_f16 v0, v16, v20, v0
	;;#ASMEND
	;;#ASMSTART
	v_dot2_f32_f16 v0, v17, v21, v0
	;;#ASMEND
	;;#ASMSTART
	v_dot2_f32_f16 v0, v18, v22, v0
	;;#ASMEND
	;;#ASMSTART
	v_dot2_f32_f16 v0, v19, v23, v0
	;;#ASMEND
	s_waitcnt lgkmcnt(6)
	;;#ASMSTART
	v_dot2_f32_f16 v1, v16, v24, v1
	;;#ASMEND
	;;#ASMSTART
	v_dot2_f32_f16 v1, v17, v25, v1
	;;#ASMEND
	;;#ASMSTART
	v_dot2_f32_f16 v1, v18, v26, v1
	;;#ASMEND
	;;#ASMSTART
	v_dot2_f32_f16 v1, v19, v27, v1
	;;#ASMEND
	;; [unrolled: 13-line block ×8, first 2 shown]
	ds_load_b128 v[16:19], v134 offset:14368
	ds_load_b128 v[20:23], v135 offset:112
	;; [unrolled: 1-line block ×9, first 2 shown]
	s_waitcnt lgkmcnt(7)
	;;#ASMSTART
	v_dot2_f32_f16 v0, v16, v20, v0
	;;#ASMEND
	;;#ASMSTART
	v_dot2_f32_f16 v0, v17, v21, v0
	;;#ASMEND
	;;#ASMSTART
	v_dot2_f32_f16 v0, v18, v22, v0
	;;#ASMEND
	;;#ASMSTART
	v_dot2_f32_f16 v0, v19, v23, v0
	;;#ASMEND
	s_waitcnt lgkmcnt(6)
	;;#ASMSTART
	v_dot2_f32_f16 v1, v16, v24, v1
	;;#ASMEND
	;;#ASMSTART
	v_dot2_f32_f16 v1, v17, v25, v1
	;;#ASMEND
	;;#ASMSTART
	v_dot2_f32_f16 v1, v18, v26, v1
	;;#ASMEND
	;;#ASMSTART
	v_dot2_f32_f16 v1, v19, v27, v1
	;;#ASMEND
	;; [unrolled: 13-line block ×8, first 2 shown]
	ds_load_b128 v[16:19], v134 offset:14384
	ds_load_b128 v[20:23], v135 offset:128
	;; [unrolled: 1-line block ×9, first 2 shown]
	s_waitcnt lgkmcnt(7)
	;;#ASMSTART
	v_dot2_f32_f16 v0, v16, v20, v0
	;;#ASMEND
	;;#ASMSTART
	v_dot2_f32_f16 v0, v17, v21, v0
	;;#ASMEND
	;;#ASMSTART
	v_dot2_f32_f16 v0, v18, v22, v0
	;;#ASMEND
	;;#ASMSTART
	v_dot2_f32_f16 v0, v19, v23, v0
	;;#ASMEND
	s_waitcnt lgkmcnt(6)
	;;#ASMSTART
	v_dot2_f32_f16 v1, v16, v24, v1
	;;#ASMEND
	;;#ASMSTART
	v_dot2_f32_f16 v1, v17, v25, v1
	;;#ASMEND
	;;#ASMSTART
	v_dot2_f32_f16 v1, v18, v26, v1
	;;#ASMEND
	;;#ASMSTART
	v_dot2_f32_f16 v1, v19, v27, v1
	;;#ASMEND
	;; [unrolled: 13-line block ×8, first 2 shown]
	ds_load_b128 v[16:19], v134 offset:14400
	ds_load_b128 v[20:23], v135 offset:144
	;; [unrolled: 1-line block ×3, first 2 shown]
	v_lshlrev_b64 v[36:37], 1, v[52:53]
	ds_load_b128 v[28:31], v135 offset:464
	ds_load_b128 v[32:35], v135 offset:624
	s_add_u32 s36, s47, s36
	s_addc_u32 s37, s48, s37
	v_lshlrev_b32_e32 v179, 2, v139
	v_add_co_u32 v52, s6, s42, v36
	s_delay_alu instid0(VALU_DEP_1)
	v_add_co_ci_u32_e64 v53, s6, s43, v37, s6
	ds_load_b128 v[36:39], v135 offset:784
	ds_load_b128 v[40:43], v135 offset:944
	;; [unrolled: 1-line block ×4, first 2 shown]
	s_waitcnt lgkmcnt(7)
	;;#ASMSTART
	v_dot2_f32_f16 v0, v16, v20, v0
	;;#ASMEND
	;;#ASMSTART
	v_dot2_f32_f16 v0, v17, v21, v0
	;;#ASMEND
	;;#ASMSTART
	v_dot2_f32_f16 v0, v18, v22, v0
	;;#ASMEND
	;;#ASMSTART
	v_dot2_f32_f16 v0, v19, v23, v0
	;;#ASMEND
	s_waitcnt lgkmcnt(6)
	;;#ASMSTART
	v_dot2_f32_f16 v1, v16, v24, v1
	;;#ASMEND
	;;#ASMSTART
	v_dot2_f32_f16 v1, v17, v25, v1
	;;#ASMEND
	;;#ASMSTART
	v_dot2_f32_f16 v1, v18, v26, v1
	;;#ASMEND
	;;#ASMSTART
	v_dot2_f32_f16 v1, v19, v27, v1
	;;#ASMEND
	;; [unrolled: 13-line block ×7, first 2 shown]
	s_waitcnt lgkmcnt(0)
	;;#ASMSTART
	v_dot2_f32_f16 v7, v16, v48, v7
	;;#ASMEND
	;;#ASMSTART
	v_dot2_f32_f16 v7, v17, v49, v7
	;;#ASMEND
	v_max_f32_e32 v17, v9, v9
	;;#ASMSTART
	v_dot2_f32_f16 v7, v18, v50, v7
	;;#ASMEND
	;;#ASMSTART
	v_dot2_f32_f16 v7, v19, v51, v7
	;;#ASMEND
	flat_load_u16 v16, v[52:53]
	v_dual_max_f32 v18, v8, v8 :: v_dual_max_f32 v19, v10, v10
	v_cmp_gt_i32_e64 s6, 32, v154
	v_dual_max_f32 v20, v13, v13 :: v_dual_max_f32 v21, v11, v11
	v_dual_max_f32 v23, v14, v14 :: v_dual_max_f32 v24, v12, v12
	s_delay_alu instid0(VALU_DEP_3)
	v_cndmask_b32_e64 v22, v131, v154, s6
	v_max_f32_e32 v25, v15, v15
	v_cmp_gt_i32_e64 s6, 32, v155
	s_waitcnt vmcnt(0) lgkmcnt(0)
	s_barrier
	v_lshlrev_b32_e32 v22, 2, v22
	buffer_gl0_inv
	v_cvt_f32_f16_e32 v16, v16
	s_delay_alu instid0(VALU_DEP_1)
	v_add_f32_e32 v30, v5, v16
	v_add_f32_e32 v26, v1, v16
	;; [unrolled: 1-line block ×5, first 2 shown]
	v_dual_add_f32 v5, 0x40051340, v30 :: v_dual_add_f32 v28, v3, v16
	v_dual_add_f32 v1, 0x40051340, v26 :: v_dual_add_f32 v32, v7, v16
	s_delay_alu instid0(VALU_DEP_2) | instskip(SKIP_1) | instid1(VALU_DEP_3)
	v_dual_add_f32 v16, v6, v16 :: v_dual_max_f32 v5, v21, v5
	v_add_f32_e32 v2, 0x40051340, v29
	v_dual_max_f32 v1, v17, v1 :: v_dual_add_f32 v0, 0x40051340, v27
	s_delay_alu instid0(VALU_DEP_4)
	v_add_f32_e32 v7, 0x40051340, v32
	ds_bpermute_b32 v21, v22, v5
	v_max_f32_e32 v2, v20, v2
	ds_bpermute_b32 v17, v22, v1
	v_dual_add_f32 v6, 0x40051340, v16 :: v_dual_max_f32 v7, v24, v7
	ds_bpermute_b32 v20, v22, v2
	v_dual_max_f32 v6, v25, v6 :: v_dual_add_f32 v3, 0x40051340, v28
	v_add_f32_e32 v4, 0x40051340, v31
	v_cndmask_b32_e64 v25, v131, v155, s6
	v_max_f32_e32 v0, v18, v0
	ds_bpermute_b32 v24, v22, v7
	v_max_f32_e32 v3, v19, v3
	v_dual_max_f32 v4, v23, v4 :: v_dual_lshlrev_b32 v25, 2, v25
	ds_bpermute_b32 v18, v22, v0
	v_cmp_gt_i32_e64 s6, 32, v156
	ds_bpermute_b32 v19, v22, v3
	s_waitcnt lgkmcnt(5)
	v_max_f32_e32 v21, v21, v21
	s_waitcnt lgkmcnt(4)
	v_max_f32_e32 v17, v17, v17
	ds_bpermute_b32 v23, v22, v4
	ds_bpermute_b32 v22, v22, v6
	s_waitcnt lgkmcnt(5)
	v_dual_max_f32 v5, v5, v21 :: v_dual_max_f32 v20, v20, v20
	v_max_f32_e32 v1, v1, v17
	ds_bpermute_b32 v21, v25, v5
	v_max_f32_e32 v2, v2, v20
	ds_bpermute_b32 v17, v25, v1
	s_waitcnt lgkmcnt(6)
	v_max_f32_e32 v24, v24, v24
	ds_bpermute_b32 v20, v25, v2
	s_waitcnt lgkmcnt(6)
	v_dual_max_f32 v18, v18, v18 :: v_dual_max_f32 v7, v7, v24
	s_waitcnt lgkmcnt(5)
	s_delay_alu instid0(VALU_DEP_1) | instskip(SKIP_2) | instid1(VALU_DEP_2)
	v_dual_max_f32 v19, v19, v19 :: v_dual_max_f32 v0, v0, v18
	s_waitcnt lgkmcnt(3)
	v_dual_max_f32 v23, v23, v23 :: v_dual_max_f32 v22, v22, v22
	v_max_f32_e32 v3, v3, v19
	ds_bpermute_b32 v18, v25, v0
	v_max_f32_e32 v4, v4, v23
	v_max_f32_e32 v6, v6, v22
	ds_bpermute_b32 v23, v25, v7
	ds_bpermute_b32 v19, v25, v3
	s_waitcnt lgkmcnt(4)
	v_max_f32_e32 v17, v17, v17
	ds_bpermute_b32 v22, v25, v4
	ds_bpermute_b32 v24, v25, v6
	v_cndmask_b32_e64 v25, v131, v156, s6
	s_waitcnt lgkmcnt(5)
	v_dual_max_f32 v20, v20, v20 :: v_dual_max_f32 v21, v21, v21
	v_cmp_gt_i32_e64 s6, 32, v157
	s_delay_alu instid0(VALU_DEP_2)
	v_dual_max_f32 v2, v2, v20 :: v_dual_lshlrev_b32 v25, 2, v25
	ds_bpermute_b32 v20, v25, v2
	s_waitcnt lgkmcnt(5)
	v_dual_max_f32 v18, v18, v18 :: v_dual_max_f32 v1, v1, v17
	s_waitcnt lgkmcnt(4)
	v_max_f32_e32 v23, v23, v23
	s_waitcnt lgkmcnt(3)
	s_delay_alu instid0(VALU_DEP_2)
	v_dual_max_f32 v19, v19, v19 :: v_dual_max_f32 v0, v0, v18
	s_waitcnt lgkmcnt(2)
	v_max_f32_e32 v22, v22, v22
	s_waitcnt lgkmcnt(1)
	v_dual_max_f32 v24, v24, v24 :: v_dual_max_f32 v7, v7, v23
	v_max_f32_e32 v3, v3, v19
	ds_bpermute_b32 v18, v25, v0
	v_dual_max_f32 v5, v5, v21 :: v_dual_max_f32 v4, v4, v22
	v_max_f32_e32 v6, v6, v24
	ds_bpermute_b32 v23, v25, v7
	ds_bpermute_b32 v17, v25, v1
	;; [unrolled: 1-line block ×6, first 2 shown]
	v_cndmask_b32_e64 v25, v131, v157, s6
	s_waitcnt lgkmcnt(7)
	v_max_f32_e32 v20, v20, v20
	v_cmp_gt_i32_e64 s6, 32, v158
	s_delay_alu instid0(VALU_DEP_2)
	v_dual_max_f32 v2, v2, v20 :: v_dual_lshlrev_b32 v25, 2, v25
	s_waitcnt lgkmcnt(6)
	v_max_f32_e32 v18, v18, v18
	ds_bpermute_b32 v20, v25, v2
	s_waitcnt lgkmcnt(6)
	v_dual_max_f32 v23, v23, v23 :: v_dual_max_f32 v0, v0, v18
	s_waitcnt lgkmcnt(5)
	v_max_f32_e32 v17, v17, v17
	s_waitcnt lgkmcnt(3)
	v_max_f32_e32 v21, v21, v21
	s_waitcnt lgkmcnt(2)
	v_dual_max_f32 v19, v19, v19 :: v_dual_max_f32 v22, v22, v22
	ds_bpermute_b32 v18, v25, v0
	s_waitcnt lgkmcnt(2)
	v_dual_max_f32 v1, v1, v17 :: v_dual_max_f32 v24, v24, v24
	v_max_f32_e32 v5, v5, v21
	v_max_f32_e32 v7, v7, v23
	v_dual_max_f32 v3, v3, v19 :: v_dual_max_f32 v4, v4, v22
	s_delay_alu instid0(VALU_DEP_4)
	v_max_f32_e32 v6, v6, v24
	ds_bpermute_b32 v21, v25, v5
	ds_bpermute_b32 v17, v25, v1
	;; [unrolled: 1-line block ×5, first 2 shown]
	s_waitcnt lgkmcnt(6)
	v_max_f32_e32 v20, v20, v20
	s_delay_alu instid0(VALU_DEP_1) | instskip(SKIP_4) | instid1(VALU_DEP_1)
	v_max_f32_e32 v2, v2, v20
	s_waitcnt lgkmcnt(5)
	v_max_f32_e32 v18, v18, v18
	ds_bpermute_b32 v23, v25, v7
	v_cndmask_b32_e64 v25, v131, v158, s6
	v_dual_max_f32 v0, v0, v18 :: v_dual_lshlrev_b32 v25, 2, v25
	s_waitcnt lgkmcnt(5)
	v_max_f32_e32 v21, v21, v21
	s_waitcnt lgkmcnt(4)
	v_max_f32_e32 v17, v17, v17
	s_waitcnt lgkmcnt(2)
	v_dual_max_f32 v19, v19, v19 :: v_dual_max_f32 v22, v22, v22
	s_waitcnt lgkmcnt(1)
	v_max_f32_e32 v24, v24, v24
	ds_bpermute_b32 v18, v25, v0
	ds_bpermute_b32 v20, v25, v2
	v_dual_max_f32 v1, v1, v17 :: v_dual_max_f32 v4, v4, v22
	v_dual_max_f32 v3, v3, v19 :: v_dual_max_f32 v6, v6, v24
	v_max_f32_e32 v5, v5, v21
	ds_bpermute_b32 v17, v25, v1
	s_waitcnt lgkmcnt(3)
	v_max_f32_e32 v23, v23, v23
	ds_bpermute_b32 v19, v25, v3
	ds_bpermute_b32 v22, v25, v4
	;; [unrolled: 1-line block ×3, first 2 shown]
	s_waitcnt lgkmcnt(5)
	v_dual_max_f32 v7, v7, v23 :: v_dual_max_f32 v18, v18, v18
	s_waitcnt lgkmcnt(4)
	v_max_f32_e32 v20, v20, v20
	ds_bpermute_b32 v21, v25, v5
	ds_bpermute_b32 v23, v25, v7
	v_max_f32_e32 v0, v0, v18
	s_waitcnt lgkmcnt(5)
	v_dual_max_f32 v2, v2, v20 :: v_dual_max_f32 v17, v17, v17
	s_waitcnt lgkmcnt(3)
	v_dual_max_f32 v19, v19, v19 :: v_dual_max_f32 v22, v22, v22
	s_waitcnt lgkmcnt(2)
	s_delay_alu instid0(VALU_DEP_2) | instskip(NEXT) | instid1(VALU_DEP_2)
	v_dual_max_f32 v24, v24, v24 :: v_dual_max_f32 v1, v1, v17
	v_dual_sub_f32 v176, v8, v0 :: v_dual_max_f32 v3, v3, v19
	s_delay_alu instid0(VALU_DEP_3) | instskip(NEXT) | instid1(VALU_DEP_3)
	v_max_f32_e32 v4, v4, v22
	v_max_f32_e32 v6, v6, v24
	s_delay_alu instid0(VALU_DEP_4) | instskip(NEXT) | instid1(VALU_DEP_3)
	v_dual_sub_f32 v8, v27, v0 :: v_dual_sub_f32 v17, v26, v1
	v_dual_sub_f32 v177, v9, v1 :: v_dual_sub_f32 v172, v14, v4
	v_sub_f32_e32 v174, v13, v2
	s_waitcnt lgkmcnt(1)
	v_max_f32_e32 v21, v21, v21
	s_waitcnt lgkmcnt(0)
	v_max_f32_e32 v23, v23, v23
	v_sub_f32_e32 v9, v29, v2
	v_dual_sub_f32 v175, v10, v3 :: v_dual_sub_f32 v170, v15, v6
	v_max_f32_e32 v5, v5, v21
	s_delay_alu instid0(VALU_DEP_4) | instskip(SKIP_2) | instid1(VALU_DEP_4)
	v_max_f32_e32 v7, v7, v23
	v_dual_sub_f32 v13, v28, v3 :: v_dual_sub_f32 v10, v31, v4
	v_cmp_ngt_f32_e64 s22, 0xc2ce8ed0, v17
	v_sub_f32_e32 v14, v30, v5
	v_sub_f32_e32 v173, v11, v5
	v_sub_f32_e32 v11, v16, v6
	v_dual_sub_f32 v171, v12, v7 :: v_dual_mul_f32 v12, 0x3fb8aa3b, v17
	s_delay_alu instid0(VALU_DEP_4) | instskip(SKIP_2) | instid1(VALU_DEP_4)
	v_mul_f32_e32 v20, 0x3fb8aa3b, v14
	v_dual_mul_f32 v16, 0x3fb8aa3b, v8 :: v_dual_sub_f32 v15, v32, v7
	v_mul_f32_e32 v18, 0x3fb8aa3b, v13
	v_rndne_f32_e32 v25, v12
	v_mul_f32_e32 v21, 0x3fb8aa3b, v10
	s_delay_alu instid0(VALU_DEP_4)
	v_dual_mul_f32 v19, 0x3fb8aa3b, v9 :: v_dual_mul_f32 v22, 0x3fb8aa3b, v15
	v_fma_f32 v24, 0x3fb8aa3b, v17, -v12
	v_fma_f32 v26, 0x3fb8aa3b, v8, -v16
	v_sub_f32_e32 v12, v12, v25
	v_fma_f32 v34, 0x3fb8aa3b, v10, -v21
	v_rndne_f32_e32 v35, v21
	v_rndne_f32_e32 v27, v16
	v_fma_f32 v30, 0x3fb8aa3b, v9, -v19
	v_rndne_f32_e32 v31, v19
	v_fmac_f32_e32 v24, 0x32a5705f, v17
	v_dual_fmac_f32 v26, 0x32a5705f, v8 :: v_dual_sub_f32 v21, v21, v35
	v_fmac_f32_e32 v34, 0x32a5705f, v10
	v_fma_f32 v28, 0x3fb8aa3b, v13, -v18
	v_rndne_f32_e32 v29, v18
	v_mul_f32_e32 v23, 0x3fb8aa3b, v11
	s_delay_alu instid0(VALU_DEP_4)
	v_dual_fmac_f32 v30, 0x32a5705f, v9 :: v_dual_add_f32 v21, v21, v34
	v_sub_f32_e32 v19, v19, v31
	v_sub_f32_e32 v16, v16, v27
	v_add_f32_e32 v12, v12, v24
	v_sub_f32_e32 v18, v18, v29
	v_rndne_f32_e32 v39, v23
	v_dual_add_f32 v19, v19, v30 :: v_dual_fmac_f32 v28, 0x32a5705f, v13
	v_add_f32_e32 v16, v16, v26
	v_exp_f32_e32 v12, v12
	v_fma_f32 v32, 0x3fb8aa3b, v14, -v20
	v_rndne_f32_e32 v33, v20
	v_fma_f32 v38, 0x3fb8aa3b, v11, -v23
	v_sub_f32_e32 v23, v23, v39
	v_cvt_i32_f32_e32 v25, v25
	v_add_f32_e32 v18, v18, v28
	v_exp_f32_e32 v16, v16
	v_cvt_i32_f32_e32 v27, v27
	v_fmac_f32_e32 v32, 0x32a5705f, v14
	v_fmac_f32_e32 v38, 0x32a5705f, v11
	v_sub_f32_e32 v20, v20, v33
	v_exp_f32_e32 v18, v18
	v_ldexp_f32 v12, v12, v25
	v_fma_f32 v36, 0x3fb8aa3b, v15, -v22
	v_add_f32_e32 v23, v23, v38
	v_rndne_f32_e32 v37, v22
	v_cvt_i32_f32_e32 v29, v29
	v_add_f32_e32 v20, v20, v32
	v_exp_f32_e32 v19, v19
	v_ldexp_f32 v16, v16, v27
	v_cndmask_b32_e64 v12, 0, v12, s22
	v_cmp_ngt_f32_e64 s22, 0xc2ce8ed0, v8
	v_cvt_i32_f32_e32 v31, v31
	v_fmac_f32_e32 v36, 0x32a5705f, v15
	v_sub_f32_e32 v22, v22, v37
	v_exp_f32_e32 v20, v20
	v_ldexp_f32 v18, v18, v29
	v_cndmask_b32_e64 v16, 0, v16, s22
	v_cmp_ngt_f32_e64 s22, 0xc2ce8ed0, v13
	v_cvt_i32_f32_e32 v33, v33
	v_add_f32_e32 v22, v22, v36
	v_exp_f32_e32 v21, v21
	v_ldexp_f32 v19, v19, v31
	v_cndmask_b32_e64 v18, 0, v18, s22
	v_cmp_ngt_f32_e64 s22, 0xc2ce8ed0, v9
	v_cvt_i32_f32_e32 v35, v35
	v_exp_f32_e32 v22, v22
	v_ldexp_f32 v20, v20, v33
	v_exp_f32_e32 v23, v23
	v_cndmask_b32_e64 v19, 0, v19, s22
	v_cmp_ngt_f32_e64 s22, 0xc2ce8ed0, v14
	v_cvt_i32_f32_e32 v24, v37
	v_ldexp_f32 v21, v21, v35
	v_cvt_i32_f32_e32 v26, v39
	v_cmp_ngt_f32_e64 s9, 0xc2ce8ed0, v176
	v_cndmask_b32_e64 v20, 0, v20, s22
	v_cmp_ngt_f32_e64 s22, 0xc2ce8ed0, v10
	v_ldexp_f32 v22, v22, v24
	v_ldexp_f32 v23, v23, v26
	v_cmp_nlt_f32_e64 s6, 0x42b17218, v176
	v_cmp_ngt_f32_e64 s12, 0xc2ce8ed0, v177
	v_cndmask_b32_e64 v21, 0, v21, s22
	v_cmp_ngt_f32_e64 s22, 0xc2ce8ed0, v15
	v_cmp_nlt_f32_e64 s7, 0x42b17218, v177
	v_cmp_ngt_f32_e64 s13, 0xc2ce8ed0, v174
	v_cmp_nlt_f32_e64 s8, 0x42b17218, v174
	v_cmp_ngt_f32_e64 s17, 0xc2ce8ed0, v175
	v_cndmask_b32_e64 v22, 0, v22, s22
	v_cmp_ngt_f32_e64 s22, 0xc2ce8ed0, v11
	v_cmp_nlt_f32_e64 s10, 0x42b17218, v175
	v_cmp_ngt_f32_e64 s18, 0xc2ce8ed0, v172
	v_cmp_nlt_f32_e64 s11, 0x42b17218, v172
	v_cmp_ngt_f32_e64 s19, 0xc2ce8ed0, v173
	v_cndmask_b32_e64 v23, 0, v23, s22
	v_cmp_nlt_f32_e64 s22, 0x42b17218, v17
	v_cmp_nlt_f32_e64 s15, 0x42b17218, v173
	v_cmp_ngt_f32_e64 s20, 0xc2ce8ed0, v170
	v_cmp_nlt_f32_e64 s16, 0x42b17218, v170
	v_cmp_ngt_f32_e64 s21, 0xc2ce8ed0, v171
	v_cndmask_b32_e64 v163, 0x7f800000, v12, s22
	v_cmp_nlt_f32_e64 s22, 0x42b17218, v8
	s_delay_alu instid0(VALU_DEP_2) | instskip(NEXT) | instid1(VALU_DEP_2)
	v_cvt_f16_f32_e64 v8, v163
	v_cndmask_b32_e64 v166, 0x7f800000, v16, s22
	v_cmp_nlt_f32_e64 s22, 0x42b17218, v13
	s_delay_alu instid0(VALU_DEP_1) | instskip(SKIP_1) | instid1(VALU_DEP_2)
	v_cndmask_b32_e64 v161, 0x7f800000, v18, s22
	v_cmp_nlt_f32_e64 s22, 0x42b17218, v9
	v_cvt_f16_f32_e64 v9, v161
	s_delay_alu instid0(VALU_DEP_2) | instskip(SKIP_1) | instid1(VALU_DEP_2)
	v_cndmask_b32_e64 v165, 0x7f800000, v19, s22
	v_cmp_nlt_f32_e64 s22, 0x42b17218, v14
	v_cvt_f16_f32_e64 v14, v165
	s_delay_alu instid0(VALU_DEP_2) | instskip(SKIP_1) | instid1(VALU_DEP_3)
	v_cndmask_b32_e64 v160, 0x7f800000, v20, s22
	v_cmp_nlt_f32_e64 s22, 0x42b17218, v10
	v_pack_b32_f16 v9, v14, v9
	s_delay_alu instid0(VALU_DEP_3) | instskip(NEXT) | instid1(VALU_DEP_3)
	v_cvt_f16_f32_e64 v10, v160
	v_cndmask_b32_e64 v164, 0x7f800000, v21, s22
	v_cmp_nlt_f32_e64 s22, 0x42b17218, v15
	v_cvt_f16_f32_e64 v15, v166
	s_delay_alu instid0(VALU_DEP_3) | instskip(NEXT) | instid1(VALU_DEP_3)
	v_cvt_f16_f32_e64 v13, v164
	v_cndmask_b32_e64 v159, 0x7f800000, v22, s22
	v_cmp_nlt_f32_e64 s22, 0x42b17218, v11
	s_delay_alu instid0(VALU_DEP_4) | instskip(NEXT) | instid1(VALU_DEP_4)
	v_pack_b32_f16 v8, v15, v8
	v_pack_b32_f16 v10, v13, v10
	s_delay_alu instid0(VALU_DEP_4) | instskip(NEXT) | instid1(VALU_DEP_4)
	v_cvt_f16_f32_e64 v11, v159
	v_cndmask_b32_e64 v162, 0x7f800000, v23, s22
	v_cmp_nlt_f32_e64 s22, 0x42b17218, v171
	s_delay_alu instid0(VALU_DEP_2) | instskip(NEXT) | instid1(VALU_DEP_1)
	v_cvt_f16_f32_e64 v12, v162
	v_pack_b32_f16 v11, v12, v11
	ds_store_b128 v144, v[8:11]
	s_and_saveexec_b32 s49, s4
	s_cbranch_execz .LBB0_21
; %bb.20:                               ;   in Loop: Header=BB0_11 Depth=1
	v_add_co_u32 v8, s23, s36, v112
	s_delay_alu instid0(VALU_DEP_1) | instskip(NEXT) | instid1(VALU_DEP_2)
	v_add_co_ci_u32_e64 v9, s23, s37, v113, s23
	v_add_co_u32 v8, s23, v8, v179
	s_delay_alu instid0(VALU_DEP_1)
	v_add_co_ci_u32_e64 v9, s23, 0, v9, s23
	global_load_b128 v[8:11], v[8:9], off offset:128
	s_waitcnt vmcnt(0)
	ds_store_b128 v142, v[8:11]
.LBB0_21:                               ;   in Loop: Header=BB0_11 Depth=1
	s_or_b32 exec_lo, exec_lo, s49
	v_lshlrev_b32_e32 v178, 2, v140
	s_and_saveexec_b32 s49, s5
	s_cbranch_execz .LBB0_23
; %bb.22:                               ;   in Loop: Header=BB0_11 Depth=1
	v_add_co_u32 v8, s23, s36, v114
	s_delay_alu instid0(VALU_DEP_1) | instskip(NEXT) | instid1(VALU_DEP_2)
	v_add_co_ci_u32_e64 v9, s23, s37, v115, s23
	v_add_co_u32 v8, s23, v8, v178
	s_delay_alu instid0(VALU_DEP_1)
	v_add_co_ci_u32_e64 v9, s23, 0, v9, s23
	global_load_b128 v[8:11], v[8:9], off
	s_waitcnt vmcnt(0)
	ds_store_b128 v143, v[8:11]
.LBB0_23:                               ;   in Loop: Header=BB0_11 Depth=1
	s_or_b32 exec_lo, exec_lo, s49
	v_add_nc_u32_e32 v169, 0x3800, v141
	s_waitcnt lgkmcnt(0)
	s_barrier
	buffer_gl0_inv
	v_add_nc_u32_e32 v168, 0x3c00, v141
	ds_load_2addr_b64 v[92:95], v169 offset1:20
	ds_load_b128 v[100:103], v138
	ds_load_b128 v[96:99], v138 offset:16
	ds_load_b128 v[88:91], v138 offset:32
	;; [unrolled: 1-line block ×3, first 2 shown]
	ds_load_2addr_b64 v[84:87], v169 offset0:40 offset1:60
	ds_load_2addr_b64 v[68:71], v169 offset0:80 offset1:100
	ds_load_b128 v[76:79], v138 offset:64
	ds_load_b128 v[72:75], v138 offset:80
	ds_load_2addr_b64 v[56:59], v169 offset0:120 offset1:140
	ds_load_b128 v[64:67], v138 offset:96
	ds_load_b128 v[60:63], v138 offset:112
	;; [unrolled: 3-line block ×3, first 2 shown]
	ds_load_2addr_b64 v[32:35], v169 offset0:200 offset1:220
	v_add_nc_u32_e32 v167, 0x4000, v141
	ds_load_b128 v[44:47], v138 offset:160
	ds_load_b128 v[36:39], v138 offset:176
	ds_load_2addr_b64 v[20:23], v168 offset0:112 offset1:132
	ds_load_b128 v[28:31], v138 offset:192
	ds_load_b128 v[24:27], v138 offset:208
	ds_load_2addr_b64 v[8:11], v167 offset0:24 offset1:44
	ds_load_b128 v[16:19], v138 offset:224
	ds_load_b128 v[12:15], v138 offset:240
	s_or_b32 s23, s35, 16
	s_waitcnt lgkmcnt(0)
	s_mul_hi_i32 s37, s23, s41
	s_mul_i32 s36, s23, s41
	s_barrier
	s_lshl_b64 s[36:37], s[36:37], 2
	buffer_gl0_inv
	s_add_u32 s36, s47, s36
	s_addc_u32 s37, s48, s37
	s_and_saveexec_b32 s49, s4
	s_cbranch_execz .LBB0_25
; %bb.24:                               ;   in Loop: Header=BB0_11 Depth=1
	v_add_co_u32 v180, s23, s36, v112
	s_delay_alu instid0(VALU_DEP_1) | instskip(NEXT) | instid1(VALU_DEP_2)
	v_add_co_ci_u32_e64 v181, s23, s37, v113, s23
	v_add_co_u32 v179, s23, v180, v179
	s_delay_alu instid0(VALU_DEP_1)
	v_add_co_ci_u32_e64 v180, s23, 0, v181, s23
	global_load_b128 v[179:182], v[179:180], off offset:128
	s_waitcnt vmcnt(0)
	ds_store_b128 v142, v[179:182]
.LBB0_25:                               ;   in Loop: Header=BB0_11 Depth=1
	s_or_b32 exec_lo, exec_lo, s49
	v_dual_mul_f32 v181, 0x3fb8aa3b, v174 :: v_dual_mul_f32 v182, 0x3fb8aa3b, v175
	v_dual_mul_f32 v185, 0x3fb8aa3b, v170 :: v_dual_mul_f32 v186, 0x3fb8aa3b, v171
	;; [unrolled: 1-line block ×4, first 2 shown]
	s_delay_alu instid0(VALU_DEP_4)
	v_fma_f32 v191, 0x3fb8aa3b, v174, -v181
	v_rndne_f32_e32 v192, v181
	v_fma_f32 v193, 0x3fb8aa3b, v175, -v182
	v_fma_f32 v199, 0x3fb8aa3b, v170, -v185
	v_rndne_f32_e32 v200, v185
	v_fma_f32 v187, 0x3fb8aa3b, v176, -v179
	v_rndne_f32_e32 v188, v179
	;; [unrolled: 2-line block ×3, first 2 shown]
	v_rndne_f32_e32 v194, v182
	v_fma_f32 v195, 0x3fb8aa3b, v172, -v183
	v_rndne_f32_e32 v196, v183
	v_fma_f32 v197, 0x3fb8aa3b, v173, -v184
	;; [unrolled: 2-line block ×3, first 2 shown]
	v_rndne_f32_e32 v202, v186
	v_dual_fmac_f32 v191, 0x32a5705f, v174 :: v_dual_sub_f32 v174, v181, v192
	v_fmac_f32_e32 v193, 0x32a5705f, v175
	v_dual_fmac_f32 v199, 0x32a5705f, v170 :: v_dual_sub_f32 v170, v185, v200
	s_delay_alu instid0(VALU_DEP_3)
	v_dual_fmac_f32 v187, 0x32a5705f, v176 :: v_dual_add_f32 v174, v174, v191
	v_dual_sub_f32 v176, v179, v188 :: v_dual_fmac_f32 v189, 0x32a5705f, v177
	v_sub_f32_e32 v177, v180, v190
	v_sub_f32_e32 v175, v182, v194
	v_dual_fmac_f32 v195, 0x32a5705f, v172 :: v_dual_add_f32 v170, v170, v199
	v_dual_sub_f32 v172, v183, v196 :: v_dual_fmac_f32 v197, 0x32a5705f, v173
	v_sub_f32_e32 v173, v184, v198
	v_fmac_f32_e32 v201, 0x32a5705f, v171
	s_delay_alu instid0(VALU_DEP_3) | instskip(SKIP_3) | instid1(VALU_DEP_4)
	v_dual_sub_f32 v171, v186, v202 :: v_dual_add_f32 v172, v172, v195
	v_dual_add_f32 v176, v176, v187 :: v_dual_add_f32 v177, v177, v189
	v_add_f32_e32 v175, v175, v193
	v_add_f32_e32 v173, v173, v197
	v_add_f32_e32 v171, v171, v201
	s_delay_alu instid0(VALU_DEP_4)
	v_exp_f32_e32 v176, v176
	v_exp_f32_e32 v177, v177
	;; [unrolled: 1-line block ×8, first 2 shown]
	v_cvt_i32_f32_e32 v179, v188
	v_cvt_i32_f32_e32 v180, v190
	;; [unrolled: 1-line block ×8, first 2 shown]
	v_ldexp_f32 v176, v176, v179
	v_ldexp_f32 v177, v177, v180
	;; [unrolled: 1-line block ×8, first 2 shown]
	v_cndmask_b32_e64 v176, 0, v176, s9
	v_cndmask_b32_e64 v179, 0, v177, s12
	;; [unrolled: 1-line block ×16, first 2 shown]
	s_and_saveexec_b32 s7, s5
	s_cbranch_execz .LBB0_27
; %bb.26:                               ;   in Loop: Header=BB0_11 Depth=1
	v_add_co_u32 v179, s6, s36, v114
	s_delay_alu instid0(VALU_DEP_1) | instskip(NEXT) | instid1(VALU_DEP_2)
	v_add_co_ci_u32_e64 v180, s6, s37, v115, s6
	v_add_co_u32 v178, s6, v179, v178
	s_delay_alu instid0(VALU_DEP_1)
	v_add_co_ci_u32_e64 v179, s6, 0, v180, s6
	global_load_b128 v[178:181], v[178:179], off
	s_waitcnt vmcnt(0)
	ds_store_b128 v143, v[178:181]
.LBB0_27:                               ;   in Loop: Header=BB0_11 Depth=1
	s_or_b32 exec_lo, exec_lo, s7
	v_dual_fmac_f32 v161, v152, v174 :: v_dual_fmac_f32 v160, v147, v172
	v_cvt_f16_f32_e64 v147, v176
	v_dual_fmac_f32 v162, v148, v171 :: v_dual_fmac_f32 v159, v146, v170
	v_cvt_f16_f32_e64 v146, v175
	v_cvt_f16_f32_e64 v148, v174
	s_delay_alu instid0(VALU_DEP_4)
	v_pk_mul_f16 v129, v147, v129 op_sel_hi:[0,1]
	v_pk_mul_f16 v130, v147, v130 op_sel_hi:[0,1]
	v_cvt_f16_f32_e64 v147, v173
	v_dual_fmac_f32 v166, v149, v177 :: v_dual_fmac_f32 v163, v150, v176
	v_cvt_f16_f32_e64 v149, v177
	v_pk_mul_f16 v126, v146, v126 op_sel_hi:[0,1]
	v_pk_mul_f16 v127, v146, v127 op_sel_hi:[0,1]
	;; [unrolled: 1-line block ×4, first 2 shown]
	v_cvt_f16_f32_e64 v146, v172
	v_pk_mul_f16 v122, v147, v122 op_sel_hi:[0,1]
	v_cvt_f16_f32_e64 v148, v171
	v_pk_mul_f16 v123, v147, v123 op_sel_hi:[0,1]
	;; [unrolled: 2-line block ×3, first 2 shown]
	v_pk_mul_f16 v133, v149, v133 op_sel_hi:[0,1]
	v_pk_mul_f16 v120, v146, v120 op_sel_hi:[0,1]
	;; [unrolled: 1-line block ×7, first 2 shown]
	v_pk_fma_f16 v132, v92, v100, v132 op_sel_hi:[1,0,1]
	v_pk_fma_f16 v129, v92, v100, v129 op_sel:[0,1,0]
	v_pk_fma_f16 v126, v92, v101, v126 op_sel_hi:[1,0,1]
	v_pk_fma_f16 v124, v92, v101, v124 op_sel:[0,1,0]
	;; [unrolled: 2-line block ×120, first 2 shown]
	s_waitcnt lgkmcnt(0)
	s_barrier
	buffer_gl0_inv
	ds_load_2addr_b64 v[16:19], v169 offset1:20
	ds_load_b128 v[20:23], v138 offset:256
	v_pk_fma_f16 v38, v10, v12, v27 op_sel_hi:[1,0,1]
	v_pk_fma_f16 v31, v10, v12, v31 op_sel:[0,1,0]
	v_pk_fma_f16 v32, v10, v13, v32 op_sel_hi:[1,0,1]
	v_pk_fma_f16 v33, v10, v13, v33 op_sel:[0,1,0]
	;; [unrolled: 2-line block ×5, first 2 shown]
	v_pk_fma_f16 v28, v11, v13, v28 op_sel_hi:[1,0,1]
	v_pk_fma_f16 v29, v11, v14, v29 op_sel_hi:[1,0,1]
	v_pk_fma_f16 v41, v11, v13, v25 op_sel:[0,1,0]
	v_pk_fma_f16 v42, v11, v14, v26 op_sel:[0,1,0]
	v_pk_fma_f16 v43, v11, v15, v30 op_sel_hi:[1,0,1]
	v_pk_fma_f16 v44, v11, v15, v9 op_sel:[0,1,0]
	ds_load_b128 v[8:11], v138 offset:272
	ds_load_b128 v[12:15], v138 offset:288
	;; [unrolled: 1-line block ×3, first 2 shown]
	v_dual_fmac_f32 v165, v151, v175 :: v_dual_fmac_f32 v164, v153, v173
	s_waitcnt lgkmcnt(3)
	v_pk_fma_f16 v38, v16, v20, v38 op_sel_hi:[1,0,1]
	v_pk_fma_f16 v45, v16, v20, v31 op_sel:[0,1,0]
	v_pk_fma_f16 v32, v16, v21, v32 op_sel_hi:[1,0,1]
	v_pk_fma_f16 v33, v16, v21, v33 op_sel:[0,1,0]
	;; [unrolled: 2-line block ×5, first 2 shown]
	v_pk_fma_f16 v39, v17, v21, v28 op_sel_hi:[1,0,1]
	v_pk_fma_f16 v40, v17, v22, v29 op_sel_hi:[1,0,1]
	ds_load_2addr_b64 v[28:31], v169 offset0:40 offset1:60
	v_pk_fma_f16 v21, v17, v21, v41 op_sel:[0,1,0]
	v_pk_fma_f16 v22, v17, v22, v42 op_sel:[0,1,0]
	v_pk_fma_f16 v41, v17, v23, v43 op_sel_hi:[1,0,1]
	v_pk_fma_f16 v17, v17, v23, v44 op_sel:[0,1,0]
	s_waitcnt lgkmcnt(3)
	v_pk_fma_f16 v23, v18, v8, v38 op_sel_hi:[1,0,1]
	v_pk_fma_f16 v38, v18, v8, v45 op_sel:[0,1,0]
	v_pk_fma_f16 v32, v18, v9, v32 op_sel_hi:[1,0,1]
	v_pk_fma_f16 v33, v18, v9, v33 op_sel:[0,1,0]
	;; [unrolled: 2-line block ×8, first 2 shown]
	s_waitcnt lgkmcnt(0)
	v_pk_fma_f16 v23, v28, v12, v23 op_sel_hi:[1,0,1]
	v_pk_fma_f16 v38, v28, v12, v38 op_sel:[0,1,0]
	v_pk_fma_f16 v32, v28, v13, v32 op_sel_hi:[1,0,1]
	v_pk_fma_f16 v33, v28, v13, v33 op_sel:[0,1,0]
	;; [unrolled: 2-line block ×7, first 2 shown]
	ds_load_2addr_b64 v[8:11], v169 offset0:80 offset1:100
	ds_load_b128 v[16:19], v138 offset:320
	v_pk_fma_f16 v22, v29, v15, v22 op_sel_hi:[1,0,1]
	v_pk_fma_f16 v29, v29, v15, v37 op_sel:[0,1,0]
	v_pk_fma_f16 v23, v30, v24, v23 op_sel_hi:[1,0,1]
	v_pk_fma_f16 v37, v30, v24, v38 op_sel:[0,1,0]
	;; [unrolled: 2-line block ×8, first 2 shown]
	ds_load_b128 v[12:15], v138 offset:336
	v_pk_fma_f16 v38, v31, v27, v22 op_sel_hi:[1,0,1]
	v_pk_fma_f16 v29, v31, v27, v29 op_sel:[0,1,0]
	s_waitcnt lgkmcnt(1)
	v_pk_fma_f16 v31, v8, v16, v23 op_sel_hi:[1,0,1]
	v_pk_fma_f16 v37, v8, v16, v37 op_sel:[0,1,0]
	v_pk_fma_f16 v32, v8, v17, v32 op_sel_hi:[1,0,1]
	v_pk_fma_f16 v33, v8, v17, v33 op_sel:[0,1,0]
	v_pk_fma_f16 v34, v8, v18, v34 op_sel_hi:[1,0,1]
	v_pk_fma_f16 v35, v8, v18, v35 op_sel:[0,1,0]
	v_pk_fma_f16 v36, v8, v19, v36 op_sel_hi:[1,0,1]
	v_pk_fma_f16 v8, v8, v19, v28 op_sel:[0,1,0]
	v_pk_fma_f16 v28, v9, v16, v30 op_sel_hi:[1,0,1]
	v_pk_fma_f16 v16, v9, v16, v24 op_sel:[0,1,0]
	v_pk_fma_f16 v30, v9, v17, v20 op_sel_hi:[1,0,1]
	v_pk_fma_f16 v17, v9, v17, v25 op_sel:[0,1,0]
	v_pk_fma_f16 v39, v9, v18, v21 op_sel_hi:[1,0,1]
	v_pk_fma_f16 v18, v9, v18, v26 op_sel:[0,1,0]
	ds_load_2addr_b64 v[20:23], v169 offset0:120 offset1:140
	ds_load_b128 v[24:27], v138 offset:352
	v_pk_fma_f16 v38, v9, v19, v38 op_sel_hi:[1,0,1]
	v_pk_fma_f16 v9, v9, v19, v29 op_sel:[0,1,0]
	s_waitcnt lgkmcnt(2)
	v_pk_fma_f16 v29, v10, v12, v31 op_sel_hi:[1,0,1]
	v_pk_fma_f16 v31, v10, v12, v37 op_sel:[0,1,0]
	v_pk_fma_f16 v32, v10, v13, v32 op_sel_hi:[1,0,1]
	v_pk_fma_f16 v33, v10, v13, v33 op_sel:[0,1,0]
	v_pk_fma_f16 v34, v10, v14, v34 op_sel_hi:[1,0,1]
	v_pk_fma_f16 v35, v10, v14, v35 op_sel:[0,1,0]
	v_pk_fma_f16 v36, v10, v15, v36 op_sel_hi:[1,0,1]
	v_pk_fma_f16 v8, v10, v15, v8 op_sel:[0,1,0]
	v_pk_fma_f16 v10, v11, v12, v28 op_sel_hi:[1,0,1]
	v_pk_fma_f16 v12, v11, v12, v16 op_sel:[0,1,0]
	v_pk_fma_f16 v28, v11, v13, v30 op_sel_hi:[1,0,1]
	v_pk_fma_f16 v13, v11, v13, v17 op_sel:[0,1,0]
	v_pk_fma_f16 v30, v11, v14, v39 op_sel_hi:[1,0,1]
	v_pk_fma_f16 v14, v11, v14, v18 op_sel:[0,1,0]
	ds_load_b128 v[16:19], v138 offset:368
	v_pk_fma_f16 v37, v11, v15, v38 op_sel_hi:[1,0,1]
	v_pk_fma_f16 v38, v11, v15, v9 op_sel:[0,1,0]
	s_waitcnt lgkmcnt(1)
	v_pk_fma_f16 v29, v20, v24, v29 op_sel_hi:[1,0,1]
	v_pk_fma_f16 v31, v20, v24, v31 op_sel:[0,1,0]
	v_pk_fma_f16 v32, v20, v25, v32 op_sel_hi:[1,0,1]
	v_pk_fma_f16 v33, v20, v25, v33 op_sel:[0,1,0]
	v_pk_fma_f16 v34, v20, v26, v34 op_sel_hi:[1,0,1]
	v_pk_fma_f16 v35, v20, v26, v35 op_sel:[0,1,0]
	v_pk_fma_f16 v36, v20, v27, v36 op_sel_hi:[1,0,1]
	v_pk_fma_f16 v20, v20, v27, v8 op_sel:[0,1,0]
	v_pk_fma_f16 v39, v21, v24, v10 op_sel_hi:[1,0,1]
	v_pk_fma_f16 v24, v21, v24, v12 op_sel:[0,1,0]
	v_pk_fma_f16 v28, v21, v25, v28 op_sel_hi:[1,0,1]
	v_pk_fma_f16 v25, v21, v25, v13 op_sel:[0,1,0]
	v_pk_fma_f16 v30, v21, v26, v30 op_sel_hi:[1,0,1]
	v_pk_fma_f16 v26, v21, v26, v14 op_sel:[0,1,0]
	ds_load_2addr_b64 v[8:11], v169 offset0:160 offset1:180
	ds_load_b128 v[12:15], v138 offset:384
	v_pk_fma_f16 v37, v21, v27, v37 op_sel_hi:[1,0,1]
	v_pk_fma_f16 v21, v21, v27, v38 op_sel:[0,1,0]
	s_waitcnt lgkmcnt(2)
	v_pk_fma_f16 v29, v22, v16, v29 op_sel_hi:[1,0,1]
	v_pk_fma_f16 v31, v22, v16, v31 op_sel:[0,1,0]
	v_pk_fma_f16 v32, v22, v17, v32 op_sel_hi:[1,0,1]
	v_pk_fma_f16 v33, v22, v17, v33 op_sel:[0,1,0]
	v_pk_fma_f16 v34, v22, v18, v34 op_sel_hi:[1,0,1]
	v_pk_fma_f16 v35, v22, v18, v35 op_sel:[0,1,0]
	v_pk_fma_f16 v36, v22, v19, v36 op_sel_hi:[1,0,1]
	v_pk_fma_f16 v20, v22, v19, v20 op_sel:[0,1,0]
	v_pk_fma_f16 v22, v23, v16, v39 op_sel_hi:[1,0,1]
	v_pk_fma_f16 v16, v23, v16, v24 op_sel:[0,1,0]
	v_pk_fma_f16 v28, v23, v17, v28 op_sel_hi:[1,0,1]
	v_pk_fma_f16 v17, v23, v17, v25 op_sel:[0,1,0]
	v_pk_fma_f16 v30, v23, v18, v30 op_sel_hi:[1,0,1]
	v_pk_fma_f16 v18, v23, v18, v26 op_sel:[0,1,0]
	;; [unrolled: 37-line block ×4, first 2 shown]
	ds_load_b128 v[20:23], v138 offset:464
	v_pk_fma_f16 v37, v19, v15, v37 op_sel_hi:[1,0,1]
	v_pk_fma_f16 v38, v19, v15, v17 op_sel:[0,1,0]
	s_waitcnt lgkmcnt(1)
	v_pk_fma_f16 v29, v8, v24, v29 op_sel_hi:[1,0,1]
	v_pk_fma_f16 v31, v8, v24, v31 op_sel:[0,1,0]
	v_pk_fma_f16 v32, v8, v25, v32 op_sel_hi:[1,0,1]
	v_pk_fma_f16 v33, v8, v25, v33 op_sel:[0,1,0]
	;; [unrolled: 2-line block ×8, first 2 shown]
	ds_load_2addr_b64 v[12:15], v167 offset0:24 offset1:44
	ds_load_b128 v[16:19], v138 offset:480
	s_waitcnt lgkmcnt(2)
	v_pk_fma_f16 v27, v10, v20, v29 op_sel_hi:[1,0,1]
	v_pk_fma_f16 v29, v10, v20, v31 op_sel:[0,1,0]
	v_pk_fma_f16 v31, v10, v21, v32 op_sel_hi:[1,0,1]
	v_pk_fma_f16 v32, v10, v21, v33 op_sel:[0,1,0]
	;; [unrolled: 2-line block ×8, first 2 shown]
	ds_load_b128 v[8:11], v138 offset:496
	s_waitcnt lgkmcnt(0)
	s_barrier
	buffer_gl0_inv
	s_load_b32 s6, s[26:27], 0x4
	v_pk_fma_f16 v27, v12, v16, v27 op_sel_hi:[1,0,1]
	v_pk_fma_f16 v28, v12, v16, v29 op_sel:[0,1,0]
	v_pk_fma_f16 v29, v12, v17, v31 op_sel_hi:[1,0,1]
	v_pk_fma_f16 v30, v12, v17, v32 op_sel:[0,1,0]
	;; [unrolled: 2-line block ×9, first 2 shown]
	v_pk_fma_f16 v126, v14, v9, v29 op_sel_hi:[1,0,1]
	s_waitcnt lgkmcnt(0)
	s_lshl_b32 s6, s6, 5
	v_pk_fma_f16 v124, v14, v9, v30 op_sel:[0,1,0]
	v_pk_fma_f16 v122, v14, v10, v31 op_sel_hi:[1,0,1]
	v_pk_fma_f16 v120, v14, v10, v32 op_sel:[0,1,0]
	v_pk_fma_f16 v118, v14, v11, v33 op_sel_hi:[1,0,1]
	;; [unrolled: 2-line block ×6, first 2 shown]
	v_pk_fma_f16 v116, v15, v11, v13 op_sel:[0,1,0]
	s_add_i32 s35, s6, s35
	s_delay_alu instid0(SALU_CYCLE_1)
	s_cmp_ge_i32 s35, s40
	s_cbranch_scc1 .LBB0_29
; %bb.28:                               ;   in Loop: Header=BB0_11 Depth=1
	v_dual_mov_b32 v8, v0 :: v_dual_mov_b32 v9, v1
	v_dual_mov_b32 v13, v2 :: v_dual_mov_b32 v10, v3
	;; [unrolled: 1-line block ×8, first 2 shown]
	s_branch .LBB0_11
.LBB0_29:
	v_mov_b32_e32 v10, v131
.LBB0_30:
	v_cmp_lt_i32_e32 vcc_lo, v154, v128
	s_cmp_lg_u64 s[24:25], 0
	s_cselect_b32 s3, -1, 0
	s_cmp_eq_u32 s14, 0
	v_cndmask_b32_e32 v8, v10, v154, vcc_lo
	v_cmp_lt_i32_e32 vcc_lo, v155, v128
	s_cselect_b32 s4, -1, 0
	s_delay_alu instid0(SALU_CYCLE_1) | instskip(SKIP_2) | instid1(VALU_DEP_2)
	s_and_b32 s3, s4, s3
	v_cndmask_b32_e32 v17, v10, v155, vcc_lo
	v_cmp_lt_i32_e32 vcc_lo, v156, v128
	v_lshlrev_b32_e32 v17, 2, v17
	v_lshlrev_b32_e32 v8, 2, v8
	ds_bpermute_b32 v9, v8, v166
	s_waitcnt lgkmcnt(0)
	v_add_f32_e32 v9, v166, v9
	ds_bpermute_b32 v11, v8, v163
	ds_bpermute_b32 v12, v8, v165
	;; [unrolled: 1-line block ×8, first 2 shown]
	s_waitcnt lgkmcnt(6)
	v_dual_add_f32 v11, v163, v11 :: v_dual_add_f32 v12, v165, v12
	s_waitcnt lgkmcnt(4)
	v_dual_add_f32 v13, v161, v13 :: v_dual_add_f32 v14, v164, v14
	s_waitcnt lgkmcnt(2)
	v_dual_add_f32 v15, v160, v15 :: v_dual_add_f32 v16, v162, v16
	s_waitcnt lgkmcnt(1)
	v_add_f32_e32 v8, v159, v8
	ds_bpermute_b32 v19, v17, v11
	ds_bpermute_b32 v20, v17, v12
	;; [unrolled: 1-line block ×7, first 2 shown]
	v_cndmask_b32_e32 v25, v10, v156, vcc_lo
	s_waitcnt lgkmcnt(7)
	v_add_f32_e32 v9, v9, v18
	v_cmp_lt_i32_e32 vcc_lo, v157, v128
	s_waitcnt lgkmcnt(5)
	v_dual_add_f32 v11, v11, v19 :: v_dual_add_f32 v12, v12, v20
	s_waitcnt lgkmcnt(3)
	v_add_f32_e32 v14, v14, v22
	s_waitcnt lgkmcnt(1)
	v_add_f32_e32 v16, v16, v24
	;; [unrolled: 2-line block ×3, first 2 shown]
	v_lshlrev_b32_e32 v25, 2, v25
	ds_bpermute_b32 v19, v25, v12
	v_add_f32_e32 v13, v13, v21
	ds_bpermute_b32 v21, v25, v14
	v_add_f32_e32 v15, v15, v23
	ds_bpermute_b32 v17, v25, v9
	ds_bpermute_b32 v23, v25, v16
	;; [unrolled: 1-line block ×4, first 2 shown]
	s_waitcnt lgkmcnt(5)
	v_add_f32_e32 v12, v12, v19
	ds_bpermute_b32 v20, v25, v13
	s_waitcnt lgkmcnt(5)
	v_add_f32_e32 v14, v14, v21
	ds_bpermute_b32 v22, v25, v15
	s_waitcnt lgkmcnt(4)
	v_dual_cndmask_b32 v25, v10, v157 :: v_dual_add_f32 v16, v16, v23
	v_cmp_lt_i32_e32 vcc_lo, v158, v128
	s_waitcnt lgkmcnt(3)
	v_dual_add_f32 v9, v9, v17 :: v_dual_add_f32 v8, v8, v24
	s_delay_alu instid0(VALU_DEP_3)
	v_dual_cndmask_b32 v10, v10, v158 :: v_dual_lshlrev_b32 v25, 2, v25
	s_and_b32 vcc_lo, exec_lo, s3
	ds_bpermute_b32 v17, v25, v9
	ds_bpermute_b32 v19, v25, v12
	;; [unrolled: 1-line block ×5, first 2 shown]
	s_waitcnt lgkmcnt(7)
	v_add_f32_e32 v11, v11, v18
	s_waitcnt lgkmcnt(6)
	v_dual_add_f32 v13, v13, v20 :: v_dual_lshlrev_b32 v10, 2, v10
	s_waitcnt lgkmcnt(5)
	v_add_f32_e32 v15, v15, v22
	ds_bpermute_b32 v20, v25, v13
	s_waitcnt lgkmcnt(4)
	v_dual_add_f32 v9, v9, v17 :: v_dual_add_f32 v12, v12, v19
	ds_bpermute_b32 v18, v25, v11
	s_waitcnt lgkmcnt(3)
	v_add_f32_e32 v16, v16, v23
	v_add_f32_e32 v14, v14, v21
	ds_bpermute_b32 v22, v25, v15
	s_waitcnt lgkmcnt(3)
	v_add_f32_e32 v17, v8, v24
	ds_bpermute_b32 v8, v10, v9
	ds_bpermute_b32 v19, v10, v12
	;; [unrolled: 1-line block ×5, first 2 shown]
	s_waitcnt lgkmcnt(7)
	v_add_f32_e32 v13, v13, v20
	ds_bpermute_b32 v20, v10, v13
	s_waitcnt lgkmcnt(7)
	v_add_f32_e32 v11, v11, v18
	s_waitcnt lgkmcnt(5)
	v_dual_add_f32 v15, v15, v22 :: v_dual_add_f32 v8, v9, v8
	ds_bpermute_b32 v18, v10, v11
	ds_bpermute_b32 v22, v10, v15
	s_waitcnt lgkmcnt(6)
	v_add_f32_e32 v10, v12, v19
	s_waitcnt lgkmcnt(5)
	v_add_f32_e32 v12, v14, v21
	s_waitcnt lgkmcnt(1)
	v_dual_add_f32 v14, v16, v23 :: v_dual_add_f32 v9, v11, v18
	v_add_f32_e32 v11, v13, v20
	s_waitcnt lgkmcnt(0)
	v_add_f32_e32 v13, v15, v22
	v_add_f32_e32 v15, v17, v24
	s_cbranch_vccz .LBB0_33
; %bb.31:
	s_ashr_i32 s35, s34, 31
	v_dual_mov_b32 v16, 0 :: v_dual_max_f32 v17, v1, v1
	s_lshl_b64 s[4:5], s[34:35], 2
	v_dual_max_f32 v18, v2, v2 :: v_dual_max_f32 v21, v5, v5
	s_add_u32 s4, s24, s4
	s_addc_u32 s5, s25, s5
	s_clause 0x1
	global_load_b128 v[24:27], v16, s[4:5]
	global_load_b128 v[28:31], v16, s[4:5] offset:16
	v_dual_max_f32 v16, v0, v0 :: v_dual_max_f32 v19, v3, v3
	v_dual_max_f32 v20, v4, v4 :: v_dual_max_f32 v23, v7, v7
	s_waitcnt vmcnt(1)
	v_dual_max_f32 v22, v6, v6 :: v_dual_max_f32 v33, v25, v25
	v_dual_max_f32 v32, v24, v24 :: v_dual_max_f32 v35, v27, v27
	s_waitcnt vmcnt(0)
	v_dual_max_f32 v34, v26, v26 :: v_dual_max_f32 v37, v29, v29
	v_dual_max_f32 v36, v28, v28 :: v_dual_max_f32 v39, v31, v31
	;; [unrolled: 1-line block ×4, first 2 shown]
	s_delay_alu instid0(VALU_DEP_4) | instskip(NEXT) | instid1(VALU_DEP_4)
	v_dual_max_f32 v18, v18, v34 :: v_dual_max_f32 v21, v21, v37
	v_dual_max_f32 v20, v20, v36 :: v_dual_max_f32 v23, v23, v39
	s_delay_alu instid0(VALU_DEP_4) | instskip(NEXT) | instid1(VALU_DEP_4)
	v_dual_max_f32 v22, v22, v38 :: v_dual_sub_f32 v33, v1, v17
	v_dual_sub_f32 v32, v0, v16 :: v_dual_sub_f32 v25, v25, v17
	v_dual_sub_f32 v24, v24, v16 :: v_dual_sub_f32 v35, v3, v19
	;; [unrolled: 1-line block ×7, first 2 shown]
	v_dual_mov_b32 v0, v16 :: v_dual_mov_b32 v3, v19
	v_dual_sub_f32 v30, v30, v22 :: v_dual_mov_b32 v1, v17
	v_dual_mov_b32 v2, v18 :: v_dual_mov_b32 v5, v21
	v_dual_mov_b32 v4, v20 :: v_dual_mov_b32 v7, v23
	v_dual_mov_b32 v6, v22 :: v_dual_mul_f32 v17, 0x3fb8aa3b, v24
	v_dual_mul_f32 v16, 0x3fb8aa3b, v32 :: v_dual_mul_f32 v19, 0x3fb8aa3b, v25
	v_dual_mul_f32 v18, 0x3fb8aa3b, v33 :: v_dual_mul_f32 v21, 0x3fb8aa3b, v26
	s_delay_alu instid0(VALU_DEP_3) | instskip(NEXT) | instid1(VALU_DEP_3)
	v_fma_f32 v50, 0x3fb8aa3b, v24, -v17
	v_fma_f32 v48, 0x3fb8aa3b, v32, -v16
	v_rndne_f32_e32 v49, v16
	v_rndne_f32_e32 v51, v17
	;; [unrolled: 1-line block ×3, first 2 shown]
	v_dual_mul_f32 v20, 0x3fb8aa3b, v34 :: v_dual_mul_f32 v23, 0x3fb8aa3b, v27
	s_delay_alu instid0(VALU_DEP_3)
	v_dual_fmac_f32 v48, 0x32a5705f, v32 :: v_dual_sub_f32 v17, v17, v51
	v_sub_f32_e32 v16, v16, v49
	v_dual_mul_f32 v22, 0x3fb8aa3b, v35 :: v_dual_mul_f32 v41, 0x3fb8aa3b, v28
	v_fma_f32 v52, 0x3fb8aa3b, v33, -v18
	v_rndne_f32_e32 v53, v18
	v_fma_f32 v54, 0x3fb8aa3b, v25, -v19
	v_rndne_f32_e32 v59, v21
	v_dual_fmac_f32 v50, 0x32a5705f, v24 :: v_dual_sub_f32 v19, v19, v55
	v_add_f32_e32 v16, v16, v48
	v_dual_mul_f32 v40, 0x3fb8aa3b, v36 :: v_dual_mul_f32 v43, 0x3fb8aa3b, v29
	v_fma_f32 v58, 0x3fb8aa3b, v26, -v21
	v_rndne_f32_e32 v63, v23
	v_rndne_f32_e32 v67, v41
	v_fmac_f32_e32 v52, 0x32a5705f, v33
	v_dual_sub_f32 v18, v18, v53 :: v_dual_sub_f32 v21, v21, v59
	v_dual_mul_f32 v46, 0x3fb8aa3b, v39 :: v_dual_add_f32 v17, v17, v50
	v_exp_f32_e32 v16, v16
	v_dual_mul_f32 v42, 0x3fb8aa3b, v37 :: v_dual_mul_f32 v45, 0x3fb8aa3b, v30
	v_dual_mul_f32 v44, 0x3fb8aa3b, v38 :: v_dual_mul_f32 v47, 0x3fb8aa3b, v31
	v_fma_f32 v56, 0x3fb8aa3b, v34, -v20
	v_rndne_f32_e32 v57, v20
	v_fma_f32 v60, 0x3fb8aa3b, v35, -v22
	v_fma_f32 v62, 0x3fb8aa3b, v27, -v23
	;; [unrolled: 1-line block ×3, first 2 shown]
	v_rndne_f32_e32 v71, v43
	v_cvt_i32_f32_e32 v49, v49
	v_dual_fmac_f32 v54, 0x32a5705f, v25 :: v_dual_sub_f32 v23, v23, v63
	v_dual_sub_f32 v41, v41, v67 :: v_dual_add_f32 v18, v18, v52
	v_exp_f32_e32 v17, v17
	v_fma_f32 v70, 0x3fb8aa3b, v29, -v43
	v_rndne_f32_e32 v75, v45
	v_rndne_f32_e32 v79, v47
	v_cvt_i32_f32_e32 v51, v51
	v_fmac_f32_e32 v56, 0x32a5705f, v34
	v_dual_sub_f32 v20, v20, v57 :: v_dual_sub_f32 v43, v43, v71
	v_dual_fmac_f32 v60, 0x32a5705f, v35 :: v_dual_add_f32 v19, v19, v54
	v_exp_f32_e32 v18, v18
	v_ldexp_f32 v16, v16, v49
	v_cmp_ngt_f32_e32 vcc_lo, 0xc2ce8ed0, v32
	v_rndne_f32_e32 v61, v22
	v_fma_f32 v74, 0x3fb8aa3b, v30, -v45
	v_fma_f32 v78, 0x3fb8aa3b, v31, -v47
	v_cvt_i32_f32_e32 v53, v53
	v_sub_f32_e32 v45, v45, v75
	v_dual_sub_f32 v47, v47, v79 :: v_dual_add_f32 v20, v20, v56
	v_exp_f32_e32 v19, v19
	v_ldexp_f32 v17, v17, v51
	v_cndmask_b32_e32 v16, 0, v16, vcc_lo
	v_cmp_ngt_f32_e32 vcc_lo, 0xc2ce8ed0, v24
	v_fmac_f32_e32 v58, 0x32a5705f, v26
	v_cvt_i32_f32_e32 v55, v55
	v_fmac_f32_e32 v74, 0x32a5705f, v30
	v_exp_f32_e32 v20, v20
	v_ldexp_f32 v18, v18, v53
	v_cndmask_b32_e32 v17, 0, v17, vcc_lo
	v_dual_sub_f32 v22, v22, v61 :: v_dual_add_f32 v21, v21, v58
	v_cmp_ngt_f32_e32 vcc_lo, 0xc2ce8ed0, v33
	v_fma_f32 v64, 0x3fb8aa3b, v36, -v40
	v_rndne_f32_e32 v69, v42
	v_cvt_i32_f32_e32 v57, v57
	v_dual_fmac_f32 v66, 0x32a5705f, v28 :: v_dual_add_f32 v45, v45, v74
	v_fmac_f32_e32 v62, 0x32a5705f, v27
	v_add_f32_e32 v22, v22, v60
	v_exp_f32_e32 v21, v21
	v_ldexp_f32 v19, v19, v55
	v_cndmask_b32_e32 v18, 0, v18, vcc_lo
	v_cmp_ngt_f32_e32 vcc_lo, 0xc2ce8ed0, v25
	v_fma_f32 v68, 0x3fb8aa3b, v37, -v42
	v_cvt_i32_f32_e32 v59, v59
	v_dual_sub_f32 v42, v42, v69 :: v_dual_add_f32 v41, v41, v66
	v_dual_cndmask_b32 v19, 0, v19 :: v_dual_fmac_f32 v64, 0x32a5705f, v36
	v_add_f32_e32 v23, v23, v62
	v_exp_f32_e32 v22, v22
	v_ldexp_f32 v20, v20, v57
	v_cmp_ngt_f32_e32 vcc_lo, 0xc2ce8ed0, v34
	v_fma_f32 v72, 0x3fb8aa3b, v38, -v44
	v_cvt_i32_f32_e32 v61, v61
	v_exp_f32_e32 v23, v23
	v_ldexp_f32 v21, v21, v59
	v_cndmask_b32_e32 v20, 0, v20, vcc_lo
	v_cmp_ngt_f32_e32 vcc_lo, 0xc2ce8ed0, v26
	v_cvt_i32_f32_e32 v63, v63
	v_fmac_f32_e32 v72, 0x32a5705f, v38
	v_ldexp_f32 v22, v22, v61
	v_rndne_f32_e32 v65, v40
	v_cndmask_b32_e32 v21, 0, v21, vcc_lo
	v_cmp_ngt_f32_e32 vcc_lo, 0xc2ce8ed0, v35
	v_ldexp_f32 v23, v23, v63
	v_fmac_f32_e32 v78, 0x32a5705f, v31
	v_fmac_f32_e32 v68, 0x32a5705f, v37
	v_exp_f32_e32 v41, v41
	v_cndmask_b32_e32 v22, 0, v22, vcc_lo
	v_cmp_ngt_f32_e32 vcc_lo, 0xc2ce8ed0, v27
	v_dual_add_f32 v47, v47, v78 :: v_dual_fmac_f32 v70, 0x32a5705f, v29
	v_add_f32_e32 v42, v42, v68
	v_cvt_i32_f32_e32 v67, v67
	v_dual_cndmask_b32 v23, 0, v23 :: v_dual_sub_f32 v40, v40, v65
	s_delay_alu instid0(VALU_DEP_4)
	v_add_f32_e32 v43, v43, v70
	v_cvt_i32_f32_e32 v65, v65
	v_exp_f32_e32 v42, v42
	v_cmp_ngt_f32_e32 vcc_lo, 0xc2ce8ed0, v36
	v_add_f32_e32 v40, v40, v64
	v_cvt_i32_f32_e32 v69, v69
	v_exp_f32_e32 v43, v43
	v_ldexp_f32 v41, v41, v67
	v_rndne_f32_e32 v73, v44
	v_exp_f32_e32 v40, v40
	v_cvt_i32_f32_e32 v71, v71
	v_exp_f32_e32 v45, v45
	v_ldexp_f32 v42, v42, v69
	v_exp_f32_e32 v47, v47
	v_fma_f32 v76, 0x3fb8aa3b, v39, -v46
	v_rndne_f32_e32 v77, v46
	v_ldexp_f32 v43, v43, v71
	v_cvt_i32_f32_e32 v75, v75
	v_cvt_i32_f32_e32 v79, v79
	v_ldexp_f32 v40, v40, v65
	s_delay_alu instid0(TRANS32_DEP_2) | instid1(VALU_DEP_3)
	v_ldexp_f32 v45, v45, v75
	s_delay_alu instid0(TRANS32_DEP_1) | instid1(VALU_DEP_3)
	v_ldexp_f32 v47, v47, v79
	s_delay_alu instid0(VALU_DEP_3)
	v_cndmask_b32_e32 v40, 0, v40, vcc_lo
	v_cmp_ngt_f32_e32 vcc_lo, 0xc2ce8ed0, v28
	v_sub_f32_e32 v46, v46, v77
	v_cvt_i32_f32_e32 v77, v77
	v_cndmask_b32_e32 v41, 0, v41, vcc_lo
	v_cmp_ngt_f32_e32 vcc_lo, 0xc2ce8ed0, v37
	v_cndmask_b32_e32 v42, 0, v42, vcc_lo
	v_cmp_ngt_f32_e32 vcc_lo, 0xc2ce8ed0, v29
	v_sub_f32_e32 v44, v44, v73
	v_cvt_i32_f32_e32 v73, v73
	s_delay_alu instid0(VALU_DEP_2) | instskip(SKIP_1) | instid1(VALU_DEP_2)
	v_dual_cndmask_b32 v43, 0, v43 :: v_dual_add_f32 v44, v44, v72
	v_cmp_ngt_f32_e32 vcc_lo, 0xc2ce8ed0, v38
	v_exp_f32_e32 v44, v44
	s_waitcnt_depctr 0xfff
	v_ldexp_f32 v44, v44, v73
	s_delay_alu instid0(VALU_DEP_1) | instskip(SKIP_2) | instid1(VALU_DEP_1)
	v_cndmask_b32_e32 v44, 0, v44, vcc_lo
	v_cmp_ngt_f32_e32 vcc_lo, 0xc2ce8ed0, v30
	v_dual_fmac_f32 v76, 0x32a5705f, v39 :: v_dual_cndmask_b32 v45, 0, v45
	v_add_f32_e32 v46, v46, v76
	v_cmp_ngt_f32_e32 vcc_lo, 0xc2ce8ed0, v39
	s_delay_alu instid0(VALU_DEP_2) | instskip(SKIP_2) | instid1(VALU_DEP_1)
	v_exp_f32_e32 v46, v46
	s_waitcnt_depctr 0xfff
	v_ldexp_f32 v46, v46, v77
	v_cndmask_b32_e32 v46, 0, v46, vcc_lo
	v_cmp_ngt_f32_e32 vcc_lo, 0xc2ce8ed0, v31
	v_cndmask_b32_e32 v47, 0, v47, vcc_lo
	v_cmp_nlt_f32_e32 vcc_lo, 0x42b17218, v32
	v_cndmask_b32_e32 v32, 0x7f800000, v16, vcc_lo
	v_cmp_nlt_f32_e32 vcc_lo, 0x42b17218, v24
	;; [unrolled: 2-line block ×3, first 2 shown]
	s_delay_alu instid0(VALU_DEP_2)
	v_fmac_f32_e32 v16, v8, v32
	v_cndmask_b32_e32 v24, 0x7f800000, v18, vcc_lo
	v_cmp_nlt_f32_e32 vcc_lo, 0x42b17218, v25
	v_cvt_f16_f32_e32 v8, v32
	v_cndmask_b32_e32 v17, 0x7f800000, v19, vcc_lo
	v_cmp_nlt_f32_e32 vcc_lo, 0x42b17218, v34
	s_delay_alu instid0(VALU_DEP_3) | instskip(SKIP_1) | instid1(VALU_DEP_4)
	v_pk_mul_f16 v132, v8, v132 op_sel_hi:[0,1]
	v_pk_mul_f16 v133, v8, v133 op_sel_hi:[0,1]
	v_dual_mov_b32 v8, v16 :: v_dual_fmac_f32 v17, v9, v24
	v_cndmask_b32_e32 v25, 0x7f800000, v20, vcc_lo
	v_cmp_nlt_f32_e32 vcc_lo, 0x42b17218, v26
	v_cvt_f16_f32_e32 v9, v24
	v_cndmask_b32_e32 v18, 0x7f800000, v21, vcc_lo
	v_cmp_nlt_f32_e32 vcc_lo, 0x42b17218, v35
	s_delay_alu instid0(VALU_DEP_3)
	v_pk_mul_f16 v129, v9, v129 op_sel_hi:[0,1]
	v_pk_mul_f16 v130, v9, v130 op_sel_hi:[0,1]
	v_dual_mov_b32 v9, v17 :: v_dual_cndmask_b32 v26, 0x7f800000, v22
	v_cmp_nlt_f32_e32 vcc_lo, 0x42b17218, v27
	v_cndmask_b32_e32 v19, 0x7f800000, v23, vcc_lo
	v_cmp_nlt_f32_e32 vcc_lo, 0x42b17218, v36
	s_delay_alu instid0(VALU_DEP_2)
	v_fmac_f32_e32 v19, v11, v26
	v_cndmask_b32_e32 v27, 0x7f800000, v40, vcc_lo
	v_cmp_nlt_f32_e32 vcc_lo, 0x42b17218, v28
	v_cvt_f16_f32_e32 v11, v26
	v_cndmask_b32_e32 v20, 0x7f800000, v41, vcc_lo
	v_cmp_nlt_f32_e32 vcc_lo, 0x42b17218, v37
	s_delay_alu instid0(VALU_DEP_3) | instskip(SKIP_1) | instid1(VALU_DEP_4)
	v_pk_mul_f16 v124, v11, v124 op_sel_hi:[0,1]
	v_pk_mul_f16 v125, v11, v125 op_sel_hi:[0,1]
	v_dual_mov_b32 v11, v19 :: v_dual_fmac_f32 v20, v12, v27
	v_fmac_f32_e32 v18, v10, v25
	v_cndmask_b32_e32 v28, 0x7f800000, v42, vcc_lo
	v_cmp_nlt_f32_e32 vcc_lo, 0x42b17218, v29
	v_cvt_f16_f32_e32 v10, v25
	v_cvt_f16_f32_e32 v12, v27
	v_cndmask_b32_e32 v21, 0x7f800000, v43, vcc_lo
	v_cmp_nlt_f32_e32 vcc_lo, 0x42b17218, v38
	s_delay_alu instid0(VALU_DEP_4)
	v_pk_mul_f16 v126, v10, v126 op_sel_hi:[0,1]
	v_pk_mul_f16 v127, v10, v127 op_sel_hi:[0,1]
	;; [unrolled: 1-line block ×3, first 2 shown]
	v_fmac_f32_e32 v21, v13, v28
	v_cndmask_b32_e32 v29, 0x7f800000, v44, vcc_lo
	v_cmp_nlt_f32_e32 vcc_lo, 0x42b17218, v30
	v_cvt_f16_f32_e32 v13, v28
	v_pk_mul_f16 v123, v12, v123 op_sel_hi:[0,1]
	v_mov_b32_e32 v10, v18
	v_mov_b32_e32 v12, v20
	v_cndmask_b32_e32 v22, 0x7f800000, v45, vcc_lo
	v_cmp_nlt_f32_e32 vcc_lo, 0x42b17218, v39
	v_pk_mul_f16 v120, v13, v120 op_sel_hi:[0,1]
	v_pk_mul_f16 v121, v13, v121 op_sel_hi:[0,1]
	s_delay_alu instid0(VALU_DEP_4) | instskip(SKIP_4) | instid1(VALU_DEP_2)
	v_dual_mov_b32 v13, v21 :: v_dual_fmac_f32 v22, v14, v29
	v_cndmask_b32_e32 v30, 0x7f800000, v46, vcc_lo
	v_cmp_nlt_f32_e32 vcc_lo, 0x42b17218, v31
	v_cvt_f16_f32_e32 v14, v29
	v_cndmask_b32_e32 v23, 0x7f800000, v47, vcc_lo
	v_pk_mul_f16 v118, v14, v118 op_sel_hi:[0,1]
	v_pk_mul_f16 v119, v14, v119 op_sel_hi:[0,1]
	s_delay_alu instid0(VALU_DEP_3) | instskip(SKIP_1) | instid1(VALU_DEP_1)
	v_dual_mov_b32 v14, v22 :: v_dual_fmac_f32 v23, v15, v30
	v_cvt_f16_f32_e32 v15, v30
	v_pk_mul_f16 v117, v15, v117 op_sel_hi:[0,1]
	v_pk_mul_f16 v116, v15, v116 op_sel_hi:[0,1]
	s_delay_alu instid0(VALU_DEP_4)
	v_mov_b32_e32 v15, v23
	s_mov_b32 s3, exec_lo
	v_cmpx_gt_i32_e64 s38, v106
	s_cbranch_execnz .LBB0_34
.LBB0_32:
	s_nop 0
	s_sendmsg sendmsg(MSG_DEALLOC_VGPRS)
	s_endpgm
.LBB0_33:
	s_delay_alu instid0(VALU_DEP_1) | instskip(NEXT) | instid1(VALU_DEP_3)
	v_dual_mov_b32 v23, v15 :: v_dual_mov_b32 v22, v14
	v_dual_mov_b32 v21, v13 :: v_dual_mov_b32 v20, v12
	;; [unrolled: 1-line block ×4, first 2 shown]
	s_mov_b32 s3, exec_lo
	v_cmpx_gt_i32_e64 s38, v106
	s_cbranch_execz .LBB0_32
.LBB0_34:
	s_load_b32 s0, s[0:1], 0xd4
	v_mov_b32_e32 v25, 1.0
	s_waitcnt lgkmcnt(0)
	s_cmp_lg_u32 s0, 1
	s_cselect_b32 s1, -1, 0
	s_cmp_eq_u32 s0, 1
	s_cselect_b32 s3, -1, 0
	s_and_b32 vcc_lo, exec_lo, s1
	s_cbranch_vccnz .LBB0_36
; %bb.35:
	v_div_scale_f32 v24, null, v8, v8, 1.0
	s_delay_alu instid0(VALU_DEP_1) | instskip(SKIP_2) | instid1(VALU_DEP_1)
	v_rcp_f32_e32 v25, v24
	s_waitcnt_depctr 0xfff
	v_fma_f32 v26, -v24, v25, 1.0
	v_fmac_f32_e32 v25, v26, v25
	v_div_scale_f32 v26, vcc_lo, 1.0, v8, 1.0
	s_delay_alu instid0(VALU_DEP_1) | instskip(NEXT) | instid1(VALU_DEP_1)
	v_mul_f32_e32 v27, v26, v25
	v_fma_f32 v28, -v24, v27, v26
	s_delay_alu instid0(VALU_DEP_1) | instskip(NEXT) | instid1(VALU_DEP_1)
	v_fmac_f32_e32 v27, v28, v25
	v_fma_f32 v24, -v24, v27, v26
	s_delay_alu instid0(VALU_DEP_1) | instskip(NEXT) | instid1(VALU_DEP_1)
	v_div_fmas_f32 v24, v24, v25, v27
	v_div_fixup_f32 v25, v24, v8, 1.0
.LBB0_36:
	v_mad_u64_u32 v[26:27], null, s33, s38, v[106:107]
	s_delay_alu instid0(VALU_DEP_1) | instskip(NEXT) | instid1(VALU_DEP_1)
	v_mad_u64_u32 v[27:28], null, v26, s39, s[34:35]
	v_mul_lo_u32 v8, s0, v27
	s_delay_alu instid0(VALU_DEP_1)
	v_add_nc_u32_e32 v24, s14, v8
	s_and_saveexec_b32 s4, s2
	s_cbranch_execz .LBB0_38
; %bb.37:
	v_lshrrev_b32_e32 v28, 16, v133
	s_delay_alu instid0(VALU_DEP_2) | instskip(SKIP_2) | instid1(VALU_DEP_4)
	v_mad_u64_u32 v[26:27], null, 0x50, v24, v[104:105]
	v_lshrrev_b32_e32 v29, 16, v132
	v_cvt_f32_f16_e64 v31, v133
	v_cvt_f32_f16_e32 v28, v28
	v_mov_b32_e32 v27, 0
	v_cvt_f32_f16_e64 v33, v132
	v_cvt_f32_f16_e32 v32, v29
	s_delay_alu instid0(VALU_DEP_4) | instskip(NEXT) | instid1(VALU_DEP_4)
	v_mul_f32_e32 v28, v25, v28
	v_lshlrev_b64 v[29:30], 2, v[26:27]
	v_mul_f32_e32 v27, v25, v31
	s_delay_alu instid0(VALU_DEP_4) | instskip(SKIP_1) | instid1(VALU_DEP_4)
	v_mul_f32_e32 v26, v25, v32
	v_mul_f32_e32 v25, v25, v33
	v_add_co_u32 v29, vcc_lo, s28, v29
	v_add_co_ci_u32_e32 v30, vcc_lo, s29, v30, vcc_lo
	global_store_b128 v[29:30], v[25:28], off
.LBB0_38:
	s_or_b32 exec_lo, exec_lo, s4
	v_cmp_eq_u32_e32 vcc_lo, 0, v105
	s_and_b32 s1, vcc_lo, s1
	s_delay_alu instid0(SALU_CYCLE_1)
	s_and_saveexec_b32 s4, s1
	s_cbranch_execz .LBB0_40
; %bb.39:
	v_ashrrev_i32_e32 v25, 31, v24
	v_mov_b32_e32 v26, v0
	v_mov_b32_e32 v27, v16
	s_delay_alu instid0(VALU_DEP_3) | instskip(NEXT) | instid1(VALU_DEP_1)
	v_lshlrev_b64 v[24:25], 3, v[24:25]
	v_add_co_u32 v24, vcc_lo, s30, v24
	s_delay_alu instid0(VALU_DEP_2)
	v_add_co_ci_u32_e32 v25, vcc_lo, s31, v25, vcc_lo
	global_store_b64 v[24:25], v[26:27], off
.LBB0_40:
	s_or_b32 exec_lo, exec_lo, s4
	v_cndmask_b32_e64 v24, 0, 1, s3
	v_mov_b32_e32 v16, 1.0
	s_and_not1_b32 vcc_lo, exec_lo, s3
	s_cbranch_vccz .LBB0_67
; %bb.41:
	v_add_nc_u32_e32 v0, s0, v8
	s_delay_alu instid0(VALU_DEP_1)
	v_add_nc_u32_e32 v8, s14, v0
	s_and_saveexec_b32 s3, s2
	s_cbranch_execnz .LBB0_68
.LBB0_42:
	s_or_b32 exec_lo, exec_lo, s3
	s_and_saveexec_b32 s3, s1
	s_cbranch_execz .LBB0_44
.LBB0_43:
	v_ashrrev_i32_e32 v9, 31, v8
	v_mov_b32_e32 v16, v1
	s_delay_alu instid0(VALU_DEP_2) | instskip(NEXT) | instid1(VALU_DEP_1)
	v_lshlrev_b64 v[8:9], 3, v[8:9]
	v_add_co_u32 v8, vcc_lo, s30, v8
	s_delay_alu instid0(VALU_DEP_2)
	v_add_co_ci_u32_e32 v9, vcc_lo, s31, v9, vcc_lo
	global_store_b64 v[8:9], v[16:17], off
.LBB0_44:
	s_or_b32 exec_lo, exec_lo, s3
	v_cmp_ne_u32_e32 vcc_lo, 1, v24
	v_mov_b32_e32 v1, 1.0
	s_cbranch_vccz .LBB0_69
; %bb.45:
	v_add_nc_u32_e32 v8, s0, v0
	s_delay_alu instid0(VALU_DEP_1)
	v_add_nc_u32_e32 v0, s14, v8
	s_and_saveexec_b32 s3, s2
	s_cbranch_execnz .LBB0_70
.LBB0_46:
	s_or_b32 exec_lo, exec_lo, s3
	s_and_saveexec_b32 s3, s1
	s_cbranch_execz .LBB0_48
.LBB0_47:
	v_ashrrev_i32_e32 v1, 31, v0
	v_mov_b32_e32 v17, v2
	s_delay_alu instid0(VALU_DEP_2) | instskip(NEXT) | instid1(VALU_DEP_1)
	v_lshlrev_b64 v[0:1], 3, v[0:1]
	v_add_co_u32 v0, vcc_lo, s30, v0
	s_delay_alu instid0(VALU_DEP_2)
	v_add_co_ci_u32_e32 v1, vcc_lo, s31, v1, vcc_lo
	global_store_b64 v[0:1], v[17:18], off
.LBB0_48:
	s_or_b32 exec_lo, exec_lo, s3
	v_cmp_ne_u32_e32 vcc_lo, 1, v24
	v_mov_b32_e32 v1, 1.0
	s_cbranch_vccz .LBB0_71
; %bb.49:
	v_add_nc_u32_e32 v2, s0, v8
	s_delay_alu instid0(VALU_DEP_1)
	v_add_nc_u32_e32 v0, s14, v2
	s_and_saveexec_b32 s3, s2
	s_cbranch_execnz .LBB0_72
.LBB0_50:
	s_or_b32 exec_lo, exec_lo, s3
	s_and_saveexec_b32 s3, s1
	s_cbranch_execz .LBB0_52
.LBB0_51:
	v_ashrrev_i32_e32 v1, 31, v0
	v_mov_b32_e32 v18, v3
	s_delay_alu instid0(VALU_DEP_2) | instskip(NEXT) | instid1(VALU_DEP_1)
	v_lshlrev_b64 v[0:1], 3, v[0:1]
	v_add_co_u32 v0, vcc_lo, s30, v0
	s_delay_alu instid0(VALU_DEP_2)
	v_add_co_ci_u32_e32 v1, vcc_lo, s31, v1, vcc_lo
	global_store_b64 v[0:1], v[18:19], off
.LBB0_52:
	s_or_b32 exec_lo, exec_lo, s3
	v_cmp_ne_u32_e32 vcc_lo, 1, v24
	v_mov_b32_e32 v1, 1.0
	s_cbranch_vccz .LBB0_73
; %bb.53:
	v_add_nc_u32_e32 v2, s0, v2
	s_delay_alu instid0(VALU_DEP_1)
	v_add_nc_u32_e32 v0, s14, v2
	s_and_saveexec_b32 s3, s2
	s_cbranch_execnz .LBB0_74
.LBB0_54:
	s_or_b32 exec_lo, exec_lo, s3
	s_and_saveexec_b32 s3, s1
	s_cbranch_execz .LBB0_56
.LBB0_55:
	v_ashrrev_i32_e32 v1, 31, v0
	v_mov_b32_e32 v19, v4
	s_delay_alu instid0(VALU_DEP_2) | instskip(NEXT) | instid1(VALU_DEP_1)
	v_lshlrev_b64 v[0:1], 3, v[0:1]
	v_add_co_u32 v0, vcc_lo, s30, v0
	s_delay_alu instid0(VALU_DEP_2)
	v_add_co_ci_u32_e32 v1, vcc_lo, s31, v1, vcc_lo
	global_store_b64 v[0:1], v[19:20], off
.LBB0_56:
	s_or_b32 exec_lo, exec_lo, s3
	v_cmp_ne_u32_e32 vcc_lo, 1, v24
	v_mov_b32_e32 v1, 1.0
	s_cbranch_vccz .LBB0_75
; %bb.57:
	v_add_nc_u32_e32 v2, s0, v2
	s_delay_alu instid0(VALU_DEP_1)
	v_add_nc_u32_e32 v0, s14, v2
	s_and_saveexec_b32 s3, s2
	s_cbranch_execnz .LBB0_76
.LBB0_58:
	s_or_b32 exec_lo, exec_lo, s3
	s_and_saveexec_b32 s3, s1
	s_cbranch_execz .LBB0_60
.LBB0_59:
	v_ashrrev_i32_e32 v1, 31, v0
	v_mov_b32_e32 v20, v5
	s_delay_alu instid0(VALU_DEP_2) | instskip(NEXT) | instid1(VALU_DEP_1)
	v_lshlrev_b64 v[0:1], 3, v[0:1]
	v_add_co_u32 v0, vcc_lo, s30, v0
	s_delay_alu instid0(VALU_DEP_2)
	v_add_co_ci_u32_e32 v1, vcc_lo, s31, v1, vcc_lo
	global_store_b64 v[0:1], v[20:21], off
.LBB0_60:
	s_or_b32 exec_lo, exec_lo, s3
	v_cmp_ne_u32_e32 vcc_lo, 1, v24
	v_mov_b32_e32 v1, 1.0
	s_cbranch_vccz .LBB0_77
; %bb.61:
	v_add_nc_u32_e32 v2, s0, v2
	s_delay_alu instid0(VALU_DEP_1)
	v_add_nc_u32_e32 v0, s14, v2
	s_and_saveexec_b32 s3, s2
	s_cbranch_execnz .LBB0_78
.LBB0_62:
	s_or_b32 exec_lo, exec_lo, s3
	s_and_saveexec_b32 s3, s1
	s_cbranch_execz .LBB0_64
.LBB0_63:
	v_ashrrev_i32_e32 v1, 31, v0
	v_mov_b32_e32 v21, v6
	s_delay_alu instid0(VALU_DEP_2) | instskip(NEXT) | instid1(VALU_DEP_1)
	v_lshlrev_b64 v[0:1], 3, v[0:1]
	v_add_co_u32 v0, vcc_lo, s30, v0
	s_delay_alu instid0(VALU_DEP_2)
	v_add_co_ci_u32_e32 v1, vcc_lo, s31, v1, vcc_lo
	global_store_b64 v[0:1], v[21:22], off
.LBB0_64:
	s_or_b32 exec_lo, exec_lo, s3
	v_cmp_ne_u32_e32 vcc_lo, 1, v24
	v_mov_b32_e32 v1, 1.0
	s_cbranch_vccz .LBB0_79
; %bb.65:
	v_add3_u32 v0, s14, s0, v2
	s_and_saveexec_b32 s0, s2
	s_cbranch_execnz .LBB0_80
.LBB0_66:
	s_or_b32 exec_lo, exec_lo, s0
	s_delay_alu instid0(SALU_CYCLE_1)
	s_and_b32 exec_lo, exec_lo, s1
	s_cbranch_execz .LBB0_32
	s_branch .LBB0_81
.LBB0_67:
	v_div_scale_f32 v0, null, v9, v9, 1.0
	s_delay_alu instid0(VALU_DEP_1) | instskip(SKIP_2) | instid1(VALU_DEP_1)
	v_rcp_f32_e32 v16, v0
	s_waitcnt_depctr 0xfff
	v_fma_f32 v25, -v0, v16, 1.0
	v_fmac_f32_e32 v16, v25, v16
	v_div_scale_f32 v25, vcc_lo, 1.0, v9, 1.0
	s_delay_alu instid0(VALU_DEP_1) | instskip(NEXT) | instid1(VALU_DEP_1)
	v_mul_f32_e32 v26, v25, v16
	v_fma_f32 v27, -v0, v26, v25
	s_delay_alu instid0(VALU_DEP_1) | instskip(NEXT) | instid1(VALU_DEP_1)
	v_fmac_f32_e32 v26, v27, v16
	v_fma_f32 v0, -v0, v26, v25
	s_delay_alu instid0(VALU_DEP_1) | instskip(NEXT) | instid1(VALU_DEP_1)
	v_div_fmas_f32 v0, v0, v16, v26
	v_div_fixup_f32 v16, v0, v9, 1.0
	v_add_nc_u32_e32 v0, s0, v8
	s_delay_alu instid0(VALU_DEP_1)
	v_add_nc_u32_e32 v8, s14, v0
	s_and_saveexec_b32 s3, s2
	s_cbranch_execz .LBB0_42
.LBB0_68:
	s_delay_alu instid0(VALU_DEP_1)
	v_mad_u64_u32 v[25:26], null, 0x50, v8, v[104:105]
	v_lshrrev_b32_e32 v27, 16, v129
	v_cvt_f32_f16_e64 v31, v130
	v_mov_b32_e32 v26, 0
	v_lshrrev_b32_e32 v9, 16, v130
	v_cvt_f32_f16_e64 v33, v129
	v_cvt_f32_f16_e32 v32, v27
	v_mul_f32_e32 v27, v16, v31
	v_lshlrev_b64 v[29:30], 2, v[25:26]
	v_cvt_f32_f16_e32 v9, v9
	v_mul_f32_e32 v25, v16, v33
	v_mul_f32_e32 v26, v16, v32
	s_delay_alu instid0(VALU_DEP_3)
	v_mul_f32_e32 v28, v16, v9
	v_add_co_u32 v29, vcc_lo, s28, v29
	v_add_co_ci_u32_e32 v30, vcc_lo, s29, v30, vcc_lo
	global_store_b128 v[29:30], v[25:28], off
	s_or_b32 exec_lo, exec_lo, s3
	s_and_saveexec_b32 s3, s1
	s_cbranch_execnz .LBB0_43
	s_branch .LBB0_44
.LBB0_69:
	v_div_scale_f32 v1, null, v10, v10, 1.0
	s_delay_alu instid0(VALU_DEP_1) | instskip(SKIP_2) | instid1(VALU_DEP_1)
	v_rcp_f32_e32 v8, v1
	s_waitcnt_depctr 0xfff
	v_fma_f32 v9, -v1, v8, 1.0
	v_fmac_f32_e32 v8, v9, v8
	v_div_scale_f32 v9, vcc_lo, 1.0, v10, 1.0
	s_delay_alu instid0(VALU_DEP_1) | instskip(NEXT) | instid1(VALU_DEP_1)
	v_mul_f32_e32 v16, v9, v8
	v_fma_f32 v17, -v1, v16, v9
	s_delay_alu instid0(VALU_DEP_1) | instskip(NEXT) | instid1(VALU_DEP_1)
	v_fmac_f32_e32 v16, v17, v8
	v_fma_f32 v1, -v1, v16, v9
	s_delay_alu instid0(VALU_DEP_1) | instskip(NEXT) | instid1(VALU_DEP_1)
	v_div_fmas_f32 v1, v1, v8, v16
	v_div_fixup_f32 v1, v1, v10, 1.0
	v_add_nc_u32_e32 v8, s0, v0
	s_delay_alu instid0(VALU_DEP_1)
	v_add_nc_u32_e32 v0, s14, v8
	s_and_saveexec_b32 s3, s2
	s_cbranch_execz .LBB0_46
.LBB0_70:
	s_delay_alu instid0(VALU_DEP_1)
	v_mad_u64_u32 v[9:10], null, 0x50, v0, v[104:105]
	v_cvt_f32_f16_e32 v25, v127
	v_mov_b32_e32 v10, 0
	v_lshrrev_b32_e32 v16, 16, v127
	v_lshrrev_b32_e32 v17, 16, v126
	v_cvt_f32_f16_e32 v29, v126
	v_mul_f32_e32 v27, v1, v25
	v_lshlrev_b64 v[9:10], 2, v[9:10]
	v_cvt_f32_f16_e32 v16, v16
	v_cvt_f32_f16_e32 v17, v17
	v_mul_f32_e32 v25, v1, v29
	s_delay_alu instid0(VALU_DEP_3) | instskip(SKIP_1) | instid1(VALU_DEP_4)
	v_mul_f32_e32 v28, v1, v16
	v_add_co_u32 v9, vcc_lo, s28, v9
	v_mul_f32_e32 v26, v1, v17
	v_add_co_ci_u32_e32 v10, vcc_lo, s29, v10, vcc_lo
	global_store_b128 v[9:10], v[25:28], off
	s_or_b32 exec_lo, exec_lo, s3
	s_and_saveexec_b32 s3, s1
	s_cbranch_execnz .LBB0_47
	s_branch .LBB0_48
.LBB0_71:
	v_div_scale_f32 v0, null, v11, v11, 1.0
	s_delay_alu instid0(VALU_DEP_1) | instskip(SKIP_2) | instid1(VALU_DEP_1)
	v_rcp_f32_e32 v1, v0
	s_waitcnt_depctr 0xfff
	v_fma_f32 v2, -v0, v1, 1.0
	v_fmac_f32_e32 v1, v2, v1
	v_div_scale_f32 v2, vcc_lo, 1.0, v11, 1.0
	s_delay_alu instid0(VALU_DEP_1) | instskip(NEXT) | instid1(VALU_DEP_1)
	v_mul_f32_e32 v9, v2, v1
	v_fma_f32 v10, -v0, v9, v2
	s_delay_alu instid0(VALU_DEP_1) | instskip(NEXT) | instid1(VALU_DEP_1)
	v_fmac_f32_e32 v9, v10, v1
	v_fma_f32 v0, -v0, v9, v2
	s_delay_alu instid0(VALU_DEP_1) | instskip(NEXT) | instid1(VALU_DEP_1)
	v_div_fmas_f32 v0, v0, v1, v9
	v_div_fixup_f32 v1, v0, v11, 1.0
	v_add_nc_u32_e32 v2, s0, v8
	s_delay_alu instid0(VALU_DEP_1)
	v_add_nc_u32_e32 v0, s14, v2
	s_and_saveexec_b32 s3, s2
	s_cbranch_execz .LBB0_50
.LBB0_72:
	v_lshrrev_b32_e32 v10, 16, v125
	s_delay_alu instid0(VALU_DEP_2)
	v_mad_u64_u32 v[8:9], null, 0x50, v0, v[104:105]
	v_lshrrev_b32_e32 v11, 16, v124
	v_cvt_f32_f16_e32 v18, v125
	v_mov_b32_e32 v9, 0
	v_cvt_f32_f16_e32 v10, v10
	v_cvt_f32_f16_e32 v26, v124
	;; [unrolled: 1-line block ×3, first 2 shown]
	s_delay_alu instid0(VALU_DEP_3) | instskip(SKIP_2) | instid1(VALU_DEP_4)
	v_mul_f32_e32 v11, v1, v10
	v_mul_f32_e32 v10, v1, v18
	v_lshlrev_b64 v[16:17], 2, v[8:9]
	v_mul_f32_e32 v9, v1, v25
	v_mul_f32_e32 v8, v1, v26
	s_delay_alu instid0(VALU_DEP_3) | instskip(NEXT) | instid1(VALU_DEP_4)
	v_add_co_u32 v16, vcc_lo, s28, v16
	v_add_co_ci_u32_e32 v17, vcc_lo, s29, v17, vcc_lo
	global_store_b128 v[16:17], v[8:11], off
	s_or_b32 exec_lo, exec_lo, s3
	s_and_saveexec_b32 s3, s1
	s_cbranch_execnz .LBB0_51
	s_branch .LBB0_52
.LBB0_73:
	v_div_scale_f32 v0, null, v12, v12, 1.0
	s_delay_alu instid0(VALU_DEP_1) | instskip(SKIP_2) | instid1(VALU_DEP_1)
	v_rcp_f32_e32 v1, v0
	s_waitcnt_depctr 0xfff
	v_fma_f32 v3, -v0, v1, 1.0
	v_fmac_f32_e32 v1, v3, v1
	v_div_scale_f32 v3, vcc_lo, 1.0, v12, 1.0
	s_delay_alu instid0(VALU_DEP_1) | instskip(NEXT) | instid1(VALU_DEP_1)
	v_mul_f32_e32 v8, v3, v1
	v_fma_f32 v9, -v0, v8, v3
	s_delay_alu instid0(VALU_DEP_1) | instskip(NEXT) | instid1(VALU_DEP_1)
	v_fmac_f32_e32 v8, v9, v1
	v_fma_f32 v0, -v0, v8, v3
	s_delay_alu instid0(VALU_DEP_1) | instskip(NEXT) | instid1(VALU_DEP_1)
	v_div_fmas_f32 v0, v0, v1, v8
	v_div_fixup_f32 v1, v0, v12, 1.0
	v_add_nc_u32_e32 v2, s0, v2
	s_delay_alu instid0(VALU_DEP_1)
	v_add_nc_u32_e32 v0, s14, v2
	s_and_saveexec_b32 s3, s2
	s_cbranch_execz .LBB0_54
.LBB0_74:
	s_delay_alu instid0(VALU_DEP_1)
	v_mad_u64_u32 v[8:9], null, 0x50, v0, v[104:105]
	v_lshrrev_b32_e32 v10, 16, v122
	v_cvt_f32_f16_e32 v12, v123
	v_mov_b32_e32 v9, 0
	v_lshrrev_b32_e32 v3, 16, v123
	v_cvt_f32_f16_e32 v19, v122
	v_cvt_f32_f16_e32 v18, v10
	v_mul_f32_e32 v10, v1, v12
	v_lshlrev_b64 v[16:17], 2, v[8:9]
	v_cvt_f32_f16_e32 v3, v3
	v_mul_f32_e32 v8, v1, v19
	v_mul_f32_e32 v9, v1, v18
	s_delay_alu instid0(VALU_DEP_3)
	v_mul_f32_e32 v11, v1, v3
	v_add_co_u32 v16, vcc_lo, s28, v16
	v_add_co_ci_u32_e32 v17, vcc_lo, s29, v17, vcc_lo
	global_store_b128 v[16:17], v[8:11], off
	s_or_b32 exec_lo, exec_lo, s3
	s_and_saveexec_b32 s3, s1
	s_cbranch_execnz .LBB0_55
	s_branch .LBB0_56
.LBB0_75:
	v_div_scale_f32 v0, null, v13, v13, 1.0
	s_delay_alu instid0(VALU_DEP_1) | instskip(SKIP_2) | instid1(VALU_DEP_1)
	v_rcp_f32_e32 v1, v0
	s_waitcnt_depctr 0xfff
	v_fma_f32 v3, -v0, v1, 1.0
	v_fmac_f32_e32 v1, v3, v1
	v_div_scale_f32 v3, vcc_lo, 1.0, v13, 1.0
	s_delay_alu instid0(VALU_DEP_1) | instskip(NEXT) | instid1(VALU_DEP_1)
	v_mul_f32_e32 v4, v3, v1
	v_fma_f32 v8, -v0, v4, v3
	s_delay_alu instid0(VALU_DEP_1) | instskip(NEXT) | instid1(VALU_DEP_1)
	v_fmac_f32_e32 v4, v8, v1
	v_fma_f32 v0, -v0, v4, v3
	s_delay_alu instid0(VALU_DEP_1) | instskip(NEXT) | instid1(VALU_DEP_1)
	v_div_fmas_f32 v0, v0, v1, v4
	v_div_fixup_f32 v1, v0, v13, 1.0
	v_add_nc_u32_e32 v2, s0, v2
	s_delay_alu instid0(VALU_DEP_1)
	v_add_nc_u32_e32 v0, s14, v2
	s_and_saveexec_b32 s3, s2
	s_cbranch_execz .LBB0_58
.LBB0_76:
	v_lshrrev_b32_e32 v8, 16, v121
	s_delay_alu instid0(VALU_DEP_2) | instskip(SKIP_2) | instid1(VALU_DEP_4)
	v_mad_u64_u32 v[3:4], null, 0x50, v0, v[104:105]
	v_lshrrev_b32_e32 v9, 16, v120
	v_cvt_f32_f16_e32 v10, v121
	v_cvt_f32_f16_e32 v8, v8
	v_mov_b32_e32 v4, 0
	v_cvt_f32_f16_e32 v12, v120
	v_cvt_f32_f16_e32 v9, v9
	v_mul_f32_e32 v10, v1, v10
	v_mul_f32_e32 v11, v1, v8
	v_lshlrev_b64 v[3:4], 2, v[3:4]
	v_mul_f32_e32 v8, v1, v12
	v_mul_f32_e32 v9, v1, v9
	s_delay_alu instid0(VALU_DEP_3) | instskip(NEXT) | instid1(VALU_DEP_4)
	v_add_co_u32 v3, vcc_lo, s28, v3
	v_add_co_ci_u32_e32 v4, vcc_lo, s29, v4, vcc_lo
	global_store_b128 v[3:4], v[8:11], off
	s_or_b32 exec_lo, exec_lo, s3
	s_and_saveexec_b32 s3, s1
	s_cbranch_execnz .LBB0_59
	s_branch .LBB0_60
.LBB0_77:
	v_div_scale_f32 v0, null, v14, v14, 1.0
	s_delay_alu instid0(VALU_DEP_1) | instskip(SKIP_2) | instid1(VALU_DEP_1)
	v_rcp_f32_e32 v1, v0
	s_waitcnt_depctr 0xfff
	v_fma_f32 v3, -v0, v1, 1.0
	v_fmac_f32_e32 v1, v3, v1
	v_div_scale_f32 v3, vcc_lo, 1.0, v14, 1.0
	s_delay_alu instid0(VALU_DEP_1) | instskip(NEXT) | instid1(VALU_DEP_1)
	v_mul_f32_e32 v4, v3, v1
	v_fma_f32 v5, -v0, v4, v3
	s_delay_alu instid0(VALU_DEP_1) | instskip(NEXT) | instid1(VALU_DEP_1)
	v_fmac_f32_e32 v4, v5, v1
	v_fma_f32 v0, -v0, v4, v3
	s_delay_alu instid0(VALU_DEP_1) | instskip(NEXT) | instid1(VALU_DEP_1)
	v_div_fmas_f32 v0, v0, v1, v4
	v_div_fixup_f32 v1, v0, v14, 1.0
	v_add_nc_u32_e32 v2, s0, v2
	s_delay_alu instid0(VALU_DEP_1)
	v_add_nc_u32_e32 v0, s14, v2
	s_and_saveexec_b32 s3, s2
	s_cbranch_execz .LBB0_62
.LBB0_78:
	v_lshrrev_b32_e32 v5, 16, v119
	s_delay_alu instid0(VALU_DEP_2) | instskip(SKIP_2) | instid1(VALU_DEP_4)
	v_mad_u64_u32 v[3:4], null, 0x50, v0, v[104:105]
	v_lshrrev_b32_e32 v8, 16, v118
	v_cvt_f32_f16_e32 v9, v119
	v_cvt_f32_f16_e32 v5, v5
	v_mov_b32_e32 v4, 0
	v_cvt_f32_f16_e32 v12, v118
	v_cvt_f32_f16_e32 v8, v8
	v_mul_f32_e32 v10, v1, v9
	v_mul_f32_e32 v11, v1, v5
	v_lshlrev_b64 v[3:4], 2, v[3:4]
	s_delay_alu instid0(VALU_DEP_4) | instskip(SKIP_1) | instid1(VALU_DEP_3)
	v_mul_f32_e32 v9, v1, v8
	v_mul_f32_e32 v8, v1, v12
	v_add_co_u32 v3, vcc_lo, s28, v3
	s_delay_alu instid0(VALU_DEP_4)
	v_add_co_ci_u32_e32 v4, vcc_lo, s29, v4, vcc_lo
	global_store_b128 v[3:4], v[8:11], off
	s_or_b32 exec_lo, exec_lo, s3
	s_and_saveexec_b32 s3, s1
	s_cbranch_execnz .LBB0_63
	s_branch .LBB0_64
.LBB0_79:
	v_div_scale_f32 v0, null, v15, v15, 1.0
	s_delay_alu instid0(VALU_DEP_1) | instskip(SKIP_2) | instid1(VALU_DEP_1)
	v_rcp_f32_e32 v1, v0
	s_waitcnt_depctr 0xfff
	v_fma_f32 v3, -v0, v1, 1.0
	v_fmac_f32_e32 v1, v3, v1
	v_div_scale_f32 v3, vcc_lo, 1.0, v15, 1.0
	s_delay_alu instid0(VALU_DEP_1) | instskip(NEXT) | instid1(VALU_DEP_1)
	v_mul_f32_e32 v4, v3, v1
	v_fma_f32 v5, -v0, v4, v3
	s_delay_alu instid0(VALU_DEP_1) | instskip(NEXT) | instid1(VALU_DEP_1)
	v_fmac_f32_e32 v4, v5, v1
	v_fma_f32 v0, -v0, v4, v3
	s_delay_alu instid0(VALU_DEP_1) | instskip(NEXT) | instid1(VALU_DEP_1)
	v_div_fmas_f32 v0, v0, v1, v4
	v_div_fixup_f32 v1, v0, v15, 1.0
	v_add3_u32 v0, s14, s0, v2
	s_and_saveexec_b32 s0, s2
	s_cbranch_execz .LBB0_66
.LBB0_80:
	v_lshrrev_b32_e32 v4, 16, v116
	s_delay_alu instid0(VALU_DEP_2) | instskip(SKIP_2) | instid1(VALU_DEP_4)
	v_mad_u64_u32 v[2:3], null, 0x50, v0, v[104:105]
	v_lshrrev_b32_e32 v5, 16, v117
	v_cvt_f32_f16_e32 v8, v116
	v_cvt_f32_f16_e32 v4, v4
	v_mov_b32_e32 v3, 0
	v_cvt_f32_f16_e32 v10, v117
	v_cvt_f32_f16_e32 v9, v5
	s_delay_alu instid0(VALU_DEP_4) | instskip(NEXT) | instid1(VALU_DEP_4)
	v_mul_f32_e32 v4, v1, v4
	v_lshlrev_b64 v[5:6], 2, v[2:3]
	v_mul_f32_e32 v3, v1, v8
	s_delay_alu instid0(VALU_DEP_4) | instskip(SKIP_1) | instid1(VALU_DEP_4)
	v_mul_f32_e32 v2, v1, v9
	v_mul_f32_e32 v1, v1, v10
	v_add_co_u32 v5, vcc_lo, s28, v5
	v_add_co_ci_u32_e32 v6, vcc_lo, s29, v6, vcc_lo
	global_store_b128 v[5:6], v[1:4], off
	s_or_b32 exec_lo, exec_lo, s0
	s_delay_alu instid0(SALU_CYCLE_1)
	s_and_b32 exec_lo, exec_lo, s1
	s_cbranch_execz .LBB0_32
.LBB0_81:
	v_ashrrev_i32_e32 v1, 31, v0
	v_mov_b32_e32 v22, v7
	s_delay_alu instid0(VALU_DEP_2) | instskip(NEXT) | instid1(VALU_DEP_1)
	v_lshlrev_b64 v[0:1], 3, v[0:1]
	v_add_co_u32 v0, vcc_lo, s30, v0
	s_delay_alu instid0(VALU_DEP_2)
	v_add_co_ci_u32_e32 v1, vcc_lo, s31, v1, vcc_lo
	global_store_b64 v[0:1], v[22:23], off
	s_nop 0
	s_sendmsg sendmsg(MSG_DEALLOC_VGPRS)
	s_endpgm
	.section	.rodata,"a",@progbits
	.p2align	6, 0x0
	.amdhsa_kernel _ZL15flash_attn_tileILi80ELi80ELi8ELi8ELb0EEvPKcS1_S1_S1_S1_PKiPfP15HIP_vector_typeIfLj2EEffffjfiS5_IjLj3EEiiiiiiiiiiiliiliiiiil
		.amdhsa_group_segment_fixed_size 17600
		.amdhsa_private_segment_fixed_size 0
		.amdhsa_kernarg_size 464
		.amdhsa_user_sgpr_count 13
		.amdhsa_user_sgpr_dispatch_ptr 0
		.amdhsa_user_sgpr_queue_ptr 0
		.amdhsa_user_sgpr_kernarg_segment_ptr 1
		.amdhsa_user_sgpr_dispatch_id 0
		.amdhsa_user_sgpr_private_segment_size 0
		.amdhsa_wavefront_size32 1
		.amdhsa_uses_dynamic_stack 0
		.amdhsa_enable_private_segment 0
		.amdhsa_system_sgpr_workgroup_id_x 1
		.amdhsa_system_sgpr_workgroup_id_y 1
		.amdhsa_system_sgpr_workgroup_id_z 1
		.amdhsa_system_sgpr_workgroup_info 0
		.amdhsa_system_vgpr_workitem_id 1
		.amdhsa_next_free_vgpr 203
		.amdhsa_next_free_sgpr 50
		.amdhsa_reserve_vcc 1
		.amdhsa_float_round_mode_32 0
		.amdhsa_float_round_mode_16_64 0
		.amdhsa_float_denorm_mode_32 3
		.amdhsa_float_denorm_mode_16_64 3
		.amdhsa_dx10_clamp 1
		.amdhsa_ieee_mode 1
		.amdhsa_fp16_overflow 0
		.amdhsa_workgroup_processor_mode 1
		.amdhsa_memory_ordered 1
		.amdhsa_forward_progress 0
		.amdhsa_shared_vgpr_count 0
		.amdhsa_exception_fp_ieee_invalid_op 0
		.amdhsa_exception_fp_denorm_src 0
		.amdhsa_exception_fp_ieee_div_zero 0
		.amdhsa_exception_fp_ieee_overflow 0
		.amdhsa_exception_fp_ieee_underflow 0
		.amdhsa_exception_fp_ieee_inexact 0
		.amdhsa_exception_int_div_zero 0
	.end_amdhsa_kernel
	.section	.text._ZL15flash_attn_tileILi80ELi80ELi8ELi8ELb0EEvPKcS1_S1_S1_S1_PKiPfP15HIP_vector_typeIfLj2EEffffjfiS5_IjLj3EEiiiiiiiiiiiliiliiiiil,"axG",@progbits,_ZL15flash_attn_tileILi80ELi80ELi8ELi8ELb0EEvPKcS1_S1_S1_S1_PKiPfP15HIP_vector_typeIfLj2EEffffjfiS5_IjLj3EEiiiiiiiiiiiliiliiiiil,comdat
.Lfunc_end0:
	.size	_ZL15flash_attn_tileILi80ELi80ELi8ELi8ELb0EEvPKcS1_S1_S1_S1_PKiPfP15HIP_vector_typeIfLj2EEffffjfiS5_IjLj3EEiiiiiiiiiiiliiliiiiil, .Lfunc_end0-_ZL15flash_attn_tileILi80ELi80ELi8ELi8ELb0EEvPKcS1_S1_S1_S1_PKiPfP15HIP_vector_typeIfLj2EEffffjfiS5_IjLj3EEiiiiiiiiiiiliiliiiiil
                                        ; -- End function
	.section	.AMDGPU.csdata,"",@progbits
; Kernel info:
; codeLenInByte = 23676
; NumSgprs: 52
; NumVgprs: 203
; ScratchSize: 0
; MemoryBound: 0
; FloatMode: 240
; IeeeMode: 1
; LDSByteSize: 17600 bytes/workgroup (compile time only)
; SGPRBlocks: 6
; VGPRBlocks: 25
; NumSGPRsForWavesPerEU: 52
; NumVGPRsForWavesPerEU: 203
; Occupancy: 7
; WaveLimiterHint : 1
; COMPUTE_PGM_RSRC2:SCRATCH_EN: 0
; COMPUTE_PGM_RSRC2:USER_SGPR: 13
; COMPUTE_PGM_RSRC2:TRAP_HANDLER: 0
; COMPUTE_PGM_RSRC2:TGID_X_EN: 1
; COMPUTE_PGM_RSRC2:TGID_Y_EN: 1
; COMPUTE_PGM_RSRC2:TGID_Z_EN: 1
; COMPUTE_PGM_RSRC2:TIDIG_COMP_CNT: 1
	.section	.text._ZL25flash_attn_mask_to_KV_maxILi8EEvPK7__half2Piiii,"axG",@progbits,_ZL25flash_attn_mask_to_KV_maxILi8EEvPK7__half2Piiii,comdat
	.globl	_ZL25flash_attn_mask_to_KV_maxILi8EEvPK7__half2Piiii ; -- Begin function _ZL25flash_attn_mask_to_KV_maxILi8EEvPK7__half2Piiii
	.p2align	8
	.type	_ZL25flash_attn_mask_to_KV_maxILi8EEvPK7__half2Piiii,@function
_ZL25flash_attn_mask_to_KV_maxILi8EEvPK7__half2Piiii: ; @_ZL25flash_attn_mask_to_KV_maxILi8EEvPK7__half2Piiii
; %bb.0:
	s_load_b128 s[4:7], s[0:1], 0x0
	s_mov_b32 s2, exec_lo
	v_cmpx_gt_u32_e32 32, v0
	s_cbranch_execz .LBB1_2
; %bb.1:
	v_dual_mov_b32 v2, 1 :: v_dual_lshlrev_b32 v1, 2, v0
	ds_store_b32 v1, v2
.LBB1_2:
	s_or_b32 exec_lo, exec_lo, s2
	s_clause 0x1
	s_load_b128 s[8:11], s[0:1], 0x10
	s_load_b32 s1, s[0:1], 0x20
	v_dual_mov_b32 v2, 0 :: v_dual_and_b32 v1, 31, v0
	v_lshrrev_b32_e32 v5, 3, v0
	s_waitcnt lgkmcnt(0)
	s_barrier
	s_delay_alu instid0(VALU_DEP_2) | instskip(SKIP_4) | instid1(SALU_CYCLE_1)
	v_lshlrev_b32_e32 v6, 2, v1
	buffer_gl0_inv
	s_mul_i32 s0, s14, s9
	s_mul_i32 s2, s15, s10
	s_lshl_b32 s0, s0, 3
	s_add_i32 s2, s2, s0
	v_cmp_eq_u32_e64 s0, 0, v1
	s_ashr_i32 s3, s2, 31
	s_delay_alu instid0(SALU_CYCLE_1) | instskip(NEXT) | instid1(SALU_CYCLE_1)
	s_lshl_b64 s[10:11], s[2:3], 2
	s_add_u32 s3, s4, s10
	s_addc_u32 s4, s5, s11
	s_lshl_b32 s5, s8, 8
	s_branch .LBB1_4
.LBB1_3:                                ;   in Loop: Header=BB1_4 Depth=1
	s_or_b32 exec_lo, exec_lo, s10
	s_waitcnt lgkmcnt(0)
	s_barrier
	buffer_gl0_inv
	ds_load_b32 v1, v6
	s_waitcnt lgkmcnt(0)
	s_barrier
	buffer_gl0_inv
	;;#ASMSTART
	;;#ASMEND
	v_cmp_ne_u32_e32 vcc_lo, 0, v1
	s_cmp_lg_u32 vcc_lo, exec_lo
	s_cselect_b32 s8, -1, 0
	s_delay_alu instid0(SALU_CYCLE_1)
	s_and_b32 vcc_lo, exec_lo, s8
	s_cbranch_vccnz .LBB1_36
.LBB1_4:                                ; =>This Inner Loop Header: Depth=1
	s_mov_b32 s2, s5
	s_addk_i32 s5, 0xff00
	s_delay_alu instid0(SALU_CYCLE_1)
	s_cmp_lt_i32 s5, 0
	s_cbranch_scc1 .LBB1_35
; %bb.5:                                ;   in Loop: Header=BB1_4 Depth=1
	s_lshr_b32 s8, s5, 1
	s_mov_b32 s10, 0
	v_add_nc_u32_e32 v1, s8, v0
	s_delay_alu instid0(VALU_DEP_1) | instskip(NEXT) | instid1(VALU_DEP_1)
	v_lshlrev_b64 v[3:4], 2, v[1:2]
	v_add_co_u32 v3, vcc_lo, s3, v3
	s_delay_alu instid0(VALU_DEP_2) | instskip(SKIP_4) | instid1(VALU_DEP_2)
	v_add_co_ci_u32_e32 v4, vcc_lo, s4, v4, vcc_lo
	global_load_b32 v3, v[3:4], off
	s_waitcnt vmcnt(0)
	v_lshrrev_b32_e32 v4, 16, v3
	v_cmp_class_f16_e64 s8, v3, 0x204
	v_and_b32_e32 v4, 0x7fff, v4
	s_delay_alu instid0(VALU_DEP_1) | instskip(NEXT) | instid1(VALU_DEP_3)
	v_cmp_eq_f16_e32 vcc_lo, 0x7c00, v4
	s_and_b32 s11, s8, vcc_lo
	s_delay_alu instid0(SALU_CYCLE_1)
	s_and_saveexec_b32 s8, s11
	s_cbranch_execz .LBB1_33
; %bb.6:                                ;   in Loop: Header=BB1_4 Depth=1
	v_add_nc_u32_e32 v3, s9, v1
	s_mov_b32 s11, 0
	s_delay_alu instid0(VALU_DEP_1) | instskip(NEXT) | instid1(VALU_DEP_1)
	v_ashrrev_i32_e32 v4, 31, v3
	v_lshlrev_b64 v[7:8], 2, v[3:4]
	s_delay_alu instid0(VALU_DEP_1) | instskip(NEXT) | instid1(VALU_DEP_2)
	v_add_co_u32 v7, vcc_lo, s3, v7
	v_add_co_ci_u32_e32 v8, vcc_lo, s4, v8, vcc_lo
	global_load_b32 v1, v[7:8], off
	s_waitcnt vmcnt(0)
	v_cmp_class_f16_e64 s12, v1, 0x204
	s_delay_alu instid0(VALU_DEP_1)
	s_and_saveexec_b32 s10, s12
	s_cbranch_execz .LBB1_32
; %bb.7:                                ;   in Loop: Header=BB1_4 Depth=1
	v_lshrrev_b32_e32 v1, 16, v1
	s_mov_b32 s12, 0
	s_delay_alu instid0(VALU_DEP_1) | instskip(NEXT) | instid1(VALU_DEP_1)
	v_cmp_class_f16_e64 s13, v1, 0x204
	s_and_saveexec_b32 s11, s13
	s_cbranch_execz .LBB1_31
; %bb.8:                                ;   in Loop: Header=BB1_4 Depth=1
	v_add_nc_u32_e32 v3, s9, v3
	s_mov_b32 s13, 0
	s_delay_alu instid0(VALU_DEP_1) | instskip(NEXT) | instid1(VALU_DEP_1)
	v_ashrrev_i32_e32 v4, 31, v3
	v_lshlrev_b64 v[7:8], 2, v[3:4]
	s_delay_alu instid0(VALU_DEP_1) | instskip(NEXT) | instid1(VALU_DEP_2)
	v_add_co_u32 v7, vcc_lo, s3, v7
	v_add_co_ci_u32_e32 v8, vcc_lo, s4, v8, vcc_lo
	global_load_b32 v1, v[7:8], off
	s_waitcnt vmcnt(0)
	v_cmp_class_f16_e64 s16, v1, 0x204
	s_delay_alu instid0(VALU_DEP_1)
	s_and_saveexec_b32 s12, s16
	s_cbranch_execz .LBB1_30
; %bb.9:                                ;   in Loop: Header=BB1_4 Depth=1
	v_lshrrev_b32_e32 v1, 16, v1
	s_mov_b32 s16, 0
	s_delay_alu instid0(VALU_DEP_1) | instskip(NEXT) | instid1(VALU_DEP_1)
	v_cmp_class_f16_e64 s17, v1, 0x204
	s_and_saveexec_b32 s13, s17
	s_cbranch_execz .LBB1_29
; %bb.10:                               ;   in Loop: Header=BB1_4 Depth=1
	v_add_nc_u32_e32 v3, s9, v3
	s_mov_b32 s17, 0
	s_delay_alu instid0(VALU_DEP_1) | instskip(NEXT) | instid1(VALU_DEP_1)
	v_ashrrev_i32_e32 v4, 31, v3
	v_lshlrev_b64 v[7:8], 2, v[3:4]
	s_delay_alu instid0(VALU_DEP_1) | instskip(NEXT) | instid1(VALU_DEP_2)
	v_add_co_u32 v7, vcc_lo, s3, v7
	v_add_co_ci_u32_e32 v8, vcc_lo, s4, v8, vcc_lo
	global_load_b32 v1, v[7:8], off
	s_waitcnt vmcnt(0)
	v_cmp_class_f16_e64 s18, v1, 0x204
	s_delay_alu instid0(VALU_DEP_1)
	s_and_saveexec_b32 s16, s18
	s_cbranch_execz .LBB1_28
; %bb.11:                               ;   in Loop: Header=BB1_4 Depth=1
	v_lshrrev_b32_e32 v1, 16, v1
	s_mov_b32 s18, 0
	s_delay_alu instid0(VALU_DEP_1) | instskip(NEXT) | instid1(VALU_DEP_1)
	v_cmp_class_f16_e64 s19, v1, 0x204
	s_and_saveexec_b32 s17, s19
	s_cbranch_execz .LBB1_27
; %bb.12:                               ;   in Loop: Header=BB1_4 Depth=1
	v_add_nc_u32_e32 v3, s9, v3
	s_mov_b32 s19, 0
	s_delay_alu instid0(VALU_DEP_1) | instskip(NEXT) | instid1(VALU_DEP_1)
	v_ashrrev_i32_e32 v4, 31, v3
	v_lshlrev_b64 v[7:8], 2, v[3:4]
	s_delay_alu instid0(VALU_DEP_1) | instskip(NEXT) | instid1(VALU_DEP_2)
	v_add_co_u32 v7, vcc_lo, s3, v7
	v_add_co_ci_u32_e32 v8, vcc_lo, s4, v8, vcc_lo
	global_load_b32 v1, v[7:8], off
	s_waitcnt vmcnt(0)
	v_cmp_class_f16_e64 s20, v1, 0x204
	s_delay_alu instid0(VALU_DEP_1)
	s_and_saveexec_b32 s18, s20
	s_cbranch_execz .LBB1_26
; %bb.13:                               ;   in Loop: Header=BB1_4 Depth=1
	;; [unrolled: 22-line block ×4, first 2 shown]
	v_lshrrev_b32_e32 v1, 16, v1
	s_mov_b32 s24, 0
	s_delay_alu instid0(VALU_DEP_1) | instskip(NEXT) | instid1(VALU_DEP_1)
	v_cmp_class_f16_e64 s25, v1, 0x204
	s_and_saveexec_b32 s23, s25
	s_cbranch_execz .LBB1_21
; %bb.18:                               ;   in Loop: Header=BB1_4 Depth=1
	v_add_nc_u32_e32 v3, s9, v3
	s_delay_alu instid0(VALU_DEP_1) | instskip(NEXT) | instid1(VALU_DEP_1)
	v_ashrrev_i32_e32 v4, 31, v3
	v_lshlrev_b64 v[3:4], 2, v[3:4]
	s_delay_alu instid0(VALU_DEP_1) | instskip(NEXT) | instid1(VALU_DEP_2)
	v_add_co_u32 v3, vcc_lo, s3, v3
	v_add_co_ci_u32_e32 v4, vcc_lo, s4, v4, vcc_lo
	global_load_b32 v1, v[3:4], off
	s_waitcnt vmcnt(0)
	v_cmp_class_f16_e64 s26, v1, 0x204
	s_delay_alu instid0(VALU_DEP_1)
	s_and_saveexec_b32 s25, s26
; %bb.19:                               ;   in Loop: Header=BB1_4 Depth=1
	v_lshrrev_b32_e32 v1, 16, v1
	s_delay_alu instid0(VALU_DEP_1) | instskip(NEXT) | instid1(VALU_DEP_1)
	v_cmp_class_f16_e64 s24, v1, 0x204
	s_and_b32 s24, s24, exec_lo
; %bb.20:                               ;   in Loop: Header=BB1_4 Depth=1
	s_or_b32 exec_lo, exec_lo, s25
	s_delay_alu instid0(SALU_CYCLE_1)
	s_and_b32 s24, s24, exec_lo
.LBB1_21:                               ;   in Loop: Header=BB1_4 Depth=1
	s_or_b32 exec_lo, exec_lo, s23
	s_delay_alu instid0(SALU_CYCLE_1)
	s_and_b32 s23, s24, exec_lo
.LBB1_22:                               ;   in Loop: Header=BB1_4 Depth=1
	s_or_b32 exec_lo, exec_lo, s22
	s_delay_alu instid0(SALU_CYCLE_1)
	s_and_b32 s22, s23, exec_lo
.LBB1_23:                               ;   in Loop: Header=BB1_4 Depth=1
	s_or_b32 exec_lo, exec_lo, s21
	s_delay_alu instid0(SALU_CYCLE_1)
	s_and_b32 s21, s22, exec_lo
.LBB1_24:                               ;   in Loop: Header=BB1_4 Depth=1
	s_or_b32 exec_lo, exec_lo, s20
	s_delay_alu instid0(SALU_CYCLE_1)
	s_and_b32 s20, s21, exec_lo
.LBB1_25:                               ;   in Loop: Header=BB1_4 Depth=1
	s_or_b32 exec_lo, exec_lo, s19
	s_delay_alu instid0(SALU_CYCLE_1)
	s_and_b32 s19, s20, exec_lo
.LBB1_26:                               ;   in Loop: Header=BB1_4 Depth=1
	s_or_b32 exec_lo, exec_lo, s18
	s_delay_alu instid0(SALU_CYCLE_1)
	s_and_b32 s18, s19, exec_lo
.LBB1_27:                               ;   in Loop: Header=BB1_4 Depth=1
	s_or_b32 exec_lo, exec_lo, s17
	s_delay_alu instid0(SALU_CYCLE_1)
	s_and_b32 s17, s18, exec_lo
.LBB1_28:                               ;   in Loop: Header=BB1_4 Depth=1
	s_or_b32 exec_lo, exec_lo, s16
	s_delay_alu instid0(SALU_CYCLE_1)
	s_and_b32 s16, s17, exec_lo
.LBB1_29:                               ;   in Loop: Header=BB1_4 Depth=1
	s_or_b32 exec_lo, exec_lo, s13
	s_delay_alu instid0(SALU_CYCLE_1)
	s_and_b32 s13, s16, exec_lo
.LBB1_30:                               ;   in Loop: Header=BB1_4 Depth=1
	s_or_b32 exec_lo, exec_lo, s12
	s_delay_alu instid0(SALU_CYCLE_1)
	s_and_b32 s12, s13, exec_lo
.LBB1_31:                               ;   in Loop: Header=BB1_4 Depth=1
	s_or_b32 exec_lo, exec_lo, s11
	s_delay_alu instid0(SALU_CYCLE_1)
	s_and_b32 s11, s12, exec_lo
.LBB1_32:                               ;   in Loop: Header=BB1_4 Depth=1
	s_or_b32 exec_lo, exec_lo, s10
	s_delay_alu instid0(SALU_CYCLE_1)
	s_and_b32 s10, s11, exec_lo
.LBB1_33:                               ;   in Loop: Header=BB1_4 Depth=1
	s_or_b32 exec_lo, exec_lo, s8
	v_cndmask_b32_e64 v1, 0, 1, s10
	;;#ASMSTART
	;;#ASMEND
	s_delay_alu instid0(VALU_DEP_1)
	v_cmp_ne_u32_e32 vcc_lo, 0, v1
	s_mov_b32 s8, exec_lo
	s_and_saveexec_b32 s10, s0
	s_cbranch_execz .LBB1_3
; %bb.34:                               ;   in Loop: Header=BB1_4 Depth=1
	s_cmp_eq_u32 vcc_lo, s8
	s_cselect_b32 s8, -1, 0
	s_delay_alu instid0(SALU_CYCLE_1)
	v_cndmask_b32_e64 v1, 0, 1, s8
	ds_store_b32 v5, v1
	s_branch .LBB1_3
.LBB1_35:                               ;   in Loop: Header=BB1_4 Depth=1
                                        ; implicit-def: $sgpr5
	s_cbranch_execz .LBB1_4
.LBB1_36:
	s_mov_b32 s0, exec_lo
	v_cmpx_eq_u32_e32 0, v0
	s_cbranch_execz .LBB1_38
; %bb.37:
	s_mul_i32 s0, s1, s15
	v_dual_mov_b32 v0, 0 :: v_dual_mov_b32 v1, s2
	s_add_i32 s0, s0, s14
	s_delay_alu instid0(SALU_CYCLE_1) | instskip(NEXT) | instid1(SALU_CYCLE_1)
	s_ashr_i32 s1, s0, 31
	s_lshl_b64 s[0:1], s[0:1], 2
	s_delay_alu instid0(SALU_CYCLE_1)
	s_add_u32 s0, s6, s0
	s_addc_u32 s1, s7, s1
	global_store_b32 v0, v1, s[0:1]
.LBB1_38:
	s_nop 0
	s_sendmsg sendmsg(MSG_DEALLOC_VGPRS)
	s_endpgm
	.section	.rodata,"a",@progbits
	.p2align	6, 0x0
	.amdhsa_kernel _ZL25flash_attn_mask_to_KV_maxILi8EEvPK7__half2Piiii
		.amdhsa_group_segment_fixed_size 128
		.amdhsa_private_segment_fixed_size 0
		.amdhsa_kernarg_size 288
		.amdhsa_user_sgpr_count 14
		.amdhsa_user_sgpr_dispatch_ptr 0
		.amdhsa_user_sgpr_queue_ptr 0
		.amdhsa_user_sgpr_kernarg_segment_ptr 1
		.amdhsa_user_sgpr_dispatch_id 0
		.amdhsa_user_sgpr_private_segment_size 0
		.amdhsa_wavefront_size32 1
		.amdhsa_uses_dynamic_stack 0
		.amdhsa_enable_private_segment 0
		.amdhsa_system_sgpr_workgroup_id_x 1
		.amdhsa_system_sgpr_workgroup_id_y 1
		.amdhsa_system_sgpr_workgroup_id_z 0
		.amdhsa_system_sgpr_workgroup_info 0
		.amdhsa_system_vgpr_workitem_id 0
		.amdhsa_next_free_vgpr 9
		.amdhsa_next_free_sgpr 27
		.amdhsa_reserve_vcc 1
		.amdhsa_float_round_mode_32 0
		.amdhsa_float_round_mode_16_64 0
		.amdhsa_float_denorm_mode_32 3
		.amdhsa_float_denorm_mode_16_64 3
		.amdhsa_dx10_clamp 1
		.amdhsa_ieee_mode 1
		.amdhsa_fp16_overflow 0
		.amdhsa_workgroup_processor_mode 1
		.amdhsa_memory_ordered 1
		.amdhsa_forward_progress 0
		.amdhsa_shared_vgpr_count 0
		.amdhsa_exception_fp_ieee_invalid_op 0
		.amdhsa_exception_fp_denorm_src 0
		.amdhsa_exception_fp_ieee_div_zero 0
		.amdhsa_exception_fp_ieee_overflow 0
		.amdhsa_exception_fp_ieee_underflow 0
		.amdhsa_exception_fp_ieee_inexact 0
		.amdhsa_exception_int_div_zero 0
	.end_amdhsa_kernel
	.section	.text._ZL25flash_attn_mask_to_KV_maxILi8EEvPK7__half2Piiii,"axG",@progbits,_ZL25flash_attn_mask_to_KV_maxILi8EEvPK7__half2Piiii,comdat
.Lfunc_end1:
	.size	_ZL25flash_attn_mask_to_KV_maxILi8EEvPK7__half2Piiii, .Lfunc_end1-_ZL25flash_attn_mask_to_KV_maxILi8EEvPK7__half2Piiii
                                        ; -- End function
	.section	.AMDGPU.csdata,"",@progbits
; Kernel info:
; codeLenInByte = 1376
; NumSgprs: 29
; NumVgprs: 9
; ScratchSize: 0
; MemoryBound: 0
; FloatMode: 240
; IeeeMode: 1
; LDSByteSize: 128 bytes/workgroup (compile time only)
; SGPRBlocks: 3
; VGPRBlocks: 1
; NumSGPRsForWavesPerEU: 29
; NumVGPRsForWavesPerEU: 9
; Occupancy: 16
; WaveLimiterHint : 0
; COMPUTE_PGM_RSRC2:SCRATCH_EN: 0
; COMPUTE_PGM_RSRC2:USER_SGPR: 14
; COMPUTE_PGM_RSRC2:TRAP_HANDLER: 0
; COMPUTE_PGM_RSRC2:TGID_X_EN: 1
; COMPUTE_PGM_RSRC2:TGID_Y_EN: 1
; COMPUTE_PGM_RSRC2:TGID_Z_EN: 0
; COMPUTE_PGM_RSRC2:TIDIG_COMP_CNT: 0
	.section	.text._ZL33flash_attn_stream_k_fixup_uniformILi80ELi8ELi8EEvPfPK15HIP_vector_typeIfLj2EEiiiiiiS1_IjLj3EES5_S5_,"axG",@progbits,_ZL33flash_attn_stream_k_fixup_uniformILi80ELi8ELi8EEvPfPK15HIP_vector_typeIfLj2EEiiiiiiS1_IjLj3EES5_S5_,comdat
	.globl	_ZL33flash_attn_stream_k_fixup_uniformILi80ELi8ELi8EEvPfPK15HIP_vector_typeIfLj2EEiiiiiiS1_IjLj3EES5_S5_ ; -- Begin function _ZL33flash_attn_stream_k_fixup_uniformILi80ELi8ELi8EEvPfPK15HIP_vector_typeIfLj2EEiiiiiiS1_IjLj3EES5_S5_
	.p2align	8
	.type	_ZL33flash_attn_stream_k_fixup_uniformILi80ELi8ELi8EEvPfPK15HIP_vector_typeIfLj2EEiiiiiiS1_IjLj3EES5_S5_,@function
_ZL33flash_attn_stream_k_fixup_uniformILi80ELi8ELi8EEvPfPK15HIP_vector_typeIfLj2EEiiiiiiS1_IjLj3EES5_S5_: ; @_ZL33flash_attn_stream_k_fixup_uniformILi80ELi8ELi8EEvPfPK15HIP_vector_typeIfLj2EEiiiiiiS1_IjLj3EES5_S5_
; %bb.0:
	s_clause 0x1
	s_load_b256 s[4:11], s[0:1], 0x1c
	s_load_b128 s[16:19], s[0:1], 0x3c
	s_waitcnt lgkmcnt(0)
	s_mul_hi_u32 s2, s7, s13
	s_delay_alu instid0(SALU_CYCLE_1) | instskip(NEXT) | instid1(SALU_CYCLE_1)
	s_add_i32 s2, s13, s2
	s_lshr_b32 s2, s2, s8
	s_delay_alu instid0(SALU_CYCLE_1) | instskip(SKIP_2) | instid1(SALU_CYCLE_1)
	s_mul_i32 s3, s2, s9
	s_load_b64 s[8:9], s[0:1], 0x10
	s_sub_i32 s3, s13, s3
	s_mul_hi_u32 s7, s3, s10
	s_delay_alu instid0(SALU_CYCLE_1) | instskip(NEXT) | instid1(SALU_CYCLE_1)
	s_add_i32 s7, s3, s7
	s_lshr_b32 s7, s7, s11
	s_delay_alu instid0(SALU_CYCLE_1) | instskip(NEXT) | instid1(SALU_CYCLE_1)
	s_mul_i32 s10, s7, s16
	s_sub_i32 s3, s3, s10
	s_delay_alu instid0(SALU_CYCLE_1) | instskip(NEXT) | instid1(SALU_CYCLE_1)
	s_mul_hi_u32 s10, s3, s17
	s_add_i32 s10, s3, s10
	s_delay_alu instid0(SALU_CYCLE_1) | instskip(NEXT) | instid1(SALU_CYCLE_1)
	s_lshr_b32 s11, s10, s18
	s_mul_i32 s10, s11, s19
	s_lshl_b32 s11, s11, 3
	s_sub_i32 s10, s3, s10
	s_delay_alu instid0(SALU_CYCLE_1) | instskip(NEXT) | instid1(SALU_CYCLE_1)
	s_lshl_b32 s3, s10, 3
	s_add_i32 s3, s3, s14
	s_waitcnt lgkmcnt(0)
	s_cmp_lt_i32 s3, s8
	s_cselect_b32 s3, -1, 0
	s_add_i32 s11, s11, s15
	s_delay_alu instid0(SALU_CYCLE_1) | instskip(SKIP_1) | instid1(SALU_CYCLE_1)
	s_cmp_lt_i32 s11, s5
	s_cselect_b32 s12, -1, 0
	s_and_b32 s3, s3, s12
	s_delay_alu instid0(SALU_CYCLE_1)
	s_and_not1_b32 vcc_lo, exec_lo, s3
	s_cbranch_vccnz .LBB2_6
; %bb.1:
	s_mul_i32 s8, s2, s8
	s_mul_i32 s7, s7, s5
	s_add_i32 s8, s8, s14
	s_add_i32 s5, s11, s7
	s_mul_i32 s8, s8, s9
	s_load_b128 s[0:3], s[0:1], 0x0
	s_mul_i32 s7, s9, s10
	s_add_i32 s5, s5, s8
	s_mulk_i32 s7, 0x280
	s_mulk_i32 s5, 0x50
	s_lshl_b32 s9, s14, 3
	v_add3_u32 v1, s5, s7, v0
	s_mul_i32 s5, s13, s6
	s_delay_alu instid0(SALU_CYCLE_1) | instskip(NEXT) | instid1(VALU_DEP_1)
	s_add_i32 s10, s5, s6
	v_ashrrev_i32_e32 v2, 31, v1
	s_delay_alu instid0(VALU_DEP_1) | instskip(SKIP_1) | instid1(VALU_DEP_1)
	v_lshlrev_b64 v[1:2], 2, v[1:2]
	s_waitcnt lgkmcnt(0)
	v_add_co_u32 v1, vcc_lo, s0, v1
	s_delay_alu instid0(VALU_DEP_2) | instskip(SKIP_4) | instid1(SALU_CYCLE_1)
	v_add_co_ci_u32_e32 v2, vcc_lo, s1, v2, vcc_lo
	s_add_i32 s0, s9, s15
	s_lshl_b32 s1, s10, 6
	global_load_b32 v5, v[1:2], off
	s_add_i32 s0, s0, s1
	s_sub_i32 s0, s0, 64
	s_delay_alu instid0(SALU_CYCLE_1) | instskip(NEXT) | instid1(SALU_CYCLE_1)
	s_ashr_i32 s1, s0, 31
	s_lshl_b64 s[0:1], s[0:1], 3
	s_delay_alu instid0(SALU_CYCLE_1)
	s_add_u32 s0, s2, s0
	s_addc_u32 s1, s3, s1
	s_add_i32 s7, s10, -2
	s_load_b32 s11, s[0:1], 0x4
	s_cmp_lt_i32 s7, s5
	s_cbranch_scc1 .LBB2_4
; %bb.2:
	s_load_b32 s12, s[0:1], 0x0
	s_lshl_b32 s16, s4, 8
	s_mulk_i32 s14, 0x280
	s_ashr_i32 s17, s16, 31
	s_waitcnt lgkmcnt(0)
	v_mov_b32_e32 v6, s11
	s_lshl_b64 s[0:1], s[16:17], 2
	s_delay_alu instid0(SALU_CYCLE_1)
	s_add_u32 s7, s2, s0
	s_addc_u32 s8, s3, s1
	s_add_i32 s13, s13, 1
	s_lshl_b32 s4, s4, 6
	s_mul_i32 s0, s6, s13
	s_mul_i32 s6, s15, 0x50
	s_lshl_b32 s1, s0, 6
	s_mulk_i32 s0, 0x1400
	s_add_i32 s6, s6, s14
	s_add_i32 s1, s15, s1
	;; [unrolled: 1-line block ×4, first 2 shown]
	v_add3_u32 v3, s6, v0, 0xffffd800
	v_mov_b32_e32 v0, s12
	s_add_i32 s0, s0, s9
	s_add_i32 s4, s10, -1
	s_addk_i32 s0, 0xff80
.LBB2_3:                                ; =>This Inner Loop Header: Depth=1
	s_delay_alu instid0(VALU_DEP_2) | instskip(SKIP_1) | instid1(SALU_CYCLE_1)
	v_ashrrev_i32_e32 v4, 31, v3
	s_ashr_i32 s1, s0, 31
	s_lshl_b64 s[10:11], s[0:1], 3
	s_delay_alu instid0(SALU_CYCLE_1) | instskip(NEXT) | instid1(VALU_DEP_1)
	s_add_u32 s10, s2, s10
	v_lshlrev_b64 v[7:8], 2, v[3:4]
	s_addc_u32 s11, s3, s11
	s_add_i32 s4, s4, -1
	s_sub_i32 s0, s0, 64
	s_cmp_le_i32 s4, s5
	s_load_b64 s[10:11], s[10:11], 0x0
	v_add_co_u32 v7, vcc_lo, s7, v7
	v_add_co_ci_u32_e32 v8, vcc_lo, s8, v8, vcc_lo
	global_load_b32 v4, v[7:8], off
	v_max_f32_e32 v7, v0, v0
	s_waitcnt lgkmcnt(0)
	v_max_f32_e64 v8, s10, s10
	s_delay_alu instid0(VALU_DEP_1) | instskip(NEXT) | instid1(VALU_DEP_1)
	v_max_f32_e32 v7, v7, v8
	v_sub_f32_e32 v8, s10, v7
	s_delay_alu instid0(VALU_DEP_1) | instskip(NEXT) | instid1(VALU_DEP_1)
	v_dual_sub_f32 v0, v0, v7 :: v_dual_mul_f32 v9, 0x3fb8aa3b, v8
	v_fma_f32 v10, 0x3fb8aa3b, v8, -v9
	v_rndne_f32_e32 v11, v9
	s_delay_alu instid0(VALU_DEP_3) | instskip(NEXT) | instid1(VALU_DEP_2)
	v_mul_f32_e32 v12, 0x3fb8aa3b, v0
	v_dual_fmac_f32 v10, 0x32a5705f, v8 :: v_dual_sub_f32 v9, v9, v11
	v_cvt_i32_f32_e32 v11, v11
	s_delay_alu instid0(VALU_DEP_3) | instskip(SKIP_1) | instid1(VALU_DEP_4)
	v_fma_f32 v13, 0x3fb8aa3b, v0, -v12
	v_rndne_f32_e32 v14, v12
	v_add_f32_e32 v9, v9, v10
	v_cmp_ngt_f32_e32 vcc_lo, 0xc2ce8ed0, v8
	s_delay_alu instid0(VALU_DEP_3) | instskip(NEXT) | instid1(VALU_DEP_3)
	v_sub_f32_e32 v10, v12, v14
	v_exp_f32_e32 v9, v9
	s_waitcnt_depctr 0xfff
	v_ldexp_f32 v9, v9, v11
	v_cvt_i32_f32_e32 v11, v14
	s_delay_alu instid0(VALU_DEP_2) | instskip(SKIP_1) | instid1(VALU_DEP_2)
	v_cndmask_b32_e32 v9, 0, v9, vcc_lo
	v_cmp_nlt_f32_e32 vcc_lo, 0x42b17218, v8
	v_cndmask_b32_e32 v9, 0x7f800000, v9, vcc_lo
	v_cmp_ngt_f32_e32 vcc_lo, 0xc2ce8ed0, v0
	v_fmac_f32_e32 v13, 0x32a5705f, v0
	s_delay_alu instid0(VALU_DEP_1) | instskip(NEXT) | instid1(VALU_DEP_1)
	v_add_f32_e32 v10, v10, v13
	v_exp_f32_e32 v10, v10
	s_waitcnt_depctr 0xfff
	v_ldexp_f32 v10, v10, v11
	s_delay_alu instid0(VALU_DEP_1)
	v_dual_mov_b32 v11, v6 :: v_dual_cndmask_b32 v10, 0, v10
	v_cmp_le_f32_e32 vcc_lo, 0xc1a00000, v8
	s_waitcnt vmcnt(1)
	v_dual_cndmask_b32 v8, 0, v9 :: v_dual_mov_b32 v9, v5
	v_cmp_nlt_f32_e32 vcc_lo, 0x42b17218, v0
	v_cndmask_b32_e32 v5, 0x7f800000, v10, vcc_lo
	s_delay_alu instid0(VALU_DEP_3) | instskip(SKIP_2) | instid1(VALU_DEP_3)
	v_mul_f32_e32 v10, s11, v8
	v_cmp_le_f32_e32 vcc_lo, 0xc1a00000, v0
	v_mov_b32_e32 v0, v7
	v_mov_b32_e32 v6, v10
	s_waitcnt vmcnt(0)
	v_dual_cndmask_b32 v12, 0, v5 :: v_dual_mul_f32 v5, v4, v8
	s_delay_alu instid0(VALU_DEP_1) | instskip(NEXT) | instid1(VALU_DEP_2)
	v_dual_fmac_f32 v6, v11, v12 :: v_dual_add_nc_u32 v3, 0xffffec00, v3
	v_fmac_f32_e32 v5, v9, v12
	s_cbranch_scc0 .LBB2_3
	s_branch .LBB2_5
.LBB2_4:
	s_waitcnt lgkmcnt(0)
	v_mov_b32_e32 v6, s11
.LBB2_5:
	s_waitcnt vmcnt(0)
	s_delay_alu instid0(VALU_DEP_1) | instskip(NEXT) | instid1(VALU_DEP_1)
	v_div_scale_f32 v0, null, v6, v6, v5
	v_rcp_f32_e32 v3, v0
	s_waitcnt_depctr 0xfff
	v_fma_f32 v4, -v0, v3, 1.0
	s_delay_alu instid0(VALU_DEP_1) | instskip(SKIP_1) | instid1(VALU_DEP_1)
	v_fmac_f32_e32 v3, v4, v3
	v_div_scale_f32 v4, vcc_lo, v5, v6, v5
	v_mul_f32_e32 v7, v4, v3
	s_delay_alu instid0(VALU_DEP_1) | instskip(NEXT) | instid1(VALU_DEP_1)
	v_fma_f32 v8, -v0, v7, v4
	v_fmac_f32_e32 v7, v8, v3
	s_delay_alu instid0(VALU_DEP_1) | instskip(NEXT) | instid1(VALU_DEP_1)
	v_fma_f32 v0, -v0, v7, v4
	v_div_fmas_f32 v0, v0, v3, v7
	s_delay_alu instid0(VALU_DEP_1)
	v_div_fixup_f32 v0, v0, v6, v5
	global_store_b32 v[1:2], v0, off
.LBB2_6:
	s_nop 0
	s_sendmsg sendmsg(MSG_DEALLOC_VGPRS)
	s_endpgm
	.section	.rodata,"a",@progbits
	.p2align	6, 0x0
	.amdhsa_kernel _ZL33flash_attn_stream_k_fixup_uniformILi80ELi8ELi8EEvPfPK15HIP_vector_typeIfLj2EEiiiiiiS1_IjLj3EES5_S5_
		.amdhsa_group_segment_fixed_size 0
		.amdhsa_private_segment_fixed_size 0
		.amdhsa_kernarg_size 76
		.amdhsa_user_sgpr_count 13
		.amdhsa_user_sgpr_dispatch_ptr 0
		.amdhsa_user_sgpr_queue_ptr 0
		.amdhsa_user_sgpr_kernarg_segment_ptr 1
		.amdhsa_user_sgpr_dispatch_id 0
		.amdhsa_user_sgpr_private_segment_size 0
		.amdhsa_wavefront_size32 1
		.amdhsa_uses_dynamic_stack 0
		.amdhsa_enable_private_segment 0
		.amdhsa_system_sgpr_workgroup_id_x 1
		.amdhsa_system_sgpr_workgroup_id_y 1
		.amdhsa_system_sgpr_workgroup_id_z 1
		.amdhsa_system_sgpr_workgroup_info 0
		.amdhsa_system_vgpr_workitem_id 0
		.amdhsa_next_free_vgpr 15
		.amdhsa_next_free_sgpr 20
		.amdhsa_reserve_vcc 1
		.amdhsa_float_round_mode_32 0
		.amdhsa_float_round_mode_16_64 0
		.amdhsa_float_denorm_mode_32 3
		.amdhsa_float_denorm_mode_16_64 3
		.amdhsa_dx10_clamp 1
		.amdhsa_ieee_mode 1
		.amdhsa_fp16_overflow 0
		.amdhsa_workgroup_processor_mode 1
		.amdhsa_memory_ordered 1
		.amdhsa_forward_progress 0
		.amdhsa_shared_vgpr_count 0
		.amdhsa_exception_fp_ieee_invalid_op 0
		.amdhsa_exception_fp_denorm_src 0
		.amdhsa_exception_fp_ieee_div_zero 0
		.amdhsa_exception_fp_ieee_overflow 0
		.amdhsa_exception_fp_ieee_underflow 0
		.amdhsa_exception_fp_ieee_inexact 0
		.amdhsa_exception_int_div_zero 0
	.end_amdhsa_kernel
	.section	.text._ZL33flash_attn_stream_k_fixup_uniformILi80ELi8ELi8EEvPfPK15HIP_vector_typeIfLj2EEiiiiiiS1_IjLj3EES5_S5_,"axG",@progbits,_ZL33flash_attn_stream_k_fixup_uniformILi80ELi8ELi8EEvPfPK15HIP_vector_typeIfLj2EEiiiiiiS1_IjLj3EES5_S5_,comdat
.Lfunc_end2:
	.size	_ZL33flash_attn_stream_k_fixup_uniformILi80ELi8ELi8EEvPfPK15HIP_vector_typeIfLj2EEiiiiiiS1_IjLj3EES5_S5_, .Lfunc_end2-_ZL33flash_attn_stream_k_fixup_uniformILi80ELi8ELi8EEvPfPK15HIP_vector_typeIfLj2EEiiiiiiS1_IjLj3EES5_S5_
                                        ; -- End function
	.section	.AMDGPU.csdata,"",@progbits
; Kernel info:
; codeLenInByte = 992
; NumSgprs: 22
; NumVgprs: 15
; ScratchSize: 0
; MemoryBound: 0
; FloatMode: 240
; IeeeMode: 1
; LDSByteSize: 0 bytes/workgroup (compile time only)
; SGPRBlocks: 2
; VGPRBlocks: 1
; NumSGPRsForWavesPerEU: 22
; NumVGPRsForWavesPerEU: 15
; Occupancy: 16
; WaveLimiterHint : 0
; COMPUTE_PGM_RSRC2:SCRATCH_EN: 0
; COMPUTE_PGM_RSRC2:USER_SGPR: 13
; COMPUTE_PGM_RSRC2:TRAP_HANDLER: 0
; COMPUTE_PGM_RSRC2:TGID_X_EN: 1
; COMPUTE_PGM_RSRC2:TGID_Y_EN: 1
; COMPUTE_PGM_RSRC2:TGID_Z_EN: 1
; COMPUTE_PGM_RSRC2:TIDIG_COMP_CNT: 0
	.section	.text._ZL33flash_attn_stream_k_fixup_generalILi80ELi8ELi8EEvPfPK15HIP_vector_typeIfLj2EEiiiiS1_IjLj3EES5_S5_S5_,"axG",@progbits,_ZL33flash_attn_stream_k_fixup_generalILi80ELi8ELi8EEvPfPK15HIP_vector_typeIfLj2EEiiiiS1_IjLj3EES5_S5_S5_,comdat
	.globl	_ZL33flash_attn_stream_k_fixup_generalILi80ELi8ELi8EEvPfPK15HIP_vector_typeIfLj2EEiiiiS1_IjLj3EES5_S5_S5_ ; -- Begin function _ZL33flash_attn_stream_k_fixup_generalILi80ELi8ELi8EEvPfPK15HIP_vector_typeIfLj2EEiiiiS1_IjLj3EES5_S5_S5_
	.p2align	8
	.type	_ZL33flash_attn_stream_k_fixup_generalILi80ELi8ELi8EEvPfPK15HIP_vector_typeIfLj2EEiiiiS1_IjLj3EES5_S5_S5_,@function
_ZL33flash_attn_stream_k_fixup_generalILi80ELi8ELi8EEvPfPK15HIP_vector_typeIfLj2EEiiiiS1_IjLj3EES5_S5_S5_: ; @_ZL33flash_attn_stream_k_fixup_generalILi80ELi8ELi8EEvPfPK15HIP_vector_typeIfLj2EEiiiiS1_IjLj3EES5_S5_S5_
; %bb.0:
	s_clause 0x1
	s_load_b128 s[4:7], s[0:1], 0x10
	s_load_b32 s20, s[0:1], 0x50
	s_mov_b32 s2, 0
	s_waitcnt lgkmcnt(0)
	s_mul_hi_i32 s3, s7, s13
	s_mul_i32 s12, s7, s13
	s_cmp_lg_u64 s[2:3], 0
	s_cbranch_scc0 .LBB3_21
; %bb.1:
	v_cvt_f32_ubyte0_e32 v1, 0
	v_cvt_f32_u32_e32 v2, s20
	s_sub_u32 s10, 0, s20
	s_subb_u32 s11, 0, 0
	s_delay_alu instid0(VALU_DEP_1) | instskip(NEXT) | instid1(VALU_DEP_1)
	v_fmamk_f32 v1, v1, 0x4f800000, v2
	v_rcp_f32_e32 v1, v1
	s_waitcnt_depctr 0xfff
	v_mul_f32_e32 v1, 0x5f7ffffc, v1
	s_delay_alu instid0(VALU_DEP_1) | instskip(NEXT) | instid1(VALU_DEP_1)
	v_mul_f32_e32 v2, 0x2f800000, v1
	v_trunc_f32_e32 v2, v2
	s_delay_alu instid0(VALU_DEP_1) | instskip(SKIP_1) | instid1(VALU_DEP_2)
	v_fmamk_f32 v1, v2, 0xcf800000, v1
	v_cvt_u32_f32_e32 v2, v2
	v_cvt_u32_f32_e32 v1, v1
	s_delay_alu instid0(VALU_DEP_2) | instskip(NEXT) | instid1(VALU_DEP_2)
	v_readfirstlane_b32 s8, v2
	v_readfirstlane_b32 s9, v1
	s_delay_alu instid0(VALU_DEP_2) | instskip(NEXT) | instid1(VALU_DEP_1)
	s_mul_i32 s16, s10, s8
	s_mul_hi_u32 s18, s10, s9
	s_mul_i32 s17, s11, s9
	s_add_i32 s16, s18, s16
	s_mul_i32 s19, s10, s9
	s_add_i32 s16, s16, s17
	s_mul_hi_u32 s18, s9, s19
	s_mul_hi_u32 s21, s8, s19
	s_mul_i32 s17, s8, s19
	s_mul_hi_u32 s19, s9, s16
	s_mul_i32 s9, s9, s16
	s_mul_hi_u32 s22, s8, s16
	s_add_u32 s9, s18, s9
	s_addc_u32 s18, 0, s19
	s_add_u32 s9, s9, s17
	s_mul_i32 s16, s8, s16
	s_addc_u32 s9, s18, s21
	s_addc_u32 s17, s22, 0
	s_add_u32 s9, s9, s16
	s_addc_u32 s16, 0, s17
	v_add_co_u32 v1, s9, v1, s9
	s_delay_alu instid0(VALU_DEP_1) | instskip(SKIP_1) | instid1(VALU_DEP_1)
	s_cmp_lg_u32 s9, 0
	s_addc_u32 s8, s8, s16
	v_readfirstlane_b32 s9, v1
	s_mul_i32 s16, s10, s8
	s_delay_alu instid0(VALU_DEP_1)
	s_mul_hi_u32 s17, s10, s9
	s_mul_i32 s11, s11, s9
	s_add_i32 s16, s17, s16
	s_mul_i32 s10, s10, s9
	s_add_i32 s16, s16, s11
	s_mul_hi_u32 s17, s8, s10
	s_mul_i32 s18, s8, s10
	s_mul_hi_u32 s10, s9, s10
	s_mul_hi_u32 s19, s9, s16
	s_mul_i32 s9, s9, s16
	s_mul_hi_u32 s11, s8, s16
	s_add_u32 s9, s10, s9
	s_addc_u32 s10, 0, s19
	s_add_u32 s9, s9, s18
	s_mul_i32 s16, s8, s16
	s_addc_u32 s9, s10, s17
	s_addc_u32 s10, s11, 0
	s_add_u32 s9, s9, s16
	s_addc_u32 s10, 0, s10
	v_add_co_u32 v1, s9, v1, s9
	s_delay_alu instid0(VALU_DEP_1) | instskip(SKIP_2) | instid1(SALU_CYCLE_1)
	s_cmp_lg_u32 s9, 0
	s_addc_u32 s16, s8, s10
	s_ashr_i32 s8, s3, 31
	s_add_u32 s10, s12, s8
	s_addc_u32 s11, s3, s8
	v_readfirstlane_b32 s3, v1
	s_mov_b32 s9, s8
	s_delay_alu instid0(SALU_CYCLE_1) | instskip(NEXT) | instid1(SALU_CYCLE_1)
	s_xor_b64 s[10:11], s[10:11], s[8:9]
	s_mul_i32 s18, s10, s16
	s_delay_alu instid0(VALU_DEP_1)
	s_mul_hi_u32 s19, s10, s3
	s_mul_hi_u32 s17, s10, s16
	;; [unrolled: 1-line block ×3, first 2 shown]
	s_mul_i32 s3, s11, s3
	s_add_u32 s18, s19, s18
	s_addc_u32 s17, 0, s17
	s_mul_hi_u32 s21, s11, s16
	s_add_u32 s3, s18, s3
	s_mul_i32 s16, s11, s16
	s_addc_u32 s3, s17, s22
	s_addc_u32 s17, s21, 0
	s_add_u32 s3, s3, s16
	s_addc_u32 s16, 0, s17
	s_mul_i32 s18, s20, s3
	s_add_u32 s17, s3, 1
	v_sub_co_u32 v1, s10, s10, s18
	s_mul_hi_u32 s18, s20, s3
	s_addc_u32 s19, s16, 0
	s_mul_i32 s21, s20, s16
	s_delay_alu instid0(VALU_DEP_1)
	v_sub_co_u32 v2, s22, v1, s20
	s_add_u32 s23, s3, 2
	s_addc_u32 s24, s16, 0
	s_add_i32 s18, s18, s21
	s_cmp_lg_u32 s10, 0
	v_readfirstlane_b32 s10, v2
	s_subb_u32 s11, s11, s18
	s_cmp_lg_u32 s22, 0
	s_subb_u32 s18, s11, 0
	s_delay_alu instid0(VALU_DEP_1) | instskip(SKIP_4) | instid1(SALU_CYCLE_1)
	s_cmp_ge_u32 s10, s20
	s_cselect_b32 s10, -1, 0
	s_cmp_eq_u32 s18, 0
	v_readfirstlane_b32 s18, v1
	s_cselect_b32 s10, s10, -1
	s_cmp_lg_u32 s10, 0
	s_cselect_b32 s10, s23, s17
	s_cselect_b32 s17, s24, s19
	s_cmp_ge_u32 s18, s20
	s_cselect_b32 s18, -1, 0
	s_cmp_eq_u32 s11, 0
	s_cselect_b32 s11, s18, -1
	s_delay_alu instid0(SALU_CYCLE_1) | instskip(SKIP_2) | instid1(SALU_CYCLE_1)
	s_cmp_lg_u32 s11, 0
	s_cselect_b32 s11, s17, s16
	s_cselect_b32 s10, s10, s3
	s_xor_b64 s[10:11], s[10:11], s[8:9]
	s_delay_alu instid0(SALU_CYCLE_1)
	s_sub_u32 s16, s10, s8
	s_load_b128 s[8:11], s[0:1], 0x44
	s_and_not1_b32 vcc_lo, exec_lo, s2
	s_cbranch_vccnz .LBB3_3
.LBB3_2:
	v_cvt_f32_u32_e32 v1, s20
	s_sub_i32 s3, 0, s20
	s_delay_alu instid0(VALU_DEP_1) | instskip(SKIP_2) | instid1(VALU_DEP_1)
	v_rcp_iflag_f32_e32 v1, v1
	s_waitcnt_depctr 0xfff
	v_mul_f32_e32 v1, 0x4f7ffffe, v1
	v_cvt_u32_f32_e32 v1, v1
	s_delay_alu instid0(VALU_DEP_1) | instskip(NEXT) | instid1(VALU_DEP_1)
	v_readfirstlane_b32 s2, v1
	s_mul_i32 s3, s3, s2
	s_delay_alu instid0(SALU_CYCLE_1) | instskip(NEXT) | instid1(SALU_CYCLE_1)
	s_mul_hi_u32 s3, s2, s3
	s_add_i32 s2, s2, s3
	s_delay_alu instid0(SALU_CYCLE_1) | instskip(NEXT) | instid1(SALU_CYCLE_1)
	s_mul_hi_u32 s2, s12, s2
	s_mul_i32 s3, s2, s20
	s_waitcnt lgkmcnt(0)
	s_add_i32 s11, s2, 1
	s_sub_i32 s3, s12, s3
	s_delay_alu instid0(SALU_CYCLE_1)
	s_sub_i32 s12, s3, s20
	s_cmp_ge_u32 s3, s20
	s_cselect_b32 s2, s11, s2
	s_cselect_b32 s3, s12, s3
	s_add_i32 s11, s2, 1
	s_cmp_ge_u32 s3, s20
	s_cselect_b32 s16, s11, s2
.LBB3_3:
	s_waitcnt lgkmcnt(0)
	s_add_i32 s11, s13, 1
	s_mov_b32 s2, 0
	s_mul_hi_i32 s3, s7, s11
	s_mul_i32 s11, s7, s11
	s_cmp_lg_u64 s[2:3], 0
	s_cbranch_scc0 .LBB3_22
; %bb.4:
	v_cvt_f32_ubyte0_e32 v1, 0
	v_cvt_f32_u32_e32 v2, s20
	s_sub_u32 s18, 0, s20
	s_subb_u32 s19, 0, 0
	s_delay_alu instid0(VALU_DEP_1) | instskip(NEXT) | instid1(VALU_DEP_1)
	v_fmamk_f32 v1, v1, 0x4f800000, v2
	v_rcp_f32_e32 v1, v1
	s_waitcnt_depctr 0xfff
	v_mul_f32_e32 v1, 0x5f7ffffc, v1
	s_delay_alu instid0(VALU_DEP_1) | instskip(NEXT) | instid1(VALU_DEP_1)
	v_mul_f32_e32 v2, 0x2f800000, v1
	v_trunc_f32_e32 v2, v2
	s_delay_alu instid0(VALU_DEP_1) | instskip(SKIP_1) | instid1(VALU_DEP_2)
	v_fmamk_f32 v1, v2, 0xcf800000, v1
	v_cvt_u32_f32_e32 v2, v2
	v_cvt_u32_f32_e32 v1, v1
	s_delay_alu instid0(VALU_DEP_2) | instskip(NEXT) | instid1(VALU_DEP_2)
	v_readfirstlane_b32 s12, v2
	v_readfirstlane_b32 s17, v1
	s_delay_alu instid0(VALU_DEP_2) | instskip(NEXT) | instid1(VALU_DEP_1)
	s_mul_i32 s21, s18, s12
	s_mul_hi_u32 s23, s18, s17
	s_mul_i32 s22, s19, s17
	s_add_i32 s21, s23, s21
	s_mul_i32 s24, s18, s17
	s_add_i32 s21, s21, s22
	s_mul_hi_u32 s23, s17, s24
	s_mul_hi_u32 s25, s12, s24
	s_mul_i32 s22, s12, s24
	s_mul_hi_u32 s24, s17, s21
	s_mul_i32 s17, s17, s21
	s_mul_hi_u32 s26, s12, s21
	s_add_u32 s17, s23, s17
	s_addc_u32 s23, 0, s24
	s_add_u32 s17, s17, s22
	s_mul_i32 s21, s12, s21
	s_addc_u32 s17, s23, s25
	s_addc_u32 s22, s26, 0
	s_add_u32 s17, s17, s21
	s_addc_u32 s21, 0, s22
	v_add_co_u32 v1, s17, v1, s17
	s_delay_alu instid0(VALU_DEP_1) | instskip(SKIP_1) | instid1(VALU_DEP_1)
	s_cmp_lg_u32 s17, 0
	s_addc_u32 s12, s12, s21
	v_readfirstlane_b32 s17, v1
	s_mul_i32 s21, s18, s12
	s_delay_alu instid0(VALU_DEP_1)
	s_mul_hi_u32 s22, s18, s17
	s_mul_i32 s19, s19, s17
	s_add_i32 s21, s22, s21
	s_mul_i32 s18, s18, s17
	s_add_i32 s21, s21, s19
	s_mul_hi_u32 s22, s12, s18
	s_mul_i32 s23, s12, s18
	s_mul_hi_u32 s18, s17, s18
	s_mul_hi_u32 s24, s17, s21
	s_mul_i32 s17, s17, s21
	s_mul_hi_u32 s19, s12, s21
	s_add_u32 s17, s18, s17
	s_addc_u32 s18, 0, s24
	s_add_u32 s17, s17, s23
	s_mul_i32 s21, s12, s21
	s_addc_u32 s17, s18, s22
	s_addc_u32 s18, s19, 0
	s_add_u32 s17, s17, s21
	s_addc_u32 s18, 0, s18
	v_add_co_u32 v1, s17, v1, s17
	s_delay_alu instid0(VALU_DEP_1) | instskip(SKIP_2) | instid1(SALU_CYCLE_1)
	s_cmp_lg_u32 s17, 0
	s_addc_u32 s12, s12, s18
	s_ashr_i32 s18, s3, 31
	s_add_u32 s22, s11, s18
	s_addc_u32 s23, s3, s18
	v_readfirstlane_b32 s3, v1
	s_mov_b32 s19, s18
	s_delay_alu instid0(SALU_CYCLE_1) | instskip(NEXT) | instid1(SALU_CYCLE_1)
	s_xor_b64 s[22:23], s[22:23], s[18:19]
	s_mul_i32 s21, s22, s12
	s_delay_alu instid0(VALU_DEP_1)
	s_mul_hi_u32 s24, s22, s3
	s_mul_hi_u32 s17, s22, s12
	;; [unrolled: 1-line block ×3, first 2 shown]
	s_mul_i32 s3, s23, s3
	s_add_u32 s21, s24, s21
	s_addc_u32 s17, 0, s17
	s_mul_hi_u32 s25, s23, s12
	s_add_u32 s3, s21, s3
	s_mul_i32 s12, s23, s12
	s_addc_u32 s3, s17, s26
	s_addc_u32 s17, s25, 0
	s_add_u32 s3, s3, s12
	s_addc_u32 s12, 0, s17
	s_mul_i32 s21, s20, s3
	s_add_u32 s17, s3, 1
	v_sub_co_u32 v1, s21, s22, s21
	s_mul_hi_u32 s22, s20, s3
	s_addc_u32 s24, s12, 0
	s_mul_i32 s25, s20, s12
	s_delay_alu instid0(VALU_DEP_1)
	v_sub_co_u32 v2, s26, v1, s20
	s_add_u32 s27, s3, 2
	s_addc_u32 s28, s12, 0
	s_add_i32 s22, s22, s25
	s_cmp_lg_u32 s21, 0
	v_readfirstlane_b32 s21, v2
	s_subb_u32 s22, s23, s22
	s_cmp_lg_u32 s26, 0
	s_subb_u32 s23, s22, 0
	s_delay_alu instid0(VALU_DEP_1) | instskip(SKIP_4) | instid1(SALU_CYCLE_1)
	s_cmp_ge_u32 s21, s20
	s_cselect_b32 s21, -1, 0
	s_cmp_eq_u32 s23, 0
	v_readfirstlane_b32 s23, v1
	s_cselect_b32 s21, s21, -1
	s_cmp_lg_u32 s21, 0
	s_cselect_b32 s17, s27, s17
	s_cselect_b32 s21, s28, s24
	s_cmp_ge_u32 s23, s20
	s_cselect_b32 s23, -1, 0
	s_cmp_eq_u32 s22, 0
	s_cselect_b32 s22, s23, -1
	s_delay_alu instid0(SALU_CYCLE_1) | instskip(SKIP_2) | instid1(SALU_CYCLE_1)
	s_cmp_lg_u32 s22, 0
	s_cselect_b32 s23, s21, s12
	s_cselect_b32 s22, s17, s3
	s_xor_b64 s[22:23], s[22:23], s[18:19]
	s_delay_alu instid0(SALU_CYCLE_1)
	s_sub_u32 s18, s22, s18
	s_and_not1_b32 vcc_lo, exec_lo, s2
	s_cbranch_vccnz .LBB3_6
.LBB3_5:
	v_cvt_f32_u32_e32 v1, s20
	s_sub_i32 s3, 0, s20
	s_delay_alu instid0(VALU_DEP_1) | instskip(SKIP_2) | instid1(VALU_DEP_1)
	v_rcp_iflag_f32_e32 v1, v1
	s_waitcnt_depctr 0xfff
	v_mul_f32_e32 v1, 0x4f7ffffe, v1
	v_cvt_u32_f32_e32 v1, v1
	s_delay_alu instid0(VALU_DEP_1) | instskip(NEXT) | instid1(VALU_DEP_1)
	v_readfirstlane_b32 s2, v1
	s_mul_i32 s3, s3, s2
	s_delay_alu instid0(SALU_CYCLE_1) | instskip(NEXT) | instid1(SALU_CYCLE_1)
	s_mul_hi_u32 s3, s2, s3
	s_add_i32 s2, s2, s3
	s_delay_alu instid0(SALU_CYCLE_1) | instskip(NEXT) | instid1(SALU_CYCLE_1)
	s_mul_hi_u32 s2, s11, s2
	s_mul_i32 s3, s2, s20
	s_delay_alu instid0(SALU_CYCLE_1)
	s_sub_i32 s3, s11, s3
	s_add_i32 s11, s2, 1
	s_sub_i32 s12, s3, s20
	s_cmp_ge_u32 s3, s20
	s_cselect_b32 s2, s11, s2
	s_cselect_b32 s3, s12, s3
	s_add_i32 s11, s2, 1
	s_cmp_ge_u32 s3, s20
	s_cselect_b32 s18, s11, s2
.LBB3_6:
	s_delay_alu instid0(SALU_CYCLE_1) | instskip(SKIP_3) | instid1(SALU_CYCLE_1)
	s_cmp_eq_u32 s16, s18
	s_mul_hi_u32 s2, s16, s8
	s_cselect_b32 s3, -1, 0
	s_add_i32 s2, s2, s16
	s_lshr_b32 s11, s2, s9
	s_delay_alu instid0(SALU_CYCLE_1) | instskip(NEXT) | instid1(SALU_CYCLE_1)
	s_mul_i32 s2, s11, s10
	s_cmp_eq_u32 s2, s16
	s_mul_hi_u32 s2, s18, s8
	s_cselect_b32 s12, -1, 0
	s_add_i32 s2, s2, s18
	s_delay_alu instid0(SALU_CYCLE_1) | instskip(NEXT) | instid1(SALU_CYCLE_1)
	s_lshr_b32 s2, s2, s9
	s_cmp_eq_u32 s11, s2
	s_mul_i32 s2, s2, s10
	s_cselect_b32 s17, -1, 0
	s_cmp_lg_u32 s2, s18
	s_cselect_b32 s2, -1, 0
	s_or_b32 s3, s3, s12
	s_and_b32 s2, s17, s2
	s_delay_alu instid0(SALU_CYCLE_1) | instskip(NEXT) | instid1(SALU_CYCLE_1)
	s_or_b32 s2, s3, s2
	s_and_b32 vcc_lo, exec_lo, s2
	s_cbranch_vccnz .LBB3_24
; %bb.7:
	s_load_b256 s[24:31], s[0:1], 0x20
	s_waitcnt lgkmcnt(0)
	s_mul_hi_u32 s2, s16, s24
	s_delay_alu instid0(SALU_CYCLE_1) | instskip(NEXT) | instid1(SALU_CYCLE_1)
	s_add_i32 s2, s2, s16
	s_lshr_b32 s17, s2, s25
	s_load_b32 s2, s[0:1], 0x40
	s_mul_i32 s3, s17, s26
	s_delay_alu instid0(SALU_CYCLE_1) | instskip(NEXT) | instid1(SALU_CYCLE_1)
	s_sub_i32 s3, s16, s3
	s_mul_hi_u32 s12, s3, s27
	s_delay_alu instid0(SALU_CYCLE_1) | instskip(NEXT) | instid1(SALU_CYCLE_1)
	s_add_i32 s12, s3, s12
	s_lshr_b32 s19, s12, s28
	s_delay_alu instid0(SALU_CYCLE_1) | instskip(NEXT) | instid1(SALU_CYCLE_1)
	s_mul_i32 s12, s19, s29
	s_sub_i32 s3, s3, s12
	s_delay_alu instid0(SALU_CYCLE_1) | instskip(NEXT) | instid1(SALU_CYCLE_1)
	s_mul_hi_u32 s12, s3, s30
	s_add_i32 s12, s3, s12
	s_delay_alu instid0(SALU_CYCLE_1)
	s_lshr_b32 s12, s12, s31
	s_waitcnt lgkmcnt(0)
	s_mul_i32 s2, s12, s2
	s_lshl_b32 s21, s12, 3
	s_sub_i32 s2, s3, s2
	s_mov_b32 s12, 0
	s_mul_hi_u32 s3, s2, s8
	s_delay_alu instid0(SALU_CYCLE_1) | instskip(NEXT) | instid1(SALU_CYCLE_1)
	s_add_i32 s2, s2, s3
	s_lshr_b32 s18, s2, s9
	s_delay_alu instid0(SALU_CYCLE_1) | instskip(NEXT) | instid1(SALU_CYCLE_1)
	s_lshl_b32 s2, s18, 3
	s_add_i32 s2, s2, s14
	s_delay_alu instid0(SALU_CYCLE_1) | instskip(SKIP_2) | instid1(SALU_CYCLE_1)
	s_cmp_lt_i32 s2, s4
	s_cselect_b32 s2, -1, 0
	s_add_i32 s21, s21, s15
	s_cmp_lt_i32 s21, s6
	s_cselect_b32 s3, -1, 0
	s_delay_alu instid0(SALU_CYCLE_1) | instskip(NEXT) | instid1(SALU_CYCLE_1)
	s_and_b32 s2, s2, s3
	s_and_not1_b32 vcc_lo, exec_lo, s2
	s_cbranch_vccnz .LBB3_24
; %bb.8:
	s_load_b128 s[0:3], s[0:1], 0x0
	s_lshl_b32 s22, s20, 8
	s_mov_b32 s23, s12
	s_lshl_b32 s24, s14, 3
	s_lshl_b64 s[22:23], s[22:23], 2
	s_mul_i32 s19, s19, s6
	s_mul_i32 s4, s17, s4
	s_add_i32 s6, s24, s15
	v_cvt_f32_ubyte0_e32 v3, 0
	v_cvt_f32_u32_e32 v4, s20
	s_waitcnt lgkmcnt(0)
	s_add_u32 s15, s2, s22
	s_addc_u32 s17, s3, s23
	s_add_i32 s4, s4, s14
	s_add_i32 s14, s21, s19
	s_mul_i32 s4, s4, s5
	s_mul_i32 s5, s5, s18
	s_add_i32 s4, s14, s4
	s_mulk_i32 s5, 0x280
	s_mulk_i32 s4, 0x50
	s_delay_alu instid0(SALU_CYCLE_1) | instskip(NEXT) | instid1(VALU_DEP_1)
	v_add3_u32 v1, s5, s4, v0
	v_ashrrev_i32_e32 v2, 31, v1
	s_delay_alu instid0(VALU_DEP_1) | instskip(NEXT) | instid1(VALU_DEP_1)
	v_lshlrev_b64 v[1:2], 2, v[1:2]
	v_add_co_u32 v1, vcc_lo, s0, v1
	s_delay_alu instid0(VALU_DEP_2) | instskip(SKIP_1) | instid1(SALU_CYCLE_1)
	v_add_co_ci_u32_e32 v2, vcc_lo, s1, v2, vcc_lo
	s_lshl_b32 s0, s13, 6
	s_add_i32 s0, s6, s0
	global_load_b32 v5, v[1:2], off
	s_ashr_i32 s1, s0, 31
	s_delay_alu instid0(SALU_CYCLE_1) | instskip(NEXT) | instid1(SALU_CYCLE_1)
	s_lshl_b64 s[0:1], s[0:1], 3
	s_add_u32 s0, s2, s0
	s_addc_u32 s1, s3, s1
	s_add_i32 s18, s13, -1
	s_load_b64 s[0:1], s[0:1], 0x0
	v_fmac_f32_e32 v4, 0x4f800000, v3
	s_sub_i32 s14, 0, s20
	s_delay_alu instid0(VALU_DEP_1)
	v_rcp_f32_e32 v3, v4
	s_waitcnt_depctr 0xfff
	v_mul_f32_e32 v6, 0x5f7ffffc, v3
	v_cvt_f32_u32_e32 v3, s20
	s_waitcnt lgkmcnt(0)
	v_mov_b32_e32 v8, s0
	s_delay_alu instid0(VALU_DEP_3) | instskip(NEXT) | instid1(VALU_DEP_3)
	v_mul_f32_e32 v4, 0x2f800000, v6
	v_rcp_iflag_f32_e32 v7, v3
	s_delay_alu instid0(VALU_DEP_1) | instskip(SKIP_1) | instid1(VALU_DEP_2)
	v_trunc_f32_e32 v9, v4
	v_mad_u64_u32 v[3:4], null, 0x50, s6, v[0:1]
	v_fmac_f32_e32 v6, 0xcf800000, v9
	s_waitcnt_depctr 0xfff
	v_dual_mul_f32 v10, 0x4f7ffffe, v7 :: v_dual_mov_b32 v7, s1
	v_cvt_u32_f32_e32 v4, v9
	v_cvt_u32_f32_e32 v0, v6
	s_delay_alu instid0(VALU_DEP_3)
	v_cvt_u32_f32_e32 v6, v10
.LBB3_9:                                ; =>This Inner Loop Header: Depth=1
	s_mul_hi_i32 s13, s18, s7
	s_mul_i32 s4, s18, s7
	s_cmp_lg_u64 s[12:13], 0
	s_mov_b32 s5, -1
                                        ; implicit-def: $sgpr0_sgpr1
	s_cbranch_scc0 .LBB3_11
; %bb.10:                               ;   in Loop: Header=BB3_9 Depth=1
	v_readfirstlane_b32 s0, v0
	v_readfirstlane_b32 s1, v4
	s_sub_u32 s5, 0, s20
	s_subb_u32 s19, 0, 0
	s_delay_alu instid0(VALU_DEP_2) | instskip(NEXT) | instid1(VALU_DEP_1)
	s_mul_hi_u32 s21, s5, s0
	s_mul_i32 s22, s5, s1
	s_mul_i32 s23, s19, s0
	s_add_i32 s21, s21, s22
	s_mul_i32 s22, s5, s0
	s_add_i32 s21, s21, s23
	s_mul_hi_u32 s23, s0, s22
	s_mul_i32 s24, s0, s21
	s_mul_hi_u32 s0, s0, s21
	s_add_u32 s23, s23, s24
	s_mul_i32 s25, s1, s22
	s_addc_u32 s0, 0, s0
	s_mul_hi_u32 s22, s1, s22
	s_mul_hi_u32 s24, s1, s21
	s_add_u32 s23, s23, s25
	s_addc_u32 s0, s0, s22
	s_mul_i32 s21, s1, s21
	s_addc_u32 s22, s24, 0
	s_add_u32 s0, s0, s21
	s_addc_u32 s21, 0, s22
	v_add_co_u32 v9, s0, v0, s0
	s_delay_alu instid0(VALU_DEP_1) | instskip(SKIP_1) | instid1(VALU_DEP_1)
	s_cmp_lg_u32 s0, 0
	s_addc_u32 s1, s1, s21
	v_readfirstlane_b32 s0, v9
	s_mul_i32 s21, s5, s1
	s_delay_alu instid0(VALU_DEP_1)
	s_mul_hi_u32 s22, s5, s0
	s_mul_i32 s19, s19, s0
	s_add_i32 s21, s22, s21
	s_mul_i32 s5, s5, s0
	s_add_i32 s21, s21, s19
	s_mul_hi_u32 s19, s1, s5
	s_mul_i32 s23, s1, s5
	s_mul_i32 s24, s0, s21
	s_mul_hi_u32 s5, s0, s5
	s_mul_hi_u32 s0, s0, s21
	s_add_u32 s5, s5, s24
	s_addc_u32 s0, 0, s0
	s_mul_hi_u32 s22, s1, s21
	s_add_u32 s5, s5, s23
	s_addc_u32 s0, s0, s19
	s_mul_i32 s5, s1, s21
	s_addc_u32 s19, s22, 0
	s_add_u32 s0, s0, s5
	s_addc_u32 s5, 0, s19
	v_add_co_u32 v9, s0, v9, s0
	s_delay_alu instid0(VALU_DEP_1) | instskip(SKIP_2) | instid1(SALU_CYCLE_1)
	s_cmp_lg_u32 s0, 0
	s_addc_u32 s5, s1, s5
	s_ashr_i32 s0, s13, 31
	s_add_u32 s22, s4, s0
	s_addc_u32 s23, s13, s0
	v_readfirstlane_b32 s13, v9
	s_mov_b32 s1, s0
	s_delay_alu instid0(SALU_CYCLE_1) | instskip(NEXT) | instid1(SALU_CYCLE_1)
	s_xor_b64 s[22:23], s[22:23], s[0:1]
	s_mul_i32 s19, s22, s5
	s_delay_alu instid0(VALU_DEP_1)
	s_mul_hi_u32 s21, s22, s13
	s_mul_hi_u32 s24, s22, s5
	s_add_u32 s19, s21, s19
	s_mul_i32 s25, s23, s13
	s_addc_u32 s21, 0, s24
	s_mul_hi_u32 s13, s23, s13
	s_mul_hi_u32 s24, s23, s5
	s_add_u32 s19, s19, s25
	s_addc_u32 s13, s21, s13
	s_mul_i32 s5, s23, s5
	s_addc_u32 s19, s24, 0
	s_add_u32 s5, s13, s5
	s_addc_u32 s13, 0, s19
	s_mul_i32 s21, s20, s5
	s_add_u32 s19, s5, 1
	v_sub_co_u32 v9, s21, s22, s21
	s_addc_u32 s22, s13, 0
	s_mul_i32 s25, s20, s13
	s_mul_hi_u32 s27, s20, s5
	s_delay_alu instid0(VALU_DEP_1)
	v_sub_co_u32 v10, s26, v9, s20
	s_add_u32 s24, s5, 2
	s_addc_u32 s28, s13, 0
	s_add_i32 s27, s27, s25
	s_cmp_lg_u32 s21, 0
	v_readfirstlane_b32 s21, v10
	s_subb_u32 s23, s23, s27
	s_cmp_lg_u32 s26, 0
	s_subb_u32 s25, s23, 0
	s_delay_alu instid0(VALU_DEP_1) | instskip(SKIP_4) | instid1(SALU_CYCLE_1)
	s_cmp_ge_u32 s21, s20
	s_cselect_b32 s21, -1, 0
	s_cmp_eq_u32 s25, 0
	v_readfirstlane_b32 s25, v9
	s_cselect_b32 s21, s21, -1
	s_cmp_lg_u32 s21, 0
	s_cselect_b32 s19, s24, s19
	s_cselect_b32 s21, s28, s22
	s_cmp_ge_u32 s25, s20
	s_cselect_b32 s22, -1, 0
	s_cmp_eq_u32 s23, 0
	s_cselect_b32 s22, s22, -1
	s_delay_alu instid0(SALU_CYCLE_1) | instskip(SKIP_4) | instid1(SALU_CYCLE_1)
	s_cmp_lg_u32 s22, 0
	s_cselect_b32 s23, s21, s13
	s_cselect_b32 s22, s19, s5
	s_mov_b32 s5, 0
	s_xor_b64 s[22:23], s[22:23], s[0:1]
	s_sub_u32 s0, s22, s0
.LBB3_11:                               ;   in Loop: Header=BB3_9 Depth=1
	s_and_not1_b32 vcc_lo, exec_lo, s5
	s_cbranch_vccnz .LBB3_13
; %bb.12:                               ;   in Loop: Header=BB3_9 Depth=1
	v_readfirstlane_b32 s0, v6
	s_delay_alu instid0(VALU_DEP_1) | instskip(NEXT) | instid1(SALU_CYCLE_1)
	s_mul_i32 s1, s14, s0
	s_mul_hi_u32 s1, s0, s1
	s_delay_alu instid0(SALU_CYCLE_1) | instskip(NEXT) | instid1(SALU_CYCLE_1)
	s_add_i32 s0, s0, s1
	s_mul_hi_u32 s0, s4, s0
	s_delay_alu instid0(SALU_CYCLE_1) | instskip(NEXT) | instid1(SALU_CYCLE_1)
	s_mul_i32 s1, s0, s20
	s_sub_i32 s1, s4, s1
	s_add_i32 s4, s0, 1
	s_sub_i32 s5, s1, s20
	s_cmp_ge_u32 s1, s20
	s_cselect_b32 s0, s4, s0
	s_cselect_b32 s1, s5, s1
	s_add_i32 s4, s0, 1
	s_cmp_ge_u32 s1, s20
	s_cselect_b32 s0, s4, s0
.LBB3_13:                               ;   in Loop: Header=BB3_9 Depth=1
	s_delay_alu instid0(SALU_CYCLE_1)
	s_cmp_lg_u32 s16, s0
	s_cbranch_scc0 .LBB3_17
; %bb.14:                               ;   in Loop: Header=BB3_9 Depth=1
	s_add_i32 s1, s18, s20
	s_mov_b32 s5, s12
	s_lshl_b32 s1, s1, 6
	s_mov_b32 s19, s16
	s_add_i32 s4, s1, s6
	s_mul_hi_u32 s1, s0, s8
	s_lshl_b64 s[4:5], s[4:5], 3
	s_delay_alu instid0(SALU_CYCLE_1) | instskip(SKIP_2) | instid1(SALU_CYCLE_1)
	s_add_u32 s4, s2, s4
	s_addc_u32 s5, s3, s5
	s_add_i32 s1, s1, s0
	s_lshr_b32 s1, s1, s9
	s_delay_alu instid0(SALU_CYCLE_1) | instskip(NEXT) | instid1(SALU_CYCLE_1)
	s_mul_i32 s13, s1, s10
	s_cmp_eq_u32 s13, s0
	s_cselect_b32 s13, -1, 0
	s_cmp_lt_u32 s1, s11
	s_cselect_b32 s1, -1, 0
	s_delay_alu instid0(SALU_CYCLE_1)
	s_or_b32 s1, s1, s13
	s_mov_b32 s13, -1
	s_and_b32 vcc_lo, exec_lo, s1
	s_mov_b32 s1, s18
	s_cbranch_vccnz .LBB3_16
; %bb.15:                               ;   in Loop: Header=BB3_9 Depth=1
	s_add_i32 s1, s18, -1
	s_mov_b32 s13, 0
	s_mov_b32 s19, s0
.LBB3_16:                               ;   in Loop: Header=BB3_9 Depth=1
	v_mad_u64_u32 v[9:10], null, 0x1400, s18, v[3:4]
	s_load_b64 s[4:5], s[4:5], 0x0
	s_delay_alu instid0(VALU_DEP_1) | instskip(NEXT) | instid1(VALU_DEP_1)
	v_ashrrev_i32_e32 v10, 31, v9
	v_lshlrev_b64 v[9:10], 2, v[9:10]
	s_delay_alu instid0(VALU_DEP_1) | instskip(NEXT) | instid1(VALU_DEP_2)
	v_add_co_u32 v9, vcc_lo, s15, v9
	v_add_co_ci_u32_e32 v10, vcc_lo, s17, v10, vcc_lo
	s_waitcnt lgkmcnt(0)
	v_max_f32_e64 v11, s4, s4
	global_load_b32 v10, v[9:10], off
	v_max_f32_e32 v9, v8, v8
	s_delay_alu instid0(VALU_DEP_1) | instskip(NEXT) | instid1(VALU_DEP_1)
	v_max_f32_e32 v9, v9, v11
	v_sub_f32_e32 v12, v8, v9
	s_delay_alu instid0(VALU_DEP_1) | instskip(NEXT) | instid1(VALU_DEP_1)
	v_dual_mul_f32 v14, 0x3fb8aa3b, v12 :: v_dual_sub_f32 v11, s4, v9
	v_rndne_f32_e32 v18, v14
	s_delay_alu instid0(VALU_DEP_2) | instskip(SKIP_2) | instid1(VALU_DEP_4)
	v_mul_f32_e32 v13, 0x3fb8aa3b, v11
	v_fma_f32 v17, 0x3fb8aa3b, v12, -v14
	v_cmp_ngt_f32_e32 vcc_lo, 0xc2ce8ed0, v11
	v_sub_f32_e32 v14, v14, v18
	s_delay_alu instid0(VALU_DEP_4) | instskip(SKIP_2) | instid1(VALU_DEP_3)
	v_fma_f32 v15, 0x3fb8aa3b, v11, -v13
	v_rndne_f32_e32 v16, v13
	v_fmac_f32_e32 v17, 0x32a5705f, v12
	v_fmac_f32_e32 v15, 0x32a5705f, v11
	s_delay_alu instid0(VALU_DEP_2) | instskip(NEXT) | instid1(VALU_DEP_1)
	v_dual_sub_f32 v13, v13, v16 :: v_dual_add_f32 v14, v14, v17
	v_add_f32_e32 v13, v13, v15
	s_delay_alu instid0(VALU_DEP_2) | instskip(SKIP_2) | instid1(VALU_DEP_3)
	v_exp_f32_e32 v14, v14
	v_cvt_i32_f32_e32 v15, v16
	v_cvt_i32_f32_e32 v16, v18
	v_exp_f32_e32 v13, v13
	s_waitcnt_depctr 0xfff
	v_ldexp_f32 v14, v14, v16
	v_ldexp_f32 v13, v13, v15
	s_delay_alu instid0(VALU_DEP_1) | instskip(SKIP_1) | instid1(VALU_DEP_4)
	v_cndmask_b32_e32 v13, 0, v13, vcc_lo
	v_cmp_ngt_f32_e32 vcc_lo, 0xc2ce8ed0, v12
	v_cndmask_b32_e32 v14, 0, v14, vcc_lo
	v_cmp_nlt_f32_e32 vcc_lo, 0x42b17218, v11
	s_delay_alu instid0(VALU_DEP_4) | instskip(SKIP_1) | instid1(VALU_DEP_4)
	v_cndmask_b32_e32 v13, 0x7f800000, v13, vcc_lo
	v_cmp_nlt_f32_e32 vcc_lo, 0x42b17218, v12
	v_cndmask_b32_e32 v14, 0x7f800000, v14, vcc_lo
	v_cmp_le_f32_e32 vcc_lo, 0xc1a00000, v11
	s_delay_alu instid0(VALU_DEP_4) | instskip(SKIP_1) | instid1(VALU_DEP_4)
	v_cndmask_b32_e32 v11, 0, v13, vcc_lo
	v_cmp_le_f32_e32 vcc_lo, 0xc1a00000, v12
	v_cndmask_b32_e32 v12, 0, v14, vcc_lo
	s_waitcnt vmcnt(0)
	s_delay_alu instid0(VALU_DEP_3) | instskip(NEXT) | instid1(VALU_DEP_1)
	v_mul_f32_e32 v10, v10, v11
	v_dual_mul_f32 v11, s5, v11 :: v_dual_fmac_f32 v10, v5, v12
	s_delay_alu instid0(VALU_DEP_1)
	v_fmac_f32_e32 v11, v7, v12
	s_cbranch_execz .LBB3_18
	s_branch .LBB3_19
.LBB3_17:                               ;   in Loop: Header=BB3_9 Depth=1
                                        ; implicit-def: $sgpr13
                                        ; implicit-def: $vgpr10
                                        ; implicit-def: $vgpr9
                                        ; implicit-def: $vgpr11
                                        ; implicit-def: $sgpr1
                                        ; implicit-def: $sgpr19
.LBB3_18:                               ;   in Loop: Header=BB3_9 Depth=1
	s_waitcnt vmcnt(0)
	v_dual_mov_b32 v11, v7 :: v_dual_mov_b32 v10, v5
	v_mov_b32_e32 v9, v8
	s_add_i32 s1, s18, -1
	s_mov_b32 s13, 0
	s_mov_b32 s19, s16
.LBB3_19:                               ;   in Loop: Header=BB3_9 Depth=1
	s_and_not1_b32 vcc_lo, exec_lo, s13
	s_cbranch_vccz .LBB3_23
; %bb.20:                               ;   in Loop: Header=BB3_9 Depth=1
	v_dual_mov_b32 v7, v11 :: v_dual_mov_b32 v8, v9
	s_waitcnt vmcnt(0)
	v_mov_b32_e32 v5, v10
	s_mov_b32 s16, s19
	s_mov_b32 s18, s1
	s_branch .LBB3_9
.LBB3_21:
                                        ; implicit-def: $sgpr16_sgpr17
	s_load_b128 s[8:11], s[0:1], 0x44
	s_branch .LBB3_2
.LBB3_22:
                                        ; implicit-def: $sgpr18_sgpr19
	s_branch .LBB3_5
.LBB3_23:
	v_div_scale_f32 v0, null, v11, v11, v10
	s_delay_alu instid0(VALU_DEP_1) | instskip(SKIP_2) | instid1(VALU_DEP_1)
	v_rcp_f32_e32 v3, v0
	s_waitcnt_depctr 0xfff
	v_fma_f32 v4, -v0, v3, 1.0
	v_fmac_f32_e32 v3, v4, v3
	v_div_scale_f32 v4, vcc_lo, v10, v11, v10
	s_waitcnt vmcnt(0)
	s_delay_alu instid0(VALU_DEP_1) | instskip(NEXT) | instid1(VALU_DEP_1)
	v_mul_f32_e32 v5, v4, v3
	v_fma_f32 v6, -v0, v5, v4
	s_delay_alu instid0(VALU_DEP_1) | instskip(NEXT) | instid1(VALU_DEP_1)
	v_fmac_f32_e32 v5, v6, v3
	v_fma_f32 v0, -v0, v5, v4
	s_delay_alu instid0(VALU_DEP_1) | instskip(NEXT) | instid1(VALU_DEP_1)
	v_div_fmas_f32 v0, v0, v3, v5
	v_div_fixup_f32 v0, v0, v11, v10
	global_store_b32 v[1:2], v0, off
.LBB3_24:
	s_nop 0
	s_sendmsg sendmsg(MSG_DEALLOC_VGPRS)
	s_endpgm
	.section	.rodata,"a",@progbits
	.p2align	6, 0x0
	.amdhsa_kernel _ZL33flash_attn_stream_k_fixup_generalILi80ELi8ELi8EEvPfPK15HIP_vector_typeIfLj2EEiiiiS1_IjLj3EES5_S5_S5_
		.amdhsa_group_segment_fixed_size 0
		.amdhsa_private_segment_fixed_size 0
		.amdhsa_kernarg_size 336
		.amdhsa_user_sgpr_count 13
		.amdhsa_user_sgpr_dispatch_ptr 0
		.amdhsa_user_sgpr_queue_ptr 0
		.amdhsa_user_sgpr_kernarg_segment_ptr 1
		.amdhsa_user_sgpr_dispatch_id 0
		.amdhsa_user_sgpr_private_segment_size 0
		.amdhsa_wavefront_size32 1
		.amdhsa_uses_dynamic_stack 0
		.amdhsa_enable_private_segment 0
		.amdhsa_system_sgpr_workgroup_id_x 1
		.amdhsa_system_sgpr_workgroup_id_y 1
		.amdhsa_system_sgpr_workgroup_id_z 1
		.amdhsa_system_sgpr_workgroup_info 0
		.amdhsa_system_vgpr_workitem_id 0
		.amdhsa_next_free_vgpr 19
		.amdhsa_next_free_sgpr 32
		.amdhsa_reserve_vcc 1
		.amdhsa_float_round_mode_32 0
		.amdhsa_float_round_mode_16_64 0
		.amdhsa_float_denorm_mode_32 3
		.amdhsa_float_denorm_mode_16_64 3
		.amdhsa_dx10_clamp 1
		.amdhsa_ieee_mode 1
		.amdhsa_fp16_overflow 0
		.amdhsa_workgroup_processor_mode 1
		.amdhsa_memory_ordered 1
		.amdhsa_forward_progress 0
		.amdhsa_shared_vgpr_count 0
		.amdhsa_exception_fp_ieee_invalid_op 0
		.amdhsa_exception_fp_denorm_src 0
		.amdhsa_exception_fp_ieee_div_zero 0
		.amdhsa_exception_fp_ieee_overflow 0
		.amdhsa_exception_fp_ieee_underflow 0
		.amdhsa_exception_fp_ieee_inexact 0
		.amdhsa_exception_int_div_zero 0
	.end_amdhsa_kernel
	.section	.text._ZL33flash_attn_stream_k_fixup_generalILi80ELi8ELi8EEvPfPK15HIP_vector_typeIfLj2EEiiiiS1_IjLj3EES5_S5_S5_,"axG",@progbits,_ZL33flash_attn_stream_k_fixup_generalILi80ELi8ELi8EEvPfPK15HIP_vector_typeIfLj2EEiiiiS1_IjLj3EES5_S5_S5_,comdat
.Lfunc_end3:
	.size	_ZL33flash_attn_stream_k_fixup_generalILi80ELi8ELi8EEvPfPK15HIP_vector_typeIfLj2EEiiiiS1_IjLj3EES5_S5_S5_, .Lfunc_end3-_ZL33flash_attn_stream_k_fixup_generalILi80ELi8ELi8EEvPfPK15HIP_vector_typeIfLj2EEiiiiS1_IjLj3EES5_S5_S5_
                                        ; -- End function
	.section	.AMDGPU.csdata,"",@progbits
; Kernel info:
; codeLenInByte = 3224
; NumSgprs: 34
; NumVgprs: 19
; ScratchSize: 0
; MemoryBound: 0
; FloatMode: 240
; IeeeMode: 1
; LDSByteSize: 0 bytes/workgroup (compile time only)
; SGPRBlocks: 4
; VGPRBlocks: 2
; NumSGPRsForWavesPerEU: 34
; NumVGPRsForWavesPerEU: 19
; Occupancy: 16
; WaveLimiterHint : 0
; COMPUTE_PGM_RSRC2:SCRATCH_EN: 0
; COMPUTE_PGM_RSRC2:USER_SGPR: 13
; COMPUTE_PGM_RSRC2:TRAP_HANDLER: 0
; COMPUTE_PGM_RSRC2:TGID_X_EN: 1
; COMPUTE_PGM_RSRC2:TGID_Y_EN: 1
; COMPUTE_PGM_RSRC2:TGID_Z_EN: 1
; COMPUTE_PGM_RSRC2:TIDIG_COMP_CNT: 0
	.section	.text._ZL26flash_attn_combine_resultsILi80EEvPKfPK15HIP_vector_typeIfLj2EEPfi,"axG",@progbits,_ZL26flash_attn_combine_resultsILi80EEvPKfPK15HIP_vector_typeIfLj2EEPfi,comdat
	.globl	_ZL26flash_attn_combine_resultsILi80EEvPKfPK15HIP_vector_typeIfLj2EEPfi ; -- Begin function _ZL26flash_attn_combine_resultsILi80EEvPKfPK15HIP_vector_typeIfLj2EEPfi
	.p2align	8
	.type	_ZL26flash_attn_combine_resultsILi80EEvPKfPK15HIP_vector_typeIfLj2EEPfi,@function
_ZL26flash_attn_combine_resultsILi80EEvPKfPK15HIP_vector_typeIfLj2EEPfi: ; @_ZL26flash_attn_combine_resultsILi80EEvPKfPK15HIP_vector_typeIfLj2EEPfi
; %bb.0:
	s_clause 0x3
	s_load_b64 s[2:3], s[0:1], 0x20
	s_load_b32 s12, s[0:1], 0x18
	s_load_b128 s[8:11], s[0:1], 0x0
	s_load_b64 s[16:17], s[0:1], 0x10
	v_lshlrev_b32_e32 v7, 2, v0
	s_mov_b32 s4, exec_lo
	s_waitcnt lgkmcnt(0)
	s_mul_i32 s0, s2, s15
	s_lshl_b32 s1, s12, 1
	s_add_i32 s0, s0, s13
	s_delay_alu instid0(SALU_CYCLE_1) | instskip(NEXT) | instid1(SALU_CYCLE_1)
	s_mul_i32 s7, s0, s3
	s_add_i32 s7, s7, s14
	s_delay_alu instid0(SALU_CYCLE_1)
	s_mul_i32 s2, s7, s12
	v_cmpx_gt_i32_e64 s1, v0
	s_cbranch_execz .LBB4_3
; %bb.1:
	s_ashr_i32 s3, s2, 31
	v_dual_mov_b32 v4, v0 :: v_dual_add_nc_u32 v3, 0, v7
	s_lshl_b64 s[14:15], s[2:3], 3
	s_delay_alu instid0(SALU_CYCLE_1) | instskip(SKIP_2) | instid1(VALU_DEP_1)
	s_add_u32 s0, s10, s14
	s_addc_u32 s3, s11, s15
	v_add_co_u32 v1, s0, s0, v7
	v_add_co_ci_u32_e64 v2, null, s3, 0, s0
	s_mov_b32 s3, 0
	.p2align	6
.LBB4_2:                                ; =>This Inner Loop Header: Depth=1
	global_load_b32 v5, v[1:2], off
	v_add_nc_u32_e32 v4, 0x50, v4
	v_add_co_u32 v1, vcc_lo, 0x140, v1
	v_add_co_ci_u32_e32 v2, vcc_lo, 0, v2, vcc_lo
	s_delay_alu instid0(VALU_DEP_3) | instskip(NEXT) | instid1(VALU_DEP_1)
	v_cmp_le_i32_e64 s0, s1, v4
	s_or_b32 s3, s0, s3
	s_waitcnt vmcnt(0)
	ds_store_b32 v3, v5
	v_add_nc_u32_e32 v3, 0x140, v3
	s_and_not1_b32 exec_lo, exec_lo, s3
	s_cbranch_execnz .LBB4_2
.LBB4_3:
	s_or_b32 exec_lo, exec_lo, s4
	v_mov_b32_e32 v1, 0
	s_waitcnt lgkmcnt(0)
	s_barrier
	buffer_gl0_inv
	s_cmp_lt_i32 s12, 2
	ds_load_b32 v8, v1
	s_cbranch_scc1 .LBB4_11
; %bb.4:
	s_add_i32 s1, s12, -2
	s_add_i32 s0, s12, -1
	s_cmp_lt_u32 s1, 7
	s_cbranch_scc1 .LBB4_8
; %bb.5:
	s_mov_b32 s3, 0
	s_add_i32 s1, 0, 8
	s_and_b32 s4, s0, -8
	.p2align	6
.LBB4_6:                                ; =>This Inner Loop Header: Depth=1
	v_mov_b32_e32 v9, s1
	s_mov_b32 s5, s3
	s_add_i32 s3, s3, 8
	s_add_i32 s1, s1, 64
	s_cmp_eq_u32 s4, s3
	ds_load_2addr_b32 v[1:2], v9 offset1:2
	ds_load_2addr_b32 v[3:4], v9 offset0:4 offset1:6
	ds_load_2addr_b32 v[5:6], v9 offset0:8 offset1:10
	;; [unrolled: 1-line block ×3, first 2 shown]
	s_waitcnt lgkmcnt(3)
	v_max3_f32 v1, v8, v1, v2
	s_waitcnt lgkmcnt(2)
	s_delay_alu instid0(VALU_DEP_1) | instskip(SKIP_1) | instid1(VALU_DEP_1)
	v_max3_f32 v1, v1, v3, v4
	s_waitcnt lgkmcnt(1)
	v_max3_f32 v1, v1, v5, v6
	s_waitcnt lgkmcnt(0)
	s_delay_alu instid0(VALU_DEP_1)
	v_max3_f32 v8, v1, v9, v10
	s_cbranch_scc0 .LBB4_6
; %bb.7:
	s_add_i32 s1, s5, 9
	s_and_b32 s0, s0, 7
	s_delay_alu instid0(SALU_CYCLE_1)
	s_cmp_eq_u32 s0, 0
	s_cbranch_scc0 .LBB4_9
	s_branch .LBB4_11
.LBB4_8:
	s_mov_b32 s1, 1
	s_and_b32 s0, s0, 7
	s_delay_alu instid0(SALU_CYCLE_1)
	s_cmp_eq_u32 s0, 0
	s_cbranch_scc1 .LBB4_11
.LBB4_9:
	s_lshl_b32 s1, s1, 3
	s_delay_alu instid0(SALU_CYCLE_1)
	s_add_i32 s1, s1, 0
.LBB4_10:                               ; =>This Inner Loop Header: Depth=1
	s_waitcnt lgkmcnt(0)
	s_delay_alu instid0(VALU_DEP_1)
	v_dual_mov_b32 v1, s1 :: v_dual_max_f32 v2, v8, v8
	s_add_i32 s0, s0, -1
	s_add_i32 s1, s1, 8
	s_cmp_lg_u32 s0, 0
	ds_load_b32 v1, v1
	s_waitcnt lgkmcnt(0)
	v_max_f32_e32 v1, v1, v1
	s_delay_alu instid0(VALU_DEP_1)
	v_max_f32_e32 v8, v2, v1
	s_cbranch_scc1 .LBB4_10
.LBB4_11:
	s_cmp_lt_i32 s12, 1
	s_cbranch_scc1 .LBB4_16
; %bb.12:
	s_mul_i32 s10, s2, 0x50
	v_mov_b32_e32 v9, 0
	s_ashr_i32 s11, s10, 31
	s_cmp_lt_u32 s12, 8
	s_mov_b32 s14, 0
	s_cbranch_scc1 .LBB4_17
; %bb.13:
	s_lshl_b64 s[0:1], s[10:11], 2
	v_dual_mov_b32 v6, 0 :: v_dual_add_nc_u32 v3, 0x140, v0
	s_add_u32 s15, s8, s0
	s_addc_u32 s18, s9, s1
	v_add_co_u32 v1, s0, s15, v7
	s_delay_alu instid0(VALU_DEP_1) | instskip(SKIP_1) | instid1(VALU_DEP_3)
	v_add_co_ci_u32_e64 v2, null, s18, 0, s0
	v_dual_mov_b32 v10, 0 :: v_dual_mov_b32 v9, 0
	v_add_co_u32 v1, vcc_lo, 0x140, v1
	s_delay_alu instid0(VALU_DEP_3)
	v_add_co_ci_u32_e32 v2, vcc_lo, 0, v2, vcc_lo
	s_and_b32 s13, s12, 0x7ffffff8
	s_mov_b32 s19, 0
.LBB4_14:                               ; =>This Inner Loop Header: Depth=1
	v_dual_mov_b32 v4, v6 :: v_dual_add_nc_u32 v5, 0xfffffec0, v3
	s_clause 0x1
	global_load_b32 v27, v[1:2], off
	global_load_b32 v28, v[1:2], off offset:320
	s_add_i32 s19, s19, 8
	v_lshlrev_b64 v[11:12], 2, v[5:6]
	v_lshlrev_b64 v[13:14], 2, v[3:4]
	v_add_nc_u32_e32 v5, 0xffffffb0, v3
	s_delay_alu instid0(VALU_DEP_3) | instskip(NEXT) | instid1(VALU_DEP_4)
	v_add_co_u32 v11, vcc_lo, s15, v11
	v_add_co_ci_u32_e32 v12, vcc_lo, s18, v12, vcc_lo
	s_delay_alu instid0(VALU_DEP_3)
	v_lshlrev_b64 v[15:16], 2, v[5:6]
	v_add_co_u32 v13, vcc_lo, s15, v13
	global_load_b32 v29, v[11:12], off
	v_add_nc_u32_e32 v5, 0x50, v3
	v_add_co_ci_u32_e32 v14, vcc_lo, s18, v14, vcc_lo
	v_add_co_u32 v15, vcc_lo, s15, v15
	v_add_co_ci_u32_e32 v16, vcc_lo, s18, v16, vcc_lo
	global_load_b32 v31, v[13:14], off
	v_lshlrev_b64 v[11:12], 2, v[5:6]
	v_add_nc_u32_e32 v5, 0xa0, v3
	global_load_b32 v30, v[15:16], off
	v_lshlrev_b64 v[17:18], 2, v[5:6]
	v_add_nc_u32_e32 v5, 0xf0, v3
	v_add_co_u32 v11, vcc_lo, s15, v11
	v_add_co_ci_u32_e32 v12, vcc_lo, s18, v12, vcc_lo
	s_delay_alu instid0(VALU_DEP_3)
	v_lshlrev_b64 v[4:5], 2, v[5:6]
	v_add_nc_u32_e32 v3, 0x280, v3
	global_load_b32 v32, v[11:12], off
	v_add_co_u32 v11, vcc_lo, s15, v17
	v_add_co_ci_u32_e32 v12, vcc_lo, s18, v18, vcc_lo
	v_add_co_u32 v4, vcc_lo, s15, v4
	v_add_co_ci_u32_e32 v5, vcc_lo, s18, v5, vcc_lo
	s_clause 0x1
	global_load_b32 v33, v[11:12], off
	global_load_b32 v4, v[4:5], off
	v_mov_b32_e32 v5, s14
	ds_load_2addr_b64 v[11:14], v5 offset1:1
	ds_load_2addr_b64 v[15:18], v5 offset0:2 offset1:3
	ds_load_2addr_b64 v[19:22], v5 offset0:4 offset1:5
	;; [unrolled: 1-line block ×3, first 2 shown]
	s_add_i32 s14, s14, 64
	s_cmp_eq_u32 s13, s19
	s_waitcnt lgkmcnt(3)
	v_sub_f32_e32 v5, v11, v8
	v_sub_f32_e32 v11, v13, v8
	s_waitcnt lgkmcnt(2)
	v_sub_f32_e32 v13, v15, v8
	v_sub_f32_e32 v15, v17, v8
	;; [unrolled: 3-line block ×3, first 2 shown]
	s_waitcnt lgkmcnt(0)
	s_delay_alu instid0(VALU_DEP_1) | instskip(SKIP_2) | instid1(VALU_DEP_3)
	v_dual_sub_f32 v21, v23, v8 :: v_dual_mul_f32 v38, 0x3fb8aa3b, v19
	v_mul_f32_e32 v34, 0x3fb8aa3b, v11
	v_cmp_ngt_f32_e32 vcc_lo, 0xc2ce8ed0, v11
	v_fma_f32 v51, 0x3fb8aa3b, v19, -v38
	s_delay_alu instid0(VALU_DEP_3) | instskip(SKIP_2) | instid1(VALU_DEP_4)
	v_fma_f32 v43, 0x3fb8aa3b, v11, -v34
	v_rndne_f32_e32 v44, v34
	v_rndne_f32_e32 v52, v38
	v_fmac_f32_e32 v51, 0x32a5705f, v19
	s_delay_alu instid0(VALU_DEP_3) | instskip(SKIP_1) | instid1(VALU_DEP_4)
	v_dual_fmac_f32 v43, 0x32a5705f, v11 :: v_dual_sub_f32 v34, v34, v44
	v_cvt_i32_f32_e32 v44, v44
	v_sub_f32_e32 v38, v38, v52
	v_cvt_i32_f32_e32 v52, v52
	s_delay_alu instid0(VALU_DEP_4)
	v_add_f32_e32 v34, v34, v43
	v_mul_f32_e32 v36, 0x3fb8aa3b, v15
	v_cmp_ngt_f32_e64 s6, 0xc2ce8ed0, v5
	v_cmp_ngt_f32_e64 s1, 0xc2ce8ed0, v15
	v_add_f32_e32 v38, v38, v51
	v_exp_f32_e32 v34, v34
	v_fma_f32 v47, 0x3fb8aa3b, v15, -v36
	v_rndne_f32_e32 v48, v36
	v_cmp_ngt_f32_e64 s3, 0xc2ce8ed0, v19
	v_exp_f32_e32 v38, v38
	s_delay_alu instid0(VALU_DEP_2) | instskip(SKIP_1) | instid1(TRANS32_DEP_2)
	v_dual_fmac_f32 v47, 0x32a5705f, v15 :: v_dual_sub_f32 v36, v36, v48
	v_cvt_i32_f32_e32 v48, v48
	v_ldexp_f32 v34, v34, v44
	v_sub_f32_e32 v23, v25, v8
	s_delay_alu instid0(VALU_DEP_4) | instskip(SKIP_1) | instid1(VALU_DEP_4)
	v_dual_mul_f32 v25, 0x3fb8aa3b, v5 :: v_dual_add_f32 v36, v36, v47
	v_cmp_ngt_f32_e64 s2, 0xc2ce8ed0, v17
	v_cndmask_b32_e32 v34, 0, v34, vcc_lo
	v_cmp_nlt_f32_e32 vcc_lo, 0x42b17218, v5
	s_delay_alu instid0(VALU_DEP_4)
	v_fma_f32 v41, 0x3fb8aa3b, v5, -v25
	v_rndne_f32_e32 v42, v25
	v_mul_f32_e32 v40, 0x3fb8aa3b, v23
	v_exp_f32_e32 v36, v36
	v_cmp_ngt_f32_e64 s0, 0xc2ce8ed0, v13
	v_fmac_f32_e32 v41, 0x32a5705f, v5
	v_sub_f32_e32 v25, v25, v42
	v_cvt_i32_f32_e32 v42, v42
	v_fma_f32 v55, 0x3fb8aa3b, v23, -v40
	v_rndne_f32_e32 v56, v40
	v_ldexp_f32 v38, v38, v52
	v_add_f32_e32 v25, v25, v41
	v_cmp_ngt_f32_e64 s5, 0xc2ce8ed0, v23
	v_ldexp_f32 v36, v36, v48
	v_dual_fmac_f32 v55, 0x32a5705f, v23 :: v_dual_sub_f32 v40, v40, v56
	s_delay_alu instid0(VALU_DEP_4) | instskip(SKIP_1) | instid1(VALU_DEP_3)
	v_exp_f32_e32 v25, v25
	v_cvt_i32_f32_e32 v56, v56
	v_cndmask_b32_e64 v36, 0, v36, s1
	v_cndmask_b32_e64 v38, 0, v38, s3
	v_add_f32_e32 v40, v40, v55
	v_cmp_ngt_f32_e64 s4, 0xc2ce8ed0, v21
	s_delay_alu instid0(VALU_DEP_2) | instskip(NEXT) | instid1(TRANS32_DEP_2)
	v_exp_f32_e32 v40, v40
	v_ldexp_f32 v25, v25, v42
	s_delay_alu instid0(VALU_DEP_1) | instskip(SKIP_4) | instid1(VALU_DEP_3)
	v_cndmask_b32_e64 v25, 0, v25, s6
	s_waitcnt_depctr 0xfff
	v_ldexp_f32 v40, v40, v56
	v_cndmask_b32_e32 v5, 0x7f800000, v25, vcc_lo
	v_cmp_nlt_f32_e32 vcc_lo, 0x42b17218, v11
	v_cndmask_b32_e64 v40, 0, v40, s5
	s_delay_alu instid0(VALU_DEP_3) | instskip(SKIP_2) | instid1(VALU_DEP_3)
	v_dual_fmac_f32 v10, v5, v12 :: v_dual_cndmask_b32 v11, 0x7f800000, v34
	v_mul_f32_e32 v35, 0x3fb8aa3b, v13
	v_cmp_nlt_f32_e32 vcc_lo, 0x42b17218, v13
	v_fmac_f32_e32 v10, v11, v14
	s_delay_alu instid0(VALU_DEP_3) | instskip(SKIP_1) | instid1(VALU_DEP_2)
	v_fma_f32 v45, 0x3fb8aa3b, v13, -v35
	v_rndne_f32_e32 v46, v35
	v_fmac_f32_e32 v45, 0x32a5705f, v13
	s_delay_alu instid0(VALU_DEP_2) | instskip(SKIP_1) | instid1(VALU_DEP_2)
	v_sub_f32_e32 v35, v35, v46
	v_cvt_i32_f32_e32 v46, v46
	v_add_f32_e32 v35, v35, v45
	s_delay_alu instid0(VALU_DEP_1) | instskip(SKIP_2) | instid1(VALU_DEP_1)
	v_exp_f32_e32 v35, v35
	s_waitcnt_depctr 0xfff
	v_ldexp_f32 v35, v35, v46
	v_cndmask_b32_e64 v35, 0, v35, s0
	v_cmp_nlt_f32_e64 s0, 0x42b17218, v23
	s_waitcnt vmcnt(5)
	v_fmac_f32_e32 v9, v29, v5
	s_delay_alu instid0(VALU_DEP_3) | instskip(SKIP_2) | instid1(VALU_DEP_3)
	v_cndmask_b32_e32 v5, 0x7f800000, v35, vcc_lo
	v_mul_f32_e32 v37, 0x3fb8aa3b, v17
	v_cmp_nlt_f32_e32 vcc_lo, 0x42b17218, v15
	v_dual_fmac_f32 v9, v27, v11 :: v_dual_fmac_f32 v10, v5, v16
	s_delay_alu instid0(VALU_DEP_3)
	v_fma_f32 v49, 0x3fb8aa3b, v17, -v37
	v_rndne_f32_e32 v50, v37
	v_cndmask_b32_e32 v11, 0x7f800000, v36, vcc_lo
	v_mul_f32_e32 v39, 0x3fb8aa3b, v21
	v_fmac_f32_e32 v9, v28, v5
	v_fmac_f32_e32 v49, 0x32a5705f, v17
	v_sub_f32_e32 v37, v37, v50
	v_fmac_f32_e32 v10, v11, v18
	v_fma_f32 v53, 0x3fb8aa3b, v21, -v39
	v_rndne_f32_e32 v54, v39
	v_cvt_i32_f32_e32 v50, v50
	v_add_f32_e32 v37, v37, v49
	v_cmp_nlt_f32_e32 vcc_lo, 0x42b17218, v17
	v_fmac_f32_e32 v53, 0x32a5705f, v21
	v_sub_f32_e32 v39, v39, v54
	v_cvt_i32_f32_e32 v54, v54
	v_exp_f32_e32 v37, v37
	s_waitcnt vmcnt(3)
	v_fmac_f32_e32 v9, v30, v11
	v_add_f32_e32 v39, v39, v53
	s_delay_alu instid0(VALU_DEP_1) | instskip(SKIP_2) | instid1(VALU_DEP_1)
	v_exp_f32_e32 v39, v39
	s_waitcnt_depctr 0xfff
	v_ldexp_f32 v37, v37, v50
	v_cndmask_b32_e64 v37, 0, v37, s2
	v_ldexp_f32 v39, v39, v54
	s_delay_alu instid0(VALU_DEP_2) | instskip(SKIP_1) | instid1(VALU_DEP_3)
	v_cndmask_b32_e32 v5, 0x7f800000, v37, vcc_lo
	v_cmp_nlt_f32_e32 vcc_lo, 0x42b17218, v19
	v_cndmask_b32_e64 v39, 0, v39, s4
	s_delay_alu instid0(VALU_DEP_3) | instskip(SKIP_3) | instid1(VALU_DEP_2)
	v_dual_fmac_f32 v10, v5, v20 :: v_dual_cndmask_b32 v11, 0x7f800000, v38
	v_fmac_f32_e32 v9, v31, v5
	v_cmp_nlt_f32_e32 vcc_lo, 0x42b17218, v21
	s_waitcnt vmcnt(2)
	v_dual_fmac_f32 v10, v11, v22 :: v_dual_fmac_f32 v9, v32, v11
	v_cndmask_b32_e32 v5, 0x7f800000, v39, vcc_lo
	v_cndmask_b32_e64 v11, 0x7f800000, v40, s0
	v_add_co_u32 v1, vcc_lo, 0xa00, v1
	v_add_co_ci_u32_e32 v2, vcc_lo, 0, v2, vcc_lo
	s_delay_alu instid0(VALU_DEP_4) | instskip(SKIP_1) | instid1(VALU_DEP_1)
	v_fmac_f32_e32 v10, v5, v24
	s_waitcnt vmcnt(1)
	v_dual_fmac_f32 v9, v33, v5 :: v_dual_fmac_f32 v10, v11, v26
	s_waitcnt vmcnt(0)
	s_delay_alu instid0(VALU_DEP_1)
	v_fmac_f32_e32 v9, v4, v11
	s_cbranch_scc0 .LBB4_14
; %bb.15:
	s_and_b32 s1, s12, 7
	s_delay_alu instid0(SALU_CYCLE_1)
	s_cmp_eq_u32 s1, 0
	s_cbranch_scc0 .LBB4_18
	s_branch .LBB4_20
.LBB4_16:
	v_mov_b32_e32 v0, 0x7fc00000
	s_branch .LBB4_21
.LBB4_17:
	v_mov_b32_e32 v10, 0
	s_mov_b32 s13, 0
	s_and_b32 s1, s12, 7
	s_delay_alu instid0(SALU_CYCLE_1)
	s_cmp_eq_u32 s1, 0
	s_cbranch_scc1 .LBB4_20
.LBB4_18:
	v_mad_u64_u32 v[1:2], null, 0x50, s13, v[0:1]
	v_mov_b32_e32 v2, 0
	s_lshl_b64 s[2:3], s[10:11], 2
	s_delay_alu instid0(SALU_CYCLE_1) | instskip(SKIP_1) | instid1(VALU_DEP_1)
	s_add_u32 s0, s8, s2
	s_addc_u32 s2, s9, s3
	v_lshlrev_b64 v[0:1], 2, v[1:2]
	s_delay_alu instid0(VALU_DEP_1) | instskip(NEXT) | instid1(VALU_DEP_2)
	v_add_co_u32 v0, vcc_lo, s0, v0
	v_add_co_ci_u32_e32 v1, vcc_lo, s2, v1, vcc_lo
	s_lshl_b32 s0, s13, 3
	s_delay_alu instid0(SALU_CYCLE_1)
	s_add_i32 s2, s0, 0
	s_set_inst_prefetch_distance 0x1
	.p2align	6
.LBB4_19:                               ; =>This Inner Loop Header: Depth=1
	global_load_b32 v4, v[0:1], off
	v_mov_b32_e32 v2, s2
	s_add_i32 s1, s1, -1
	s_add_i32 s2, s2, 8
	s_cmp_lg_u32 s1, 0
	ds_load_b64 v[2:3], v2
	s_waitcnt lgkmcnt(0)
	v_sub_f32_e32 v2, v2, v8
	s_delay_alu instid0(VALU_DEP_1) | instskip(NEXT) | instid1(VALU_DEP_1)
	v_mul_f32_e32 v5, 0x3fb8aa3b, v2
	v_fma_f32 v6, 0x3fb8aa3b, v2, -v5
	v_rndne_f32_e32 v11, v5
	s_delay_alu instid0(VALU_DEP_1) | instskip(NEXT) | instid1(VALU_DEP_1)
	v_dual_fmac_f32 v6, 0x32a5705f, v2 :: v_dual_sub_f32 v5, v5, v11
	v_add_f32_e32 v5, v5, v6
	v_cvt_i32_f32_e32 v6, v11
	v_cmp_ngt_f32_e32 vcc_lo, 0xc2ce8ed0, v2
	v_cmp_nlt_f32_e64 s0, 0x42b17218, v2
	s_delay_alu instid0(VALU_DEP_4) | instskip(SKIP_2) | instid1(VALU_DEP_1)
	v_exp_f32_e32 v5, v5
	s_waitcnt_depctr 0xfff
	v_ldexp_f32 v5, v5, v6
	v_cndmask_b32_e32 v5, 0, v5, vcc_lo
	v_add_co_u32 v0, vcc_lo, 0x140, v0
	v_add_co_ci_u32_e32 v1, vcc_lo, 0, v1, vcc_lo
	s_delay_alu instid0(VALU_DEP_3) | instskip(SKIP_1) | instid1(VALU_DEP_1)
	v_cndmask_b32_e64 v2, 0x7f800000, v5, s0
	s_waitcnt vmcnt(0)
	v_dual_fmac_f32 v10, v2, v3 :: v_dual_fmac_f32 v9, v4, v2
	s_cbranch_scc1 .LBB4_19
.LBB4_20:
	s_set_inst_prefetch_distance 0x2
	s_delay_alu instid0(VALU_DEP_1) | instskip(NEXT) | instid1(VALU_DEP_1)
	v_div_scale_f32 v0, null, v10, v10, v9
	v_rcp_f32_e32 v1, v0
	s_waitcnt_depctr 0xfff
	v_fma_f32 v2, -v0, v1, 1.0
	s_delay_alu instid0(VALU_DEP_1) | instskip(SKIP_1) | instid1(VALU_DEP_1)
	v_fmac_f32_e32 v1, v2, v1
	v_div_scale_f32 v2, vcc_lo, v9, v10, v9
	v_mul_f32_e32 v3, v2, v1
	s_delay_alu instid0(VALU_DEP_1) | instskip(NEXT) | instid1(VALU_DEP_1)
	v_fma_f32 v4, -v0, v3, v2
	v_fmac_f32_e32 v3, v4, v1
	s_delay_alu instid0(VALU_DEP_1) | instskip(NEXT) | instid1(VALU_DEP_1)
	v_fma_f32 v0, -v0, v3, v2
	v_div_fmas_f32 v0, v0, v1, v3
	s_delay_alu instid0(VALU_DEP_1)
	v_div_fixup_f32 v0, v0, v10, v9
.LBB4_21:
	s_mul_i32 s0, s7, 0x50
	s_delay_alu instid0(SALU_CYCLE_1) | instskip(NEXT) | instid1(SALU_CYCLE_1)
	s_ashr_i32 s1, s0, 31
	s_lshl_b64 s[0:1], s[0:1], 2
	s_delay_alu instid0(SALU_CYCLE_1)
	s_add_u32 s0, s16, s0
	s_addc_u32 s1, s17, s1
	global_store_b32 v7, v0, s[0:1]
	s_nop 0
	s_sendmsg sendmsg(MSG_DEALLOC_VGPRS)
	s_endpgm
	.section	.rodata,"a",@progbits
	.p2align	6, 0x0
	.amdhsa_kernel _ZL26flash_attn_combine_resultsILi80EEvPKfPK15HIP_vector_typeIfLj2EEPfi
		.amdhsa_group_segment_fixed_size 0
		.amdhsa_private_segment_fixed_size 0
		.amdhsa_kernarg_size 288
		.amdhsa_user_sgpr_count 13
		.amdhsa_user_sgpr_dispatch_ptr 0
		.amdhsa_user_sgpr_queue_ptr 0
		.amdhsa_user_sgpr_kernarg_segment_ptr 1
		.amdhsa_user_sgpr_dispatch_id 0
		.amdhsa_user_sgpr_private_segment_size 0
		.amdhsa_wavefront_size32 1
		.amdhsa_uses_dynamic_stack 0
		.amdhsa_enable_private_segment 0
		.amdhsa_system_sgpr_workgroup_id_x 1
		.amdhsa_system_sgpr_workgroup_id_y 1
		.amdhsa_system_sgpr_workgroup_id_z 1
		.amdhsa_system_sgpr_workgroup_info 0
		.amdhsa_system_vgpr_workitem_id 0
		.amdhsa_next_free_vgpr 57
		.amdhsa_next_free_sgpr 20
		.amdhsa_reserve_vcc 1
		.amdhsa_float_round_mode_32 0
		.amdhsa_float_round_mode_16_64 0
		.amdhsa_float_denorm_mode_32 3
		.amdhsa_float_denorm_mode_16_64 3
		.amdhsa_dx10_clamp 1
		.amdhsa_ieee_mode 1
		.amdhsa_fp16_overflow 0
		.amdhsa_workgroup_processor_mode 1
		.amdhsa_memory_ordered 1
		.amdhsa_forward_progress 0
		.amdhsa_shared_vgpr_count 0
		.amdhsa_exception_fp_ieee_invalid_op 0
		.amdhsa_exception_fp_denorm_src 0
		.amdhsa_exception_fp_ieee_div_zero 0
		.amdhsa_exception_fp_ieee_overflow 0
		.amdhsa_exception_fp_ieee_underflow 0
		.amdhsa_exception_fp_ieee_inexact 0
		.amdhsa_exception_int_div_zero 0
	.end_amdhsa_kernel
	.section	.text._ZL26flash_attn_combine_resultsILi80EEvPKfPK15HIP_vector_typeIfLj2EEPfi,"axG",@progbits,_ZL26flash_attn_combine_resultsILi80EEvPKfPK15HIP_vector_typeIfLj2EEPfi,comdat
.Lfunc_end4:
	.size	_ZL26flash_attn_combine_resultsILi80EEvPKfPK15HIP_vector_typeIfLj2EEPfi, .Lfunc_end4-_ZL26flash_attn_combine_resultsILi80EEvPKfPK15HIP_vector_typeIfLj2EEPfi
                                        ; -- End function
	.section	.AMDGPU.csdata,"",@progbits
; Kernel info:
; codeLenInByte = 2380
; NumSgprs: 22
; NumVgprs: 57
; ScratchSize: 0
; MemoryBound: 0
; FloatMode: 240
; IeeeMode: 1
; LDSByteSize: 0 bytes/workgroup (compile time only)
; SGPRBlocks: 2
; VGPRBlocks: 7
; NumSGPRsForWavesPerEU: 22
; NumVGPRsForWavesPerEU: 57
; Occupancy: 16
; WaveLimiterHint : 1
; COMPUTE_PGM_RSRC2:SCRATCH_EN: 0
; COMPUTE_PGM_RSRC2:USER_SGPR: 13
; COMPUTE_PGM_RSRC2:TRAP_HANDLER: 0
; COMPUTE_PGM_RSRC2:TGID_X_EN: 1
; COMPUTE_PGM_RSRC2:TGID_Y_EN: 1
; COMPUTE_PGM_RSRC2:TGID_Z_EN: 1
; COMPUTE_PGM_RSRC2:TIDIG_COMP_CNT: 0
	.section	.text._ZL15flash_attn_tileILi80ELi80ELi4ELi8ELb0EEvPKcS1_S1_S1_S1_PKiPfP15HIP_vector_typeIfLj2EEffffjfiS5_IjLj3EEiiiiiiiiiiiliiliiiiil,"axG",@progbits,_ZL15flash_attn_tileILi80ELi80ELi4ELi8ELb0EEvPKcS1_S1_S1_S1_PKiPfP15HIP_vector_typeIfLj2EEffffjfiS5_IjLj3EEiiiiiiiiiiiliiliiiiil,comdat
	.globl	_ZL15flash_attn_tileILi80ELi80ELi4ELi8ELb0EEvPKcS1_S1_S1_S1_PKiPfP15HIP_vector_typeIfLj2EEffffjfiS5_IjLj3EEiiiiiiiiiiiliiliiiiil ; -- Begin function _ZL15flash_attn_tileILi80ELi80ELi4ELi8ELb0EEvPKcS1_S1_S1_S1_PKiPfP15HIP_vector_typeIfLj2EEffffjfiS5_IjLj3EEiiiiiiiiiiiliiliiiiil
	.p2align	8
	.type	_ZL15flash_attn_tileILi80ELi80ELi4ELi8ELb0EEvPKcS1_S1_S1_S1_PKiPfP15HIP_vector_typeIfLj2EEffffjfiS5_IjLj3EEiiiiiiiiiiiliiliiiiil,@function
_ZL15flash_attn_tileILi80ELi80ELi4ELi8ELb0EEvPKcS1_S1_S1_S1_PKiPfP15HIP_vector_typeIfLj2EEffffjfiS5_IjLj3EEiiiiiiiiiiiliiliiiiil: ; @_ZL15flash_attn_tileILi80ELi80ELi4ELi8ELb0EEvPKcS1_S1_S1_S1_PKiPfP15HIP_vector_typeIfLj2EEffffjfiS5_IjLj3EEiiiiiiiiiiiliiliiiiil
; %bb.0:
	s_clause 0x1
	s_load_b128 s[36:39], s[0:1], 0x5c
	s_load_b64 s[34:35], s[0:1], 0x80
	s_mov_b64 s[40:41], 0
	s_waitcnt lgkmcnt(0)
	s_ashr_i32 s2, s39, 31
	s_delay_alu instid0(SALU_CYCLE_1) | instskip(NEXT) | instid1(SALU_CYCLE_1)
	s_lshr_b32 s2, s2, 29
	s_add_i32 s2, s39, s2
	s_delay_alu instid0(SALU_CYCLE_1) | instskip(NEXT) | instid1(SALU_CYCLE_1)
	s_ashr_i32 s2, s2, 3
	v_cvt_f32_u32_e32 v1, s2
	s_sub_i32 s4, 0, s2
	s_delay_alu instid0(VALU_DEP_1) | instskip(SKIP_2) | instid1(VALU_DEP_1)
	v_rcp_iflag_f32_e32 v1, v1
	s_waitcnt_depctr 0xfff
	v_mul_f32_e32 v1, 0x4f7ffffe, v1
	v_cvt_u32_f32_e32 v1, v1
	s_delay_alu instid0(VALU_DEP_1) | instskip(NEXT) | instid1(VALU_DEP_1)
	v_readfirstlane_b32 s3, v1
	s_mul_i32 s4, s4, s3
	s_delay_alu instid0(SALU_CYCLE_1) | instskip(NEXT) | instid1(SALU_CYCLE_1)
	s_mul_hi_u32 s4, s3, s4
	s_add_i32 s3, s3, s4
	s_delay_alu instid0(SALU_CYCLE_1) | instskip(NEXT) | instid1(SALU_CYCLE_1)
	s_mul_hi_u32 s3, s15, s3
	s_mul_i32 s4, s3, s2
	s_add_i32 s5, s3, 1
	s_sub_i32 s4, s15, s4
	s_delay_alu instid0(SALU_CYCLE_1)
	s_sub_i32 s6, s4, s2
	s_cmp_ge_u32 s4, s2
	s_cselect_b32 s3, s5, s3
	s_cselect_b32 s4, s6, s4
	s_add_i32 s5, s3, 1
	s_cmp_ge_u32 s4, s2
	s_cselect_b32 s33, s5, s3
	s_abs_i32 s2, s35
	s_abs_i32 s5, s39
	v_cvt_f32_u32_e32 v1, s2
	s_sub_i32 s4, 0, s2
	s_xor_b32 s6, s39, s35
	s_delay_alu instid0(SALU_CYCLE_1) | instskip(NEXT) | instid1(VALU_DEP_1)
	s_ashr_i32 s6, s6, 31
	v_rcp_iflag_f32_e32 v1, v1
	s_waitcnt_depctr 0xfff
	v_mul_f32_e32 v1, 0x4f7ffffe, v1
	s_delay_alu instid0(VALU_DEP_1) | instskip(NEXT) | instid1(VALU_DEP_1)
	v_cvt_u32_f32_e32 v1, v1
	v_readfirstlane_b32 s3, v1
	s_delay_alu instid0(VALU_DEP_1) | instskip(NEXT) | instid1(SALU_CYCLE_1)
	s_mul_i32 s4, s4, s3
	s_mul_hi_u32 s4, s3, s4
	s_delay_alu instid0(SALU_CYCLE_1) | instskip(SKIP_2) | instid1(SALU_CYCLE_1)
	s_add_i32 s3, s3, s4
	s_lshl_b32 s4, s15, 3
	s_mul_hi_u32 s3, s5, s3
	s_mul_i32 s7, s3, s2
	s_delay_alu instid0(SALU_CYCLE_1)
	s_sub_i32 s5, s5, s7
	s_add_i32 s7, s3, 1
	s_sub_i32 s8, s5, s2
	s_cmp_ge_u32 s5, s2
	s_cselect_b32 s3, s7, s3
	s_cselect_b32 s5, s8, s5
	s_add_i32 s7, s3, 1
	s_cmp_ge_u32 s5, s2
	s_mul_i32 s5, s33, s39
	s_cselect_b32 s2, s7, s3
	s_delay_alu instid0(SALU_CYCLE_1) | instskip(NEXT) | instid1(SALU_CYCLE_1)
	s_xor_b32 s2, s2, s6
	s_sub_i32 s9, s2, s6
	s_clause 0x1
	s_load_b512 s[16:31], s[0:1], 0x0
	s_load_b64 s[2:3], s[0:1], 0xb8
	s_abs_i32 s8, s9
	s_delay_alu instid0(SALU_CYCLE_1) | instskip(NEXT) | instid1(VALU_DEP_1)
	v_cvt_f32_u32_e32 v1, s8
	v_rcp_iflag_f32_e32 v1, v1
	s_waitcnt_depctr 0xfff
	v_mul_f32_e32 v1, 0x4f7ffffe, v1
	s_waitcnt lgkmcnt(0)
	s_cmp_eq_u64 s[22:23], 0
	s_delay_alu instid0(VALU_DEP_1) | instskip(NEXT) | instid1(VALU_DEP_1)
	v_cvt_u32_f32_e32 v1, v1
	v_readfirstlane_b32 s10, v1
	s_cbranch_scc1 .LBB5_2
; %bb.1:
	s_abs_i32 s2, s2
	s_abs_i32 s11, s33
	v_cvt_f32_u32_e32 v1, s2
	s_sub_i32 s7, 0, s2
	s_delay_alu instid0(VALU_DEP_1) | instskip(SKIP_2) | instid1(VALU_DEP_1)
	v_rcp_iflag_f32_e32 v1, v1
	s_waitcnt_depctr 0xfff
	v_mul_f32_e32 v1, 0x4f7ffffe, v1
	v_cvt_u32_f32_e32 v1, v1
	s_delay_alu instid0(VALU_DEP_1) | instskip(NEXT) | instid1(VALU_DEP_1)
	v_readfirstlane_b32 s6, v1
	s_mul_i32 s7, s7, s6
	s_delay_alu instid0(SALU_CYCLE_1) | instskip(NEXT) | instid1(SALU_CYCLE_1)
	s_mul_hi_u32 s7, s6, s7
	s_add_i32 s12, s6, s7
	s_load_b64 s[6:7], s[0:1], 0xc8
	s_mul_hi_u32 s12, s11, s12
	s_delay_alu instid0(SALU_CYCLE_1) | instskip(NEXT) | instid1(SALU_CYCLE_1)
	s_mul_i32 s12, s12, s2
	s_sub_i32 s11, s11, s12
	s_ashr_i32 s12, s33, 31
	s_sub_i32 s15, s11, s2
	s_cmp_ge_u32 s11, s2
	s_cselect_b32 s11, s15, s11
	s_delay_alu instid0(SALU_CYCLE_1) | instskip(SKIP_2) | instid1(SALU_CYCLE_1)
	s_sub_i32 s15, s11, s2
	s_cmp_ge_u32 s11, s2
	s_cselect_b32 s2, s15, s11
	s_xor_b32 s2, s2, s12
	s_delay_alu instid0(SALU_CYCLE_1)
	s_sub_i32 s2, s2, s12
	s_waitcnt lgkmcnt(0)
	s_mul_i32 s7, s2, s7
	s_mul_hi_u32 s11, s2, s6
	s_ashr_i32 s12, s2, 31
	s_add_i32 s7, s11, s7
	s_mul_i32 s12, s12, s6
	s_mul_i32 s2, s2, s6
	s_add_i32 s7, s7, s12
	s_add_u32 s40, s22, s2
	s_addc_u32 s41, s23, s7
.LBB5_2:
	v_bfe_u32 v4, v0, 10, 10
	v_and_b32_e32 v69, 0x3ff, v0
	s_sub_i32 s22, s4, s5
	s_delay_alu instid0(VALU_DEP_2) | instskip(SKIP_1) | instid1(VALU_DEP_3)
	v_lshrrev_b32_e32 v1, 1, v4
	v_lshlrev_b32_e32 v5, 2, v4
	v_cmp_gt_u32_e64 s2, 20, v69
	v_lshlrev_b32_e32 v68, 2, v69
	s_delay_alu instid0(VALU_DEP_4) | instskip(NEXT) | instid1(VALU_DEP_4)
	v_lshl_add_u32 v70, s13, 2, v1
	v_and_b32_e32 v80, 4, v5
	s_delay_alu instid0(VALU_DEP_2) | instskip(NEXT) | instid1(VALU_DEP_1)
	v_mul_hi_u32 v1, s36, v70
	v_add_nc_u32_e32 v1, v70, v1
	s_delay_alu instid0(VALU_DEP_1) | instskip(NEXT) | instid1(VALU_DEP_1)
	v_lshrrev_b32_e32 v1, s37, v1
	v_mul_lo_u32 v1, v1, s38
	s_delay_alu instid0(VALU_DEP_1)
	v_sub_nc_u32_e32 v6, v70, v1
	s_and_saveexec_b32 s11, s2
	s_cbranch_execz .LBB5_4
; %bb.3:
	s_load_b128 s[4:7], s[0:1], 0x70
	v_or_b32_e32 v1, 3, v5
	v_or_b32_e32 v19, 1, v5
	;; [unrolled: 1-line block ×3, first 2 shown]
	v_mul_u32_u24_e32 v21, 0xa0, v4
	s_delay_alu instid0(VALU_DEP_4) | instskip(NEXT) | instid1(VALU_DEP_3)
	v_and_b32_e32 v18, 7, v1
	v_and_b32_e32 v17, 6, v0
	s_waitcnt lgkmcnt(0)
	s_mul_i32 s6, s33, s6
	s_mul_i32 s7, s22, s5
	s_ashr_i32 s12, s6, 31
	s_add_u32 s6, s16, s6
	s_addc_u32 s12, s17, s12
	s_ashr_i32 s15, s7, 31
	s_add_u32 s6, s6, s7
	s_addc_u32 s7, s12, s15
	s_ashr_i32 s15, s5, 31
	s_ashr_i32 s12, s4, 31
	v_alignbit_b32 v13, s15, s5, 2
	v_alignbit_b32 v2, s12, s4, 2
	s_lshr_b32 s4, s12, 2
	s_lshr_b32 s5, s15, 2
	s_delay_alu instid0(VALU_DEP_2) | instskip(SKIP_3) | instid1(VALU_DEP_3)
	v_mad_u64_u32 v[9:10], null, v13, v18, 0
	v_and_b32_e32 v16, 5, v19
	v_mad_u64_u32 v[0:1], null, v2, v6, 0
	v_mad_u64_u32 v[7:8], null, v13, v17, 0
	;; [unrolled: 1-line block ×4, first 2 shown]
	v_mul_lo_u32 v20, s5, v80
	v_mul_u32_u24_e32 v19, 40, v19
	s_delay_alu instid0(VALU_DEP_4) | instskip(SKIP_3) | instid1(VALU_DEP_3)
	v_mad_u64_u32 v[13:14], null, s4, v6, v[1:2]
	v_mov_b32_e32 v1, v10
	v_mad_u64_u32 v[14:15], null, s5, v16, v[3:4]
	v_mad_u64_u32 v[15:16], null, s5, v17, v[8:9]
	;; [unrolled: 1-line block ×3, first 2 shown]
	v_mov_b32_e32 v1, v13
	v_or_b32_e32 v12, v12, v20
	v_lshlrev_b32_e32 v13, 2, v68
	v_dual_mov_b32 v3, v14 :: v_dual_lshlrev_b32 v20, 1, v69
	s_delay_alu instid0(VALU_DEP_4)
	v_lshlrev_b64 v[0:1], 2, v[0:1]
	v_mov_b32_e32 v8, v15
	v_lshlrev_b64 v[11:12], 2, v[11:12]
	v_mov_b32_e32 v10, v16
	v_lshlrev_b64 v[2:3], 2, v[2:3]
	s_load_b32 s4, s[0:1], 0x40
	v_add_co_u32 v14, vcc_lo, s6, v0
	v_add_co_ci_u32_e32 v15, vcc_lo, s7, v1, vcc_lo
	v_lshlrev_b64 v[0:1], 2, v[7:8]
	s_delay_alu instid0(VALU_DEP_3) | instskip(NEXT) | instid1(VALU_DEP_3)
	v_add_co_u32 v16, vcc_lo, v14, v13
	v_add_co_ci_u32_e32 v17, vcc_lo, 0, v15, vcc_lo
	v_lshlrev_b64 v[7:8], 2, v[9:10]
	s_delay_alu instid0(VALU_DEP_3) | instskip(NEXT) | instid1(VALU_DEP_3)
	v_add_co_u32 v9, vcc_lo, v16, v11
	v_add_co_ci_u32_e32 v10, vcc_lo, v17, v12, vcc_lo
	v_add_co_u32 v11, vcc_lo, v16, v2
	v_add_co_ci_u32_e32 v12, vcc_lo, v17, v3, vcc_lo
	;; [unrolled: 2-line block ×4, first 2 shown]
	s_clause 0x3
	global_load_b128 v[0:3], v[9:10], off
	global_load_b128 v[7:10], v[11:12], off
	;; [unrolled: 1-line block ×4, first 2 shown]
	v_add_lshl_u32 v27, v21, v20, 2
	v_add_lshl_u32 v28, v19, v20, 2
	s_waitcnt vmcnt(2) lgkmcnt(0)
	v_fma_mixlo_f16 v21, v7, s4, 0
	v_fma_mixlo_f16 v19, v0, s4, 0
	;; [unrolled: 1-line block ×4, first 2 shown]
	s_waitcnt vmcnt(1)
	v_fma_mixlo_f16 v23, v11, s4, 0
	v_fma_mixlo_f16 v24, v13, s4, 0
	s_waitcnt vmcnt(0)
	v_fma_mixlo_f16 v25, v15, s4, 0
	v_fma_mixlo_f16 v26, v17, s4, 0
	v_fma_mixhi_f16 v20, v3, s4, 0
	v_fma_mixhi_f16 v19, v1, s4, 0
	v_fma_mixhi_f16 v22, v10, s4, 0
	v_fma_mixhi_f16 v21, v8, s4, 0
	v_fma_mixhi_f16 v24, v14, s4, 0
	v_fma_mixhi_f16 v23, v12, s4, 0
	v_fma_mixhi_f16 v26, v18, s4, 0
	v_fma_mixhi_f16 v25, v16, s4, 0
	ds_store_b64 v27, v[19:20]
	ds_store_2addr_b64 v28, v[21:22], v[23:24] offset1:20
	ds_store_b64 v28, v[25:26] offset:320
.LBB5_4:
	s_or_b32 exec_lo, exec_lo, s11
	s_cmp_eq_u64 s[26:27], 0
	s_waitcnt lgkmcnt(0)
	s_barrier
	buffer_gl0_inv
	s_cbranch_scc1 .LBB5_6
; %bb.5:
	s_load_b32 s4, s[0:1], 0xd0
	s_mov_b32 s5, 0
	s_waitcnt lgkmcnt(0)
	s_mul_i32 s4, s4, s33
	s_delay_alu instid0(SALU_CYCLE_1) | instskip(NEXT) | instid1(SALU_CYCLE_1)
	s_add_i32 s4, s4, s13
	s_lshl_b64 s[4:5], s[4:5], 2
	s_delay_alu instid0(SALU_CYCLE_1)
	s_add_u32 s4, s26, s4
	s_addc_u32 s5, s27, s5
	s_load_b32 s34, s[4:5], 0x0
.LBB5_6:
	v_mbcnt_lo_u32_b32 v85, -1, 0
	s_lshl_b32 s23, s14, 5
	s_waitcnt lgkmcnt(0)
	s_cmp_lt_i32 s23, s34
	s_cbranch_scc1 .LBB5_8
; %bb.7:
	v_mbcnt_lo_u32_b32 v7, -1, 0
	v_mov_b32_e32 v88, 32
	s_mov_b32 s4, 0
	s_mov_b32 s5, 0xfeffffff
	s_delay_alu instid0(VALU_DEP_2)
	v_xor_b32_e32 v106, 16, v7
	v_xor_b32_e32 v107, 8, v7
	v_xor_b32_e32 v108, 4, v7
	v_xor_b32_e32 v109, 2, v7
	v_xor_b32_e32 v110, 1, v7
	s_branch .LBB5_9
.LBB5_8:
	s_mov_b32 s4, -1
                                        ; implicit-def: $sgpr5
                                        ; implicit-def: $vgpr7
                                        ; implicit-def: $vgpr88
                                        ; implicit-def: $vgpr106
                                        ; implicit-def: $vgpr107
                                        ; implicit-def: $vgpr108
                                        ; implicit-def: $vgpr109
                                        ; implicit-def: $vgpr110
.LBB5_9:
	s_delay_alu instid0(SALU_CYCLE_1) | instskip(SKIP_3) | instid1(VALU_DEP_4)
	v_cndmask_b32_e64 v0, 0, 1, s4
	v_dual_mov_b32 v3, s5 :: v_dual_mov_b32 v2, s5
	v_mov_b32_e32 v111, s4
	v_dual_mov_b32 v89, s4 :: v_dual_mov_b32 v112, s4
	v_cmp_ne_u32_e32 vcc_lo, 1, v0
	v_dual_mov_b32 v1, s5 :: v_dual_mov_b32 v114, s4
	v_dual_mov_b32 v0, s5 :: v_dual_mov_b32 v113, s4
	v_mov_b32_e32 v90, s4
	v_dual_mov_b32 v86, s4 :: v_dual_mov_b32 v87, s4
	v_dual_mov_b32 v83, s4 :: v_dual_mov_b32 v84, s4
	;; [unrolled: 1-line block ×3, first 2 shown]
	s_cbranch_vccnz .LBB5_30
; %bb.10:
	s_clause 0x1
	s_load_b128 s[4:7], s[0:1], 0x98
	s_load_b64 s[12:13], s[0:1], 0x8c
	s_sub_i32 s11, 0, s8
	s_abs_i32 s15, s22
	s_mul_i32 s11, s11, s10
	s_ashr_i32 s35, s22, 31
	s_mul_hi_u32 s11, s10, s11
	s_ashr_i32 s9, s9, 31
	s_add_i32 s10, s10, s11
	s_ashr_i32 s11, s3, 1
	s_mul_hi_u32 s3, s15, s10
	s_ashr_i32 s10, s33, 31
	s_load_b64 s[16:17], s[0:1], 0xa8
	s_mul_i32 s36, s3, s8
	v_lshrrev_b32_e32 v8, 1, v69
	v_lshrrev_b32_e32 v0, 2, v69
	v_lshl_add_u32 v1, v4, 5, v69
	v_mul_u32_u24_e32 v92, 0x280, v4
	v_dual_mov_b32 v81, 0 :: v_dual_and_b32 v96, 4, v68
	s_waitcnt lgkmcnt(0)
	s_ashr_i32 s26, s6, 2
	s_mul_i32 s5, s33, s5
	s_mul_hi_u32 s6, s33, s4
	s_ashr_i32 s27, s12, 2
	s_mul_i32 s12, s10, s4
	s_add_i32 s5, s6, s5
	s_mul_i32 s4, s33, s4
	s_add_i32 s5, s5, s12
	s_add_u32 s4, s18, s4
	s_addc_u32 s5, s19, s5
	s_xor_b32 s6, s35, s9
	s_sub_i32 s9, s15, s36
	s_add_i32 s12, s3, 1
	s_sub_i32 s15, s9, s8
	s_cmp_ge_u32 s9, s8
	v_lshl_add_u32 v8, v4, 4, v8
	s_cselect_b32 s3, s12, s3
	s_cselect_b32 s9, s15, s9
	s_add_i32 s12, s3, 1
	s_cmp_ge_u32 s9, s8
	v_lshl_add_u32 v3, v4, 3, v0
	s_cselect_b32 s3, s12, s3
	v_lshl_add_u32 v95, v4, 8, 0x20c0
	s_xor_b32 s3, s3, s6
	v_mul_u32_u24_e32 v4, 0xa0, v8
	s_sub_i32 s3, s3, s6
	s_mul_i32 s8, s33, s17
	s_mul_i32 s6, s3, s13
	s_mul_hi_u32 s9, s33, s16
	s_ashr_i32 s13, s6, 31
	s_add_u32 s18, s4, s6
	s_mul_i32 s10, s10, s16
	s_addc_u32 s19, s5, s13
	s_add_i32 s4, s9, s8
	v_and_b32_e32 v9, 12, v68
	v_lshl_or_b32 v4, v96, 2, v4
	s_mul_i32 s12, s33, s16
	s_mul_i32 s3, s3, s7
	s_add_i32 s4, s4, s10
	s_add_u32 s5, s20, s12
	s_addc_u32 s6, s21, s4
	s_ashr_i32 s7, s3, 31
	s_add_u32 s20, s5, s3
	v_cmp_gt_u32_e64 s3, 32, v3
	v_mul_lo_u32 v2, s27, v3
	v_mul_u32_u24_e32 v3, 0x60, v3
	v_dual_mov_b32 v86, 0 :: v_dual_add_nc_u32 v99, 0x1480, v4
	v_dual_mov_b32 v4, 0xfeffffff :: v_dual_lshlrev_b32 v7, 2, v9
	v_mov_b32_e32 v88, 32
	v_mad_u64_u32 v[71:72], null, v6, s11, v[69:70]
	v_mul_lo_u32 v0, s27, v1
	s_delay_alu instid0(VALU_DEP_4) | instskip(SKIP_4) | instid1(VALU_DEP_3)
	v_add3_u32 v94, v3, v7, 0x1400
	v_lshrrev_b32_e32 v7, 3, v69
	v_dual_mov_b32 v83, 0 :: v_dual_and_b32 v98, 28, v68
	v_mov_b32_e32 v87, 0
	s_movk_i32 s4, 0x1440
	v_add_nc_u32_e32 v6, v5, v7
	v_mul_lo_u32 v5, s26, v8
	v_cmp_gt_u32_e32 vcc_lo, 32, v1
	v_mad_u32_u24 v93, 0x60, v1, s4
	v_ashrrev_i32_e32 v1, 31, v0
	v_mul_lo_u32 v7, s26, v6
	v_ashrrev_i32_e32 v3, 31, v2
	v_mul_u32_u24_e32 v10, 0xa0, v6
	v_cmp_gt_u32_e64 s4, 16, v8
	v_cmp_gt_u32_e64 s5, 16, v6
	v_ashrrev_i32_e32 v6, 31, v5
	v_dual_mov_b32 v84, 0 :: v_dual_lshlrev_b32 v11, 2, v98
	v_ashrrev_i32_e32 v8, 31, v7
	v_lshlrev_b64 v[72:73], 2, v[0:1]
	v_lshlrev_b64 v[74:75], 2, v[2:3]
	;; [unrolled: 1-line block ×3, first 2 shown]
	v_mul_u32_u24_e32 v91, 0x60, v69
	v_lshlrev_b64 v[78:79], 2, v[7:8]
	v_dual_mov_b32 v82, 0 :: v_dual_lshlrev_b32 v97, 3, v69
	v_add3_u32 v100, v10, v11, 0x1400
	v_dual_mov_b32 v90, 0 :: v_dual_lshlrev_b32 v101, 2, v9
	v_dual_mov_b32 v89, 0 :: v_dual_mov_b32 v6, 0xfeffffff
	v_dual_mov_b32 v7, 0xfeffffff :: v_dual_mov_b32 v104, 0
	;; [unrolled: 1-line block ×3, first 2 shown]
	v_mov_b32_e32 v105, 0
	v_mov_b32_e32 v103, 0
	s_addc_u32 s21, s6, s7
	s_add_u32 s16, s0, 0xd0
	s_addc_u32 s17, s1, 0
.LBB5_11:                               ; =>This Inner Loop Header: Depth=1
	s_mul_hi_i32 s7, s23, s27
	s_mul_i32 s6, s23, s27
	s_delay_alu instid0(SALU_CYCLE_1) | instskip(NEXT) | instid1(SALU_CYCLE_1)
	s_lshl_b64 s[8:9], s[6:7], 2
	s_add_u32 s7, s18, s8
	s_addc_u32 s8, s19, s9
	s_and_saveexec_b32 s9, vcc_lo
	s_cbranch_execz .LBB5_13
; %bb.12:                               ;   in Loop: Header=BB5_11 Depth=1
	v_add_co_u32 v0, s6, s7, v72
	s_delay_alu instid0(VALU_DEP_1)
	v_add_co_ci_u32_e64 v1, s6, s8, v73, s6
	global_load_b128 v[0:3], v[0:1], off offset:64
	s_waitcnt vmcnt(0)
	ds_store_b128 v93, v[0:3]
.LBB5_13:                               ;   in Loop: Header=BB5_11 Depth=1
	s_or_b32 exec_lo, exec_lo, s9
	s_and_saveexec_b32 s9, s3
	s_cbranch_execz .LBB5_15
; %bb.14:                               ;   in Loop: Header=BB5_11 Depth=1
	v_add_co_u32 v0, s6, s7, v74
	s_delay_alu instid0(VALU_DEP_1) | instskip(NEXT) | instid1(VALU_DEP_2)
	v_add_co_ci_u32_e64 v1, s6, s8, v75, s6
	v_add_co_u32 v0, s6, v0, v101
	s_delay_alu instid0(VALU_DEP_1)
	v_add_co_ci_u32_e64 v1, s6, 0, v1, s6
	global_load_b128 v[0:3], v[0:1], off
	s_waitcnt vmcnt(0)
	ds_store_b128 v94, v[0:3]
.LBB5_15:                               ;   in Loop: Header=BB5_11 Depth=1
	s_or_b32 exec_lo, exec_lo, s9
	s_waitcnt lgkmcnt(0)
	s_barrier
	buffer_gl0_inv
	ds_load_b128 v[8:11], v91 offset:5120
	ds_load_b128 v[12:15], v92
	ds_load_b128 v[16:19], v92 offset:160
	ds_load_b128 v[20:23], v92 offset:320
	;; [unrolled: 1-line block ×3, first 2 shown]
	v_dual_mov_b32 v0, 0 :: v_dual_mov_b32 v1, 0
	v_dual_mov_b32 v2, 0 :: v_dual_mov_b32 v3, 0
	s_waitcnt lgkmcnt(3)
	;;#ASMSTART
	v_dot2_f32_f16 v0, v8, v12, v0
	;;#ASMEND
	;;#ASMSTART
	v_dot2_f32_f16 v0, v9, v13, v0
	;;#ASMEND
	;;#ASMSTART
	v_dot2_f32_f16 v0, v10, v14, v0
	;;#ASMEND
	;;#ASMSTART
	v_dot2_f32_f16 v0, v11, v15, v0
	;;#ASMEND
	s_waitcnt lgkmcnt(2)
	;;#ASMSTART
	v_dot2_f32_f16 v1, v8, v16, v1
	;;#ASMEND
	;;#ASMSTART
	v_dot2_f32_f16 v1, v9, v17, v1
	;;#ASMEND
	;;#ASMSTART
	v_dot2_f32_f16 v1, v10, v18, v1
	;;#ASMEND
	;;#ASMSTART
	v_dot2_f32_f16 v1, v11, v19, v1
	;;#ASMEND
	s_waitcnt lgkmcnt(1)
	;;#ASMSTART
	v_dot2_f32_f16 v2, v8, v20, v2
	;;#ASMEND
	;;#ASMSTART
	v_dot2_f32_f16 v2, v9, v21, v2
	;;#ASMEND
	;;#ASMSTART
	v_dot2_f32_f16 v2, v10, v22, v2
	;;#ASMEND
	;;#ASMSTART
	v_dot2_f32_f16 v2, v11, v23, v2
	;;#ASMEND
	s_waitcnt lgkmcnt(0)
	;;#ASMSTART
	v_dot2_f32_f16 v3, v8, v24, v3
	;;#ASMEND
	;;#ASMSTART
	v_dot2_f32_f16 v3, v9, v25, v3
	;;#ASMEND
	;;#ASMSTART
	v_dot2_f32_f16 v3, v10, v26, v3
	;;#ASMEND
	;;#ASMSTART
	v_dot2_f32_f16 v3, v11, v27, v3
	;;#ASMEND
	ds_load_b128 v[8:11], v91 offset:5136
	ds_load_b128 v[12:15], v92 offset:16
	ds_load_b128 v[16:19], v92 offset:176
	ds_load_b128 v[20:23], v92 offset:336
	ds_load_b128 v[24:27], v92 offset:496
	s_waitcnt lgkmcnt(3)
	;;#ASMSTART
	v_dot2_f32_f16 v0, v8, v12, v0
	;;#ASMEND
	;;#ASMSTART
	v_dot2_f32_f16 v0, v9, v13, v0
	;;#ASMEND
	;;#ASMSTART
	v_dot2_f32_f16 v0, v10, v14, v0
	;;#ASMEND
	;;#ASMSTART
	v_dot2_f32_f16 v0, v11, v15, v0
	;;#ASMEND
	s_waitcnt lgkmcnt(2)
	;;#ASMSTART
	v_dot2_f32_f16 v1, v8, v16, v1
	;;#ASMEND
	;;#ASMSTART
	v_dot2_f32_f16 v1, v9, v17, v1
	;;#ASMEND
	;;#ASMSTART
	v_dot2_f32_f16 v1, v10, v18, v1
	;;#ASMEND
	;;#ASMSTART
	v_dot2_f32_f16 v1, v11, v19, v1
	;;#ASMEND
	s_waitcnt lgkmcnt(1)
	;;#ASMSTART
	v_dot2_f32_f16 v2, v8, v20, v2
	;;#ASMEND
	;;#ASMSTART
	v_dot2_f32_f16 v2, v9, v21, v2
	;;#ASMEND
	;;#ASMSTART
	v_dot2_f32_f16 v2, v10, v22, v2
	;;#ASMEND
	;;#ASMSTART
	v_dot2_f32_f16 v2, v11, v23, v2
	;;#ASMEND
	s_waitcnt lgkmcnt(0)
	;;#ASMSTART
	v_dot2_f32_f16 v3, v8, v24, v3
	;;#ASMEND
	;;#ASMSTART
	v_dot2_f32_f16 v3, v9, v25, v3
	;;#ASMEND
	;;#ASMSTART
	v_dot2_f32_f16 v3, v10, v26, v3
	;;#ASMEND
	;;#ASMSTART
	v_dot2_f32_f16 v3, v11, v27, v3
	;;#ASMEND
	ds_load_b128 v[8:11], v91 offset:5152
	ds_load_b128 v[12:15], v92 offset:32
	ds_load_b128 v[16:19], v92 offset:192
	ds_load_b128 v[20:23], v92 offset:352
	ds_load_b128 v[24:27], v92 offset:512
	;; [unrolled: 57-line block ×4, first 2 shown]
	s_waitcnt lgkmcnt(3)
	;;#ASMSTART
	v_dot2_f32_f16 v0, v8, v12, v0
	;;#ASMEND
	;;#ASMSTART
	v_dot2_f32_f16 v0, v9, v13, v0
	;;#ASMEND
	;;#ASMSTART
	v_dot2_f32_f16 v0, v10, v14, v0
	;;#ASMEND
	;;#ASMSTART
	v_dot2_f32_f16 v0, v11, v15, v0
	;;#ASMEND
	s_waitcnt lgkmcnt(2)
	;;#ASMSTART
	v_dot2_f32_f16 v1, v8, v16, v1
	;;#ASMEND
	;;#ASMSTART
	v_dot2_f32_f16 v1, v9, v17, v1
	;;#ASMEND
	;;#ASMSTART
	v_dot2_f32_f16 v1, v10, v18, v1
	;;#ASMEND
	;;#ASMSTART
	v_dot2_f32_f16 v1, v11, v19, v1
	;;#ASMEND
	;; [unrolled: 13-line block ×4, first 2 shown]
	s_barrier
	buffer_gl0_inv
	s_and_saveexec_b32 s9, vcc_lo
	s_cbranch_execz .LBB5_17
; %bb.16:                               ;   in Loop: Header=BB5_11 Depth=1
	v_add_co_u32 v8, s6, s7, v72
	s_delay_alu instid0(VALU_DEP_1)
	v_add_co_ci_u32_e64 v9, s6, s8, v73, s6
	global_load_b128 v[8:11], v[8:9], off offset:144
	s_waitcnt vmcnt(0)
	ds_store_b128 v93, v[8:11]
.LBB5_17:                               ;   in Loop: Header=BB5_11 Depth=1
	s_or_b32 exec_lo, exec_lo, s9
	s_and_saveexec_b32 s9, s3
	s_cbranch_execz .LBB5_19
; %bb.18:                               ;   in Loop: Header=BB5_11 Depth=1
	v_add_co_u32 v8, s6, s7, v74
	s_delay_alu instid0(VALU_DEP_1) | instskip(NEXT) | instid1(VALU_DEP_2)
	v_add_co_ci_u32_e64 v9, s6, s8, v75, s6
	v_add_co_u32 v8, s6, v8, v101
	s_delay_alu instid0(VALU_DEP_1)
	v_add_co_ci_u32_e64 v9, s6, 0, v9, s6
	global_load_b128 v[8:11], v[8:9], off offset:80
	s_waitcnt vmcnt(0)
	ds_store_b128 v94, v[8:11]
.LBB5_19:                               ;   in Loop: Header=BB5_11 Depth=1
	s_or_b32 exec_lo, exec_lo, s9
	s_waitcnt lgkmcnt(0)
	s_barrier
	buffer_gl0_inv
	ds_load_b128 v[8:11], v91 offset:5120
	ds_load_b128 v[12:15], v92 offset:80
	ds_load_b128 v[16:19], v92 offset:240
	ds_load_b128 v[20:23], v92 offset:400
	ds_load_b128 v[24:27], v92 offset:560
	v_xor_b32_e32 v106, 16, v85
	v_xor_b32_e32 v107, 8, v85
	;; [unrolled: 1-line block ×5, first 2 shown]
	s_mul_hi_i32 s37, s23, s26
	s_mul_i32 s36, s23, s26
	v_lshlrev_b32_e32 v122, 2, v96
	s_lshl_b64 s[36:37], s[36:37], 2
	s_waitcnt lgkmcnt(3)
	;;#ASMSTART
	v_dot2_f32_f16 v0, v8, v12, v0
	;;#ASMEND
	;;#ASMSTART
	v_dot2_f32_f16 v0, v9, v13, v0
	;;#ASMEND
	;;#ASMSTART
	v_dot2_f32_f16 v0, v10, v14, v0
	;;#ASMEND
	;;#ASMSTART
	v_dot2_f32_f16 v0, v11, v15, v0
	;;#ASMEND
	s_waitcnt lgkmcnt(2)
	;;#ASMSTART
	v_dot2_f32_f16 v1, v8, v16, v1
	;;#ASMEND
	;;#ASMSTART
	v_dot2_f32_f16 v1, v9, v17, v1
	;;#ASMEND
	;;#ASMSTART
	v_dot2_f32_f16 v1, v10, v18, v1
	;;#ASMEND
	;;#ASMSTART
	v_dot2_f32_f16 v1, v11, v19, v1
	;;#ASMEND
	;; [unrolled: 13-line block ×4, first 2 shown]
	ds_load_b128 v[8:11], v91 offset:5136
	ds_load_b128 v[12:15], v92 offset:96
	ds_load_b128 v[16:19], v92 offset:256
	ds_load_b128 v[20:23], v92 offset:416
	ds_load_b128 v[24:27], v92 offset:576
	s_add_u32 s35, s20, s36
	s_addc_u32 s36, s21, s37
	s_waitcnt lgkmcnt(3)
	;;#ASMSTART
	v_dot2_f32_f16 v0, v8, v12, v0
	;;#ASMEND
	;;#ASMSTART
	v_dot2_f32_f16 v0, v9, v13, v0
	;;#ASMEND
	;;#ASMSTART
	v_dot2_f32_f16 v0, v10, v14, v0
	;;#ASMEND
	;;#ASMSTART
	v_dot2_f32_f16 v0, v11, v15, v0
	;;#ASMEND
	s_waitcnt lgkmcnt(2)
	;;#ASMSTART
	v_dot2_f32_f16 v1, v8, v16, v1
	;;#ASMEND
	;;#ASMSTART
	v_dot2_f32_f16 v1, v9, v17, v1
	;;#ASMEND
	;;#ASMSTART
	v_dot2_f32_f16 v1, v10, v18, v1
	;;#ASMEND
	;;#ASMSTART
	v_dot2_f32_f16 v1, v11, v19, v1
	;;#ASMEND
	;; [unrolled: 13-line block ×4, first 2 shown]
	ds_load_b128 v[8:11], v91 offset:5152
	ds_load_b128 v[12:15], v92 offset:112
	;; [unrolled: 1-line block ×5, first 2 shown]
	s_waitcnt lgkmcnt(3)
	;;#ASMSTART
	v_dot2_f32_f16 v0, v8, v12, v0
	;;#ASMEND
	;;#ASMSTART
	v_dot2_f32_f16 v0, v9, v13, v0
	;;#ASMEND
	;;#ASMSTART
	v_dot2_f32_f16 v0, v10, v14, v0
	;;#ASMEND
	;;#ASMSTART
	v_dot2_f32_f16 v0, v11, v15, v0
	;;#ASMEND
	s_waitcnt lgkmcnt(2)
	;;#ASMSTART
	v_dot2_f32_f16 v1, v8, v16, v1
	;;#ASMEND
	;;#ASMSTART
	v_dot2_f32_f16 v1, v9, v17, v1
	;;#ASMEND
	;;#ASMSTART
	v_dot2_f32_f16 v1, v10, v18, v1
	;;#ASMEND
	;;#ASMSTART
	v_dot2_f32_f16 v1, v11, v19, v1
	;;#ASMEND
	;; [unrolled: 13-line block ×4, first 2 shown]
	ds_load_b128 v[8:11], v91 offset:5168
	ds_load_b128 v[12:15], v92 offset:128
	;; [unrolled: 1-line block ×5, first 2 shown]
	s_waitcnt lgkmcnt(3)
	;;#ASMSTART
	v_dot2_f32_f16 v0, v8, v12, v0
	;;#ASMEND
	;;#ASMSTART
	v_dot2_f32_f16 v0, v9, v13, v0
	;;#ASMEND
	;;#ASMSTART
	v_dot2_f32_f16 v0, v10, v14, v0
	;;#ASMEND
	;;#ASMSTART
	v_dot2_f32_f16 v0, v11, v15, v0
	;;#ASMEND
	s_waitcnt lgkmcnt(2)
	;;#ASMSTART
	v_dot2_f32_f16 v1, v8, v16, v1
	;;#ASMEND
	;;#ASMSTART
	v_dot2_f32_f16 v1, v9, v17, v1
	;;#ASMEND
	;;#ASMSTART
	v_dot2_f32_f16 v1, v10, v18, v1
	;;#ASMEND
	;;#ASMSTART
	v_dot2_f32_f16 v1, v11, v19, v1
	;;#ASMEND
	;; [unrolled: 13-line block ×4, first 2 shown]
	ds_load_b128 v[8:11], v91 offset:5184
	ds_load_b128 v[12:15], v92 offset:144
	v_add_nc_u32_e32 v24, s23, v71
	ds_load_b128 v[16:19], v92 offset:304
	ds_load_b128 v[20:23], v92 offset:464
	v_ashrrev_i32_e32 v25, 31, v24
	s_delay_alu instid0(VALU_DEP_1)
	v_lshlrev_b64 v[28:29], 1, v[24:25]
	ds_load_b128 v[24:27], v92 offset:624
	s_waitcnt lgkmcnt(3)
	;;#ASMSTART
	v_dot2_f32_f16 v0, v8, v12, v0
	;;#ASMEND
	;;#ASMSTART
	v_dot2_f32_f16 v0, v9, v13, v0
	;;#ASMEND
	;; [unrolled: 3-line block ×4, first 2 shown]
	s_waitcnt lgkmcnt(2)
	;;#ASMSTART
	v_dot2_f32_f16 v1, v8, v16, v1
	;;#ASMEND
	;;#ASMSTART
	v_dot2_f32_f16 v1, v9, v17, v1
	;;#ASMEND
	v_add_co_u32 v28, s6, s40, v28
	;;#ASMSTART
	v_dot2_f32_f16 v1, v10, v18, v1
	;;#ASMEND
	;;#ASMSTART
	v_dot2_f32_f16 v1, v11, v19, v1
	;;#ASMEND
	s_waitcnt lgkmcnt(1)
	;;#ASMSTART
	v_dot2_f32_f16 v2, v8, v20, v2
	;;#ASMEND
	v_add_co_ci_u32_e64 v29, s6, s41, v29, s6
	;;#ASMSTART
	v_dot2_f32_f16 v2, v9, v21, v2
	;;#ASMEND
	;;#ASMSTART
	v_dot2_f32_f16 v2, v10, v22, v2
	;;#ASMEND
	;; [unrolled: 3-line block ×3, first 2 shown]
	s_waitcnt lgkmcnt(0)
	;;#ASMSTART
	v_dot2_f32_f16 v3, v8, v24, v3
	;;#ASMEND
	;;#ASMSTART
	v_dot2_f32_f16 v3, v9, v25, v3
	;;#ASMEND
	;; [unrolled: 3-line block ×4, first 2 shown]
	flat_load_u16 v8, v[28:29]
	v_cmp_gt_i32_e64 s6, 32, v106
	v_dual_max_f32 v10, v4, v4 :: v_dual_max_f32 v11, v5, v5
	v_max_f32_e32 v9, v6, v6
	s_waitcnt vmcnt(0) lgkmcnt(0)
	s_barrier
	buffer_gl0_inv
	v_cvt_f32_f16_e32 v8, v8
	s_delay_alu instid0(VALU_DEP_1) | instskip(SKIP_3) | instid1(VALU_DEP_4)
	v_dual_max_f32 v12, v7, v7 :: v_dual_add_f32 v13, v0, v8
	v_cndmask_b32_e64 v0, v85, v106, s6
	v_add_f32_e32 v14, v1, v8
	v_cmp_gt_i32_e64 s6, 32, v107
	v_add_f32_e32 v1, 0x40051340, v13
	v_add_f32_e32 v15, v3, v8
	;; [unrolled: 1-line block ×3, first 2 shown]
	v_lshlrev_b32_e32 v0, 2, v0
	s_delay_alu instid0(VALU_DEP_4) | instskip(NEXT) | instid1(VALU_DEP_3)
	v_dual_add_f32 v2, 0x40051340, v14 :: v_dual_max_f32 v1, v10, v1
	v_dual_add_f32 v3, 0x40051340, v15 :: v_dual_add_f32 v16, 0x40051340, v8
	ds_bpermute_b32 v10, v0, v1
	v_dual_max_f32 v3, v11, v3 :: v_dual_max_f32 v2, v9, v2
	v_max_f32_e32 v9, v12, v16
	v_cndmask_b32_e64 v16, v85, v107, s6
	v_cmp_gt_i32_e64 s6, 32, v108
	ds_bpermute_b32 v12, v0, v3
	ds_bpermute_b32 v11, v0, v2
	;; [unrolled: 1-line block ×3, first 2 shown]
	s_waitcnt lgkmcnt(1)
	v_dual_max_f32 v10, v10, v10 :: v_dual_max_f32 v11, v11, v11
	s_delay_alu instid0(VALU_DEP_1) | instskip(SKIP_2) | instid1(VALU_DEP_1)
	v_dual_max_f32 v1, v1, v10 :: v_dual_lshlrev_b32 v16, 2, v16
	s_waitcnt lgkmcnt(0)
	v_max_f32_e32 v0, v0, v0
	v_max_f32_e32 v0, v9, v0
	ds_bpermute_b32 v9, v16, v1
	s_waitcnt lgkmcnt(0)
	v_dual_max_f32 v12, v12, v12 :: v_dual_max_f32 v9, v9, v9
	s_delay_alu instid0(VALU_DEP_1) | instskip(NEXT) | instid1(VALU_DEP_2)
	v_dual_max_f32 v2, v2, v11 :: v_dual_max_f32 v3, v3, v12
	v_max_f32_e32 v1, v1, v9
	ds_bpermute_b32 v10, v16, v2
	ds_bpermute_b32 v11, v16, v3
	s_waitcnt lgkmcnt(0)
	v_max_f32_e32 v11, v11, v11
	s_delay_alu instid0(VALU_DEP_1) | instskip(SKIP_3) | instid1(VALU_DEP_2)
	v_max_f32_e32 v3, v3, v11
	ds_bpermute_b32 v12, v16, v0
	v_cndmask_b32_e64 v16, v85, v108, s6
	v_cmp_gt_i32_e64 s6, 32, v109
	v_lshlrev_b32_e32 v16, 2, v16
	ds_bpermute_b32 v9, v16, v1
	ds_bpermute_b32 v11, v16, v3
	v_max_f32_e32 v10, v10, v10
	s_waitcnt lgkmcnt(1)
	v_dual_max_f32 v12, v12, v12 :: v_dual_max_f32 v9, v9, v9
	s_waitcnt lgkmcnt(0)
	s_delay_alu instid0(VALU_DEP_2) | instskip(NEXT) | instid1(VALU_DEP_2)
	v_dual_max_f32 v11, v11, v11 :: v_dual_max_f32 v2, v2, v10
	v_dual_max_f32 v0, v0, v12 :: v_dual_max_f32 v1, v1, v9
	s_delay_alu instid0(VALU_DEP_2) | instskip(SKIP_4) | instid1(VALU_DEP_2)
	v_max_f32_e32 v3, v3, v11
	ds_bpermute_b32 v10, v16, v2
	ds_bpermute_b32 v12, v16, v0
	v_cndmask_b32_e64 v16, v85, v109, s6
	v_cmp_gt_i32_e64 s6, 32, v110
	v_lshlrev_b32_e32 v16, 2, v16
	ds_bpermute_b32 v9, v16, v1
	s_waitcnt lgkmcnt(0)
	v_max_f32_e32 v9, v9, v9
	ds_bpermute_b32 v11, v16, v3
	v_max_f32_e32 v10, v10, v10
	v_dual_max_f32 v12, v12, v12 :: v_dual_max_f32 v1, v1, v9
	s_delay_alu instid0(VALU_DEP_1) | instskip(SKIP_3) | instid1(VALU_DEP_1)
	v_max_f32_e32 v0, v0, v12
	ds_bpermute_b32 v12, v16, v0
	s_waitcnt lgkmcnt(1)
	v_dual_max_f32 v11, v11, v11 :: v_dual_max_f32 v2, v2, v10
	v_max_f32_e32 v3, v3, v11
	ds_bpermute_b32 v10, v16, v2
	v_cndmask_b32_e64 v16, v85, v110, s6
	s_waitcnt lgkmcnt(1)
	v_max_f32_e32 v12, v12, v12
	s_waitcnt lgkmcnt(0)
	v_max_f32_e32 v10, v10, v10
	s_delay_alu instid0(VALU_DEP_1) | instskip(SKIP_4) | instid1(VALU_DEP_1)
	v_max_f32_e32 v2, v2, v10
	v_lshlrev_b32_e32 v16, 2, v16
	ds_bpermute_b32 v11, v16, v3
	s_waitcnt lgkmcnt(0)
	v_max_f32_e32 v11, v11, v11
	v_max_f32_e32 v3, v3, v11
	;; [unrolled: 1-line block ×3, first 2 shown]
	ds_bpermute_b32 v0, v16, v1
	v_sub_f32_e32 v119, v5, v3
	ds_bpermute_b32 v10, v16, v2
	v_cmp_ngt_f32_e64 s13, 0xc2ce8ed0, v119
	v_cmp_nlt_f32_e64 s12, 0x42b17218, v119
	s_waitcnt lgkmcnt(1)
	v_max_f32_e32 v0, v0, v0
	s_delay_alu instid0(VALU_DEP_1) | instskip(NEXT) | instid1(VALU_DEP_1)
	v_max_f32_e32 v0, v1, v0
	v_sub_f32_e32 v120, v4, v0
	v_sub_f32_e32 v4, v13, v0
	s_waitcnt lgkmcnt(0)
	s_delay_alu instid0(VALU_DEP_1) | instskip(NEXT) | instid1(VALU_DEP_1)
	v_dual_max_f32 v10, v10, v10 :: v_dual_mul_f32 v5, 0x3fb8aa3b, v4
	v_max_f32_e32 v1, v2, v10
	ds_bpermute_b32 v12, v16, v9
	v_dual_sub_f32 v121, v6, v1 :: v_dual_sub_f32 v6, v15, v3
	v_rndne_f32_e32 v15, v5
	s_delay_alu instid0(VALU_DEP_2) | instskip(NEXT) | instid1(VALU_DEP_3)
	v_cmp_ngt_f32_e64 s8, 0xc2ce8ed0, v121
	v_mul_f32_e32 v10, 0x3fb8aa3b, v6
	v_cmp_nlt_f32_e64 s9, 0x42b17218, v121
	s_delay_alu instid0(VALU_DEP_2) | instskip(SKIP_1) | instid1(VALU_DEP_1)
	v_fma_f32 v17, 0x3fb8aa3b, v6, -v10
	s_waitcnt lgkmcnt(0)
	v_dual_max_f32 v12, v12, v12 :: v_dual_fmac_f32 v17, 0x32a5705f, v6
	s_delay_alu instid0(VALU_DEP_1) | instskip(SKIP_1) | instid1(VALU_DEP_2)
	v_max_f32_e32 v2, v9, v12
	v_add_nc_u32_e32 v16, v95, v97
	v_dual_sub_f32 v9, v14, v1 :: v_dual_sub_f32 v118, v7, v2
	v_sub_f32_e32 v7, v8, v2
	s_delay_alu instid0(VALU_DEP_2) | instskip(NEXT) | instid1(VALU_DEP_3)
	v_cmp_ngt_f32_e64 s10, 0xc2ce8ed0, v9
	v_cmp_nlt_f32_e64 s11, 0x42b17218, v118
	s_delay_alu instid0(VALU_DEP_3) | instskip(NEXT) | instid1(VALU_DEP_1)
	v_mul_f32_e32 v11, 0x3fb8aa3b, v7
	v_rndne_f32_e32 v20, v11
	v_mul_f32_e32 v8, 0x3fb8aa3b, v9
	v_fma_f32 v19, 0x3fb8aa3b, v7, -v11
	s_delay_alu instid0(VALU_DEP_3) | instskip(NEXT) | instid1(VALU_DEP_3)
	v_sub_f32_e32 v11, v11, v20
	v_fma_f32 v12, 0x3fb8aa3b, v9, -v8
	v_rndne_f32_e32 v13, v8
	s_delay_alu instid0(VALU_DEP_4) | instskip(SKIP_1) | instid1(VALU_DEP_4)
	v_fmac_f32_e32 v19, 0x32a5705f, v7
	v_fma_f32 v14, 0x3fb8aa3b, v4, -v5
	v_dual_sub_f32 v5, v5, v15 :: v_dual_fmac_f32 v12, 0x32a5705f, v9
	s_delay_alu instid0(VALU_DEP_3) | instskip(SKIP_1) | instid1(VALU_DEP_4)
	v_dual_sub_f32 v8, v8, v13 :: v_dual_add_f32 v11, v11, v19
	v_rndne_f32_e32 v18, v10
	v_fmac_f32_e32 v14, 0x32a5705f, v4
	v_cmp_ngt_f32_e64 s6, 0xc2ce8ed0, v120
	s_delay_alu instid0(VALU_DEP_4)
	v_add_f32_e32 v8, v8, v12
	v_cvt_i32_f32_e32 v12, v13
	v_sub_f32_e32 v10, v10, v18
	v_add_f32_e32 v5, v5, v14
	v_cvt_i32_f32_e32 v13, v15
	v_exp_f32_e32 v8, v8
	v_exp_f32_e32 v11, v11
	v_add_f32_e32 v10, v10, v17
	v_exp_f32_e32 v5, v5
	v_cvt_i32_f32_e32 v14, v18
	v_cvt_i32_f32_e32 v15, v20
	v_cmp_nlt_f32_e64 s7, 0x42b17218, v120
	v_exp_f32_e32 v10, v10
	v_ldexp_f32 v8, v8, v12
	s_delay_alu instid0(TRANS32_DEP_3) | instid1(VALU_DEP_3)
	v_ldexp_f32 v11, v11, v15
	s_delay_alu instid0(TRANS32_DEP_2) | instskip(NEXT) | instid1(VALU_DEP_3)
	v_ldexp_f32 v5, v5, v13
	v_cndmask_b32_e64 v8, 0, v8, s10
	v_cmp_ngt_f32_e64 s10, 0xc2ce8ed0, v4
	s_waitcnt_depctr 0xfff
	v_ldexp_f32 v10, v10, v14
	v_cndmask_b32_e64 v5, 0, v5, s10
	v_cmp_ngt_f32_e64 s10, 0xc2ce8ed0, v6
	s_delay_alu instid0(VALU_DEP_1) | instskip(SKIP_1) | instid1(VALU_DEP_1)
	v_cndmask_b32_e64 v10, 0, v10, s10
	v_cmp_ngt_f32_e64 s10, 0xc2ce8ed0, v7
	v_cndmask_b32_e64 v11, 0, v11, s10
	v_cmp_nlt_f32_e64 s10, 0x42b17218, v9
	s_delay_alu instid0(VALU_DEP_1) | instskip(SKIP_1) | instid1(VALU_DEP_1)
	v_cndmask_b32_e64 v112, 0x7f800000, v8, s10
	v_cmp_nlt_f32_e64 s10, 0x42b17218, v6
	v_cndmask_b32_e64 v111, 0x7f800000, v10, s10
	v_cmp_nlt_f32_e64 s10, 0x42b17218, v7
	s_delay_alu instid0(VALU_DEP_1) | instskip(SKIP_2) | instid1(VALU_DEP_3)
	v_cndmask_b32_e64 v113, 0x7f800000, v11, s10
	v_cmp_nlt_f32_e64 s10, 0x42b17218, v4
	v_cvt_f16_f32_e32 v4, v112
	v_cvt_f16_f32_e32 v6, v113
	s_delay_alu instid0(VALU_DEP_3) | instskip(SKIP_2) | instid1(VALU_DEP_3)
	v_cndmask_b32_e64 v114, 0x7f800000, v5, s10
	v_cvt_f16_f32_e32 v5, v111
	v_cmp_ngt_f32_e64 s10, 0xc2ce8ed0, v118
	v_cvt_f16_f32_e32 v7, v114
	s_delay_alu instid0(VALU_DEP_3) | instskip(NEXT) | instid1(VALU_DEP_2)
	v_pack_b32_f16 v5, v6, v5
	v_pack_b32_f16 v4, v7, v4
	ds_store_b64 v16, v[4:5]
	s_and_saveexec_b32 s37, s4
	s_cbranch_execz .LBB5_21
; %bb.20:                               ;   in Loop: Header=BB5_11 Depth=1
	v_add_co_u32 v4, s15, s35, v76
	s_delay_alu instid0(VALU_DEP_1) | instskip(NEXT) | instid1(VALU_DEP_2)
	v_add_co_ci_u32_e64 v5, s15, s36, v77, s15
	v_add_co_u32 v4, s15, v4, v122
	s_delay_alu instid0(VALU_DEP_1)
	v_add_co_ci_u32_e64 v5, s15, 0, v5, s15
	global_load_b128 v[4:7], v[4:5], off offset:128
	s_waitcnt vmcnt(0)
	ds_store_b128 v99, v[4:7]
.LBB5_21:                               ;   in Loop: Header=BB5_11 Depth=1
	s_or_b32 exec_lo, exec_lo, s37
	v_lshlrev_b32_e32 v123, 2, v98
	s_and_saveexec_b32 s37, s5
	s_cbranch_execz .LBB5_23
; %bb.22:                               ;   in Loop: Header=BB5_11 Depth=1
	v_add_co_u32 v4, s15, s35, v78
	s_delay_alu instid0(VALU_DEP_1) | instskip(NEXT) | instid1(VALU_DEP_2)
	v_add_co_ci_u32_e64 v5, s15, s36, v79, s15
	v_add_co_u32 v4, s15, v4, v123
	s_delay_alu instid0(VALU_DEP_1)
	v_add_co_ci_u32_e64 v5, s15, 0, v5, s15
	global_load_b128 v[4:7], v[4:5], off
	s_waitcnt vmcnt(0)
	ds_store_b128 v100, v[4:7]
.LBB5_23:                               ;   in Loop: Header=BB5_11 Depth=1
	s_or_b32 exec_lo, exec_lo, s37
	v_add_nc_u32_e32 v117, 0x1000, v97
	v_add_nc_u32_e32 v116, 0x1400, v97
	s_waitcnt lgkmcnt(0)
	s_barrier
	buffer_gl0_inv
	ds_load_2addr_b64 v[56:59], v117 offset0:128 offset1:148
	ds_load_b128 v[60:63], v95
	ds_load_b128 v[48:51], v95 offset:16
	v_add_nc_u32_e32 v115, 0x1800, v97
	ds_load_b128 v[44:47], v95 offset:32
	ds_load_b128 v[36:39], v95 offset:48
	ds_load_2addr_b64 v[64:67], v117 offset0:168 offset1:188
	ds_load_2addr_b64 v[52:55], v117 offset0:208 offset1:228
	;; [unrolled: 1-line block ×5, first 2 shown]
	ds_load_b128 v[32:35], v95 offset:64
	ds_load_b128 v[24:27], v95 offset:80
	ds_load_2addr_b64 v[12:15], v115 offset0:112 offset1:132
	ds_load_2addr_b64 v[4:7], v115 offset0:152 offset1:172
	ds_load_b128 v[16:19], v95 offset:96
	ds_load_b128 v[8:11], v95 offset:112
	s_or_b32 s15, s23, 16
	s_waitcnt lgkmcnt(0)
	s_mul_hi_i32 s37, s15, s26
	s_mul_i32 s36, s15, s26
	s_barrier
	s_lshl_b64 s[36:37], s[36:37], 2
	buffer_gl0_inv
	s_add_u32 s35, s20, s36
	s_addc_u32 s36, s21, s37
	s_and_saveexec_b32 s37, s4
	s_cbranch_execz .LBB5_25
; %bb.24:                               ;   in Loop: Header=BB5_11 Depth=1
	v_add_co_u32 v124, s15, s35, v76
	s_delay_alu instid0(VALU_DEP_1) | instskip(NEXT) | instid1(VALU_DEP_2)
	v_add_co_ci_u32_e64 v125, s15, s36, v77, s15
	v_add_co_u32 v124, s15, v124, v122
	s_delay_alu instid0(VALU_DEP_1)
	v_add_co_ci_u32_e64 v125, s15, 0, v125, s15
	global_load_b128 v[124:127], v[124:125], off offset:128
	s_waitcnt vmcnt(0)
	ds_store_b128 v99, v[124:127]
.LBB5_25:                               ;   in Loop: Header=BB5_11 Depth=1
	s_or_b32 exec_lo, exec_lo, s37
	s_and_saveexec_b32 s37, s5
	s_cbranch_execz .LBB5_27
; %bb.26:                               ;   in Loop: Header=BB5_11 Depth=1
	v_add_co_u32 v122, s15, s35, v78
	s_delay_alu instid0(VALU_DEP_1) | instskip(NEXT) | instid1(VALU_DEP_2)
	v_add_co_ci_u32_e64 v124, s15, s36, v79, s15
	v_add_co_u32 v122, s15, v122, v123
	s_delay_alu instid0(VALU_DEP_1)
	v_add_co_ci_u32_e64 v123, s15, 0, v124, s15
	global_load_b128 v[122:125], v[122:123], off
	s_waitcnt vmcnt(0)
	ds_store_b128 v100, v[122:125]
.LBB5_27:                               ;   in Loop: Header=BB5_11 Depth=1
	s_or_b32 exec_lo, exec_lo, s37
	v_dual_mul_f32 v122, 0x3fb8aa3b, v120 :: v_dual_mul_f32 v123, 0x3fb8aa3b, v121
	v_mul_f32_e32 v128, 0x3fb8aa3b, v119
	s_waitcnt lgkmcnt(0)
	s_barrier
	s_delay_alu instid0(VALU_DEP_2) | instskip(SKIP_4) | instid1(VALU_DEP_4)
	v_fma_f32 v125, 0x3fb8aa3b, v120, -v122
	v_rndne_f32_e32 v126, v122
	v_fma_f32 v127, 0x3fb8aa3b, v121, -v123
	v_rndne_f32_e32 v129, v123
	v_mul_f32_e32 v124, 0x3fb8aa3b, v118
	v_dual_fmac_f32 v125, 0x32a5705f, v120 :: v_dual_sub_f32 v120, v122, v126
	v_fma_f32 v130, 0x3fb8aa3b, v119, -v128
	v_rndne_f32_e32 v131, v128
	v_sub_f32_e32 v123, v123, v129
	v_rndne_f32_e32 v122, v124
	v_fmac_f32_e32 v127, 0x32a5705f, v121
	v_fma_f32 v121, 0x3fb8aa3b, v118, -v124
	v_fmac_f32_e32 v130, 0x32a5705f, v119
	buffer_gl0_inv
	v_fmac_f32_e32 v121, 0x32a5705f, v118
	v_sub_f32_e32 v118, v124, v122
	v_sub_f32_e32 v119, v128, v131
	v_dual_add_f32 v120, v120, v125 :: v_dual_add_f32 v123, v123, v127
	v_cvt_i32_f32_e32 v124, v129
	s_delay_alu instid0(VALU_DEP_3) | instskip(NEXT) | instid1(VALU_DEP_3)
	v_dual_add_f32 v118, v118, v121 :: v_dual_add_f32 v119, v119, v130
	v_exp_f32_e32 v120, v120
	s_delay_alu instid0(VALU_DEP_3) | instskip(SKIP_1) | instid1(VALU_DEP_2)
	v_exp_f32_e32 v121, v123
	v_cvt_i32_f32_e32 v123, v126
	v_exp_f32_e32 v118, v118
	v_exp_f32_e32 v119, v119
	v_cvt_i32_f32_e32 v122, v122
	v_cvt_i32_f32_e32 v125, v131
	v_ldexp_f32 v120, v120, v123
	s_delay_alu instid0(TRANS32_DEP_3)
	v_ldexp_f32 v121, v121, v124
	s_waitcnt_depctr 0xfff
	v_ldexp_f32 v118, v118, v122
	v_ldexp_f32 v119, v119, v125
	v_cndmask_b32_e64 v120, 0, v120, s6
	v_cndmask_b32_e64 v121, 0, v121, s8
	s_delay_alu instid0(VALU_DEP_4) | instskip(NEXT) | instid1(VALU_DEP_4)
	v_cndmask_b32_e64 v118, 0, v118, s10
	v_cndmask_b32_e64 v119, 0, v119, s13
	s_delay_alu instid0(VALU_DEP_4) | instskip(NEXT) | instid1(VALU_DEP_4)
	;; [unrolled: 3-line block ×4, first 2 shown]
	v_fmac_f32_e32 v114, v104, v120
	v_fmac_f32_e32 v112, v105, v121
	v_cvt_f16_f32_e32 v104, v120
	v_cvt_f16_f32_e32 v105, v121
	v_fmac_f32_e32 v111, v102, v119
	v_fmac_f32_e32 v113, v103, v118
	v_cvt_f16_f32_e32 v103, v118
	v_cvt_f16_f32_e32 v102, v119
	v_pk_mul_f16 v118, v56, v60 op_sel_hi:[1,0]
	v_pk_mul_f16 v90, v104, v90 op_sel_hi:[0,1]
	v_pk_mul_f16 v87, v105, v87 op_sel_hi:[0,1]
	v_pk_mul_f16 v84, v103, v84 op_sel_hi:[0,1]
	v_pk_mul_f16 v119, v56, v60 op_sel:[0,1]
	v_pk_mul_f16 v120, v56, v61 op_sel_hi:[1,0]
	v_pk_mul_f16 v82, v102, v82 op_sel_hi:[0,1]
	;; [unrolled: 1-line block ×3, first 2 shown]
	v_pk_fma_f16 v89, v104, v89, v118 op_sel_hi:[0,1,1]
	v_pk_fma_f16 v86, v105, v86, v119 op_sel_hi:[0,1,1]
	;; [unrolled: 1-line block ×3, first 2 shown]
	v_pk_fma_f16 v56, v56, v61, v82 op_sel:[0,1,0]
	v_pk_fma_f16 v82, v57, v60, v90 op_sel_hi:[1,0,1]
	v_pk_fma_f16 v60, v57, v60, v87 op_sel:[0,1,0]
	v_pk_fma_f16 v84, v57, v61, v84 op_sel_hi:[1,0,1]
	v_pk_fma_f16 v57, v57, v61, v81 op_sel:[0,1,0]
	v_pk_fma_f16 v61, v58, v62, v89 op_sel_hi:[1,0,1]
	v_pk_fma_f16 v81, v58, v62, v86 op_sel:[0,1,0]
	v_pk_fma_f16 v83, v58, v63, v83 op_sel_hi:[1,0,1]
	v_pk_fma_f16 v56, v58, v63, v56 op_sel:[0,1,0]
	v_pk_fma_f16 v58, v59, v62, v82 op_sel_hi:[1,0,1]
	v_pk_fma_f16 v60, v59, v62, v60 op_sel:[0,1,0]
	v_pk_fma_f16 v62, v59, v63, v84 op_sel_hi:[1,0,1]
	v_pk_fma_f16 v57, v59, v63, v57 op_sel:[0,1,0]
	v_pk_fma_f16 v59, v64, v48, v61 op_sel_hi:[1,0,1]
	v_pk_fma_f16 v61, v64, v48, v81 op_sel:[0,1,0]
	v_pk_fma_f16 v63, v64, v49, v83 op_sel_hi:[1,0,1]
	v_pk_fma_f16 v56, v64, v49, v56 op_sel:[0,1,0]
	v_pk_fma_f16 v58, v65, v48, v58 op_sel_hi:[1,0,1]
	v_pk_fma_f16 v48, v65, v48, v60 op_sel:[0,1,0]
	v_pk_fma_f16 v60, v65, v49, v62 op_sel_hi:[1,0,1]
	v_pk_fma_f16 v49, v65, v49, v57 op_sel:[0,1,0]
	v_pk_fma_f16 v57, v66, v50, v59 op_sel_hi:[1,0,1]
	v_pk_fma_f16 v59, v66, v50, v61 op_sel:[0,1,0]
	v_pk_fma_f16 v61, v66, v51, v63 op_sel_hi:[1,0,1]
	v_pk_fma_f16 v56, v66, v51, v56 op_sel:[0,1,0]
	v_pk_fma_f16 v58, v67, v50, v58 op_sel_hi:[1,0,1]
	v_pk_fma_f16 v48, v67, v50, v48 op_sel:[0,1,0]
	v_pk_fma_f16 v50, v67, v51, v60 op_sel_hi:[1,0,1]
	v_pk_fma_f16 v49, v67, v51, v49 op_sel:[0,1,0]
	v_pk_fma_f16 v51, v52, v44, v57 op_sel_hi:[1,0,1]
	v_pk_fma_f16 v57, v52, v44, v59 op_sel:[0,1,0]
	v_pk_fma_f16 v59, v52, v45, v61 op_sel_hi:[1,0,1]
	v_pk_fma_f16 v52, v52, v45, v56 op_sel:[0,1,0]
	v_pk_fma_f16 v56, v53, v44, v58 op_sel_hi:[1,0,1]
	v_pk_fma_f16 v44, v53, v44, v48 op_sel:[0,1,0]
	v_pk_fma_f16 v48, v53, v45, v50 op_sel_hi:[1,0,1]
	v_pk_fma_f16 v45, v53, v45, v49 op_sel:[0,1,0]
	v_pk_fma_f16 v49, v54, v46, v51 op_sel_hi:[1,0,1]
	v_pk_fma_f16 v50, v54, v46, v57 op_sel:[0,1,0]
	v_pk_fma_f16 v51, v54, v47, v59 op_sel_hi:[1,0,1]
	v_pk_fma_f16 v52, v54, v47, v52 op_sel:[0,1,0]
	v_pk_fma_f16 v53, v55, v46, v56 op_sel_hi:[1,0,1]
	v_pk_fma_f16 v44, v55, v46, v44 op_sel:[0,1,0]
	v_pk_fma_f16 v46, v55, v47, v48 op_sel_hi:[1,0,1]
	v_pk_fma_f16 v45, v55, v47, v45 op_sel:[0,1,0]
	v_pk_fma_f16 v47, v40, v36, v49 op_sel_hi:[1,0,1]
	v_pk_fma_f16 v48, v40, v36, v50 op_sel:[0,1,0]
	v_pk_fma_f16 v49, v40, v37, v51 op_sel_hi:[1,0,1]
	v_pk_fma_f16 v40, v40, v37, v52 op_sel:[0,1,0]
	v_pk_fma_f16 v50, v41, v36, v53 op_sel_hi:[1,0,1]
	v_pk_fma_f16 v36, v41, v36, v44 op_sel:[0,1,0]
	v_pk_fma_f16 v44, v41, v37, v46 op_sel_hi:[1,0,1]
	v_pk_fma_f16 v37, v41, v37, v45 op_sel:[0,1,0]
	v_pk_fma_f16 v41, v42, v38, v47 op_sel_hi:[1,0,1]
	v_pk_fma_f16 v45, v42, v38, v48 op_sel:[0,1,0]
	v_pk_fma_f16 v46, v42, v39, v49 op_sel_hi:[1,0,1]
	v_pk_fma_f16 v40, v42, v39, v40 op_sel:[0,1,0]
	v_pk_fma_f16 v42, v43, v38, v50 op_sel_hi:[1,0,1]
	v_pk_fma_f16 v36, v43, v38, v36 op_sel:[0,1,0]
	v_pk_fma_f16 v38, v43, v39, v44 op_sel_hi:[1,0,1]
	v_pk_fma_f16 v37, v43, v39, v37 op_sel:[0,1,0]
	v_pk_fma_f16 v39, v28, v32, v41 op_sel_hi:[1,0,1]
	v_pk_fma_f16 v41, v28, v32, v45 op_sel:[0,1,0]
	v_pk_fma_f16 v43, v28, v33, v46 op_sel_hi:[1,0,1]
	v_pk_fma_f16 v28, v28, v33, v40 op_sel:[0,1,0]
	v_pk_fma_f16 v40, v29, v32, v42 op_sel_hi:[1,0,1]
	v_pk_fma_f16 v32, v29, v32, v36 op_sel:[0,1,0]
	v_pk_fma_f16 v36, v29, v33, v38 op_sel_hi:[1,0,1]
	v_pk_fma_f16 v29, v29, v33, v37 op_sel:[0,1,0]
	v_pk_fma_f16 v33, v30, v34, v39 op_sel_hi:[1,0,1]
	v_pk_fma_f16 v37, v30, v34, v41 op_sel:[0,1,0]
	v_pk_fma_f16 v38, v30, v35, v43 op_sel_hi:[1,0,1]
	v_pk_fma_f16 v28, v30, v35, v28 op_sel:[0,1,0]
	v_pk_fma_f16 v30, v31, v34, v40 op_sel_hi:[1,0,1]
	v_pk_fma_f16 v32, v31, v34, v32 op_sel:[0,1,0]
	v_pk_fma_f16 v34, v31, v35, v36 op_sel_hi:[1,0,1]
	v_pk_fma_f16 v29, v31, v35, v29 op_sel:[0,1,0]
	v_pk_fma_f16 v31, v20, v24, v33 op_sel_hi:[1,0,1]
	v_pk_fma_f16 v33, v20, v24, v37 op_sel:[0,1,0]
	v_pk_fma_f16 v35, v20, v25, v38 op_sel_hi:[1,0,1]
	v_pk_fma_f16 v20, v20, v25, v28 op_sel:[0,1,0]
	v_pk_fma_f16 v28, v21, v24, v30 op_sel_hi:[1,0,1]
	v_pk_fma_f16 v24, v21, v24, v32 op_sel:[0,1,0]
	v_pk_fma_f16 v30, v21, v25, v34 op_sel_hi:[1,0,1]
	v_pk_fma_f16 v21, v21, v25, v29 op_sel:[0,1,0]
	v_pk_fma_f16 v25, v22, v26, v31 op_sel_hi:[1,0,1]
	v_pk_fma_f16 v29, v22, v26, v33 op_sel:[0,1,0]
	v_pk_fma_f16 v31, v22, v27, v35 op_sel_hi:[1,0,1]
	v_pk_fma_f16 v20, v22, v27, v20 op_sel:[0,1,0]
	v_pk_fma_f16 v22, v23, v26, v28 op_sel_hi:[1,0,1]
	v_pk_fma_f16 v24, v23, v26, v24 op_sel:[0,1,0]
	v_pk_fma_f16 v26, v23, v27, v30 op_sel_hi:[1,0,1]
	v_pk_fma_f16 v21, v23, v27, v21 op_sel:[0,1,0]
	v_pk_fma_f16 v23, v12, v16, v25 op_sel_hi:[1,0,1]
	v_pk_fma_f16 v25, v12, v16, v29 op_sel:[0,1,0]
	v_pk_fma_f16 v27, v12, v17, v31 op_sel_hi:[1,0,1]
	v_pk_fma_f16 v12, v12, v17, v20 op_sel:[0,1,0]
	v_pk_fma_f16 v20, v13, v16, v22 op_sel_hi:[1,0,1]
	v_pk_fma_f16 v16, v13, v16, v24 op_sel:[0,1,0]
	v_pk_fma_f16 v22, v13, v17, v26 op_sel_hi:[1,0,1]
	v_pk_fma_f16 v13, v13, v17, v21 op_sel:[0,1,0]
	v_pk_fma_f16 v17, v14, v18, v23 op_sel_hi:[1,0,1]
	v_pk_fma_f16 v21, v14, v18, v25 op_sel:[0,1,0]
	v_pk_fma_f16 v23, v14, v19, v27 op_sel_hi:[1,0,1]
	v_pk_fma_f16 v24, v14, v19, v12 op_sel:[0,1,0]
	v_pk_fma_f16 v20, v15, v18, v20 op_sel_hi:[1,0,1]
	v_pk_fma_f16 v25, v15, v18, v16 op_sel:[0,1,0]
	v_pk_fma_f16 v22, v15, v19, v22 op_sel_hi:[1,0,1]
	v_pk_fma_f16 v26, v15, v19, v13 op_sel:[0,1,0]
	v_pk_fma_f16 v27, v4, v8, v17 op_sel_hi:[1,0,1]
	ds_load_2addr_b64 v[12:15], v117 offset0:128 offset1:148
	ds_load_b128 v[16:19], v95 offset:128
	v_pk_fma_f16 v21, v4, v8, v21 op_sel:[0,1,0]
	v_pk_fma_f16 v23, v4, v9, v23 op_sel_hi:[1,0,1]
	v_pk_fma_f16 v4, v4, v9, v24 op_sel:[0,1,0]
	v_pk_fma_f16 v20, v5, v8, v20 op_sel_hi:[1,0,1]
	;; [unrolled: 2-line block ×7, first 2 shown]
	v_pk_fma_f16 v35, v7, v11, v5 op_sel:[0,1,0]
	ds_load_b128 v[4:7], v95 offset:144
	ds_load_2addr_b64 v[8:11], v117 offset0:168 offset1:188
	ds_load_b128 v[20:23], v95 offset:160
	ds_load_b128 v[24:27], v95 offset:176
	s_waitcnt lgkmcnt(4)
	v_pk_fma_f16 v28, v12, v16, v28 op_sel_hi:[1,0,1]
	v_pk_fma_f16 v29, v12, v16, v29 op_sel:[0,1,0]
	v_pk_fma_f16 v30, v12, v17, v30 op_sel_hi:[1,0,1]
	v_pk_fma_f16 v12, v12, v17, v31 op_sel:[0,1,0]
	;; [unrolled: 2-line block ×7, first 2 shown]
	ds_load_2addr_b64 v[28:31], v117 offset0:208 offset1:228
	v_pk_fma_f16 v18, v15, v19, v32 op_sel_hi:[1,0,1]
	v_pk_fma_f16 v13, v15, v19, v13 op_sel:[0,1,0]
	s_waitcnt lgkmcnt(3)
	v_pk_fma_f16 v15, v8, v4, v17 op_sel_hi:[1,0,1]
	v_pk_fma_f16 v17, v8, v4, v33 op_sel:[0,1,0]
	v_pk_fma_f16 v19, v8, v5, v34 op_sel_hi:[1,0,1]
	v_pk_fma_f16 v8, v8, v5, v12 op_sel:[0,1,0]
	;; [unrolled: 2-line block ×7, first 2 shown]
	v_pk_fma_f16 v6, v11, v7, v14 op_sel_hi:[1,0,1]
	ds_load_2addr_b64 v[12:15], v116 offset0:120 offset1:140
	v_pk_fma_f16 v5, v11, v7, v5 op_sel:[0,1,0]
	s_waitcnt lgkmcnt(1)
	v_pk_fma_f16 v7, v28, v20, v9 op_sel_hi:[1,0,1]
	v_pk_fma_f16 v9, v28, v20, v16 op_sel:[0,1,0]
	v_pk_fma_f16 v11, v28, v21, v17 op_sel_hi:[1,0,1]
	v_pk_fma_f16 v8, v28, v21, v8 op_sel:[0,1,0]
	;; [unrolled: 2-line block ×7, first 2 shown]
	v_pk_fma_f16 v28, v31, v23, v6 op_sel_hi:[1,0,1]
	ds_load_2addr_b64 v[4:7], v115 offset0:32 offset1:52
	ds_load_b128 v[8:11], v95 offset:192
	v_pk_fma_f16 v16, v31, v23, v16 op_sel:[0,1,0]
	s_waitcnt lgkmcnt(2)
	v_pk_fma_f16 v17, v12, v24, v17 op_sel_hi:[1,0,1]
	v_pk_fma_f16 v18, v12, v24, v18 op_sel:[0,1,0]
	v_pk_fma_f16 v19, v12, v25, v19 op_sel_hi:[1,0,1]
	v_pk_fma_f16 v12, v12, v25, v20 op_sel:[0,1,0]
	;; [unrolled: 2-line block ×7, first 2 shown]
	v_pk_fma_f16 v29, v15, v27, v22 op_sel_hi:[1,0,1]
	ds_load_2addr_b64 v[16:19], v115 offset0:72 offset1:92
	ds_load_b128 v[20:23], v95 offset:208
	v_pk_fma_f16 v13, v15, v27, v13 op_sel:[0,1,0]
	s_waitcnt lgkmcnt(2)
	v_pk_fma_f16 v15, v4, v8, v24 op_sel_hi:[1,0,1]
	v_pk_fma_f16 v24, v4, v8, v25 op_sel:[0,1,0]
	v_pk_fma_f16 v25, v4, v9, v28 op_sel_hi:[1,0,1]
	v_pk_fma_f16 v4, v4, v9, v12 op_sel:[0,1,0]
	;; [unrolled: 2-line block ×7, first 2 shown]
	ds_load_2addr_b64 v[12:15], v115 offset0:112 offset1:132
	ds_load_b128 v[24:27], v95 offset:224
	v_pk_fma_f16 v10, v7, v11, v28 op_sel_hi:[1,0,1]
	v_pk_fma_f16 v5, v7, v11, v5 op_sel:[0,1,0]
	s_waitcnt lgkmcnt(2)
	v_pk_fma_f16 v7, v16, v20, v9 op_sel_hi:[1,0,1]
	v_pk_fma_f16 v9, v16, v20, v29 op_sel:[0,1,0]
	v_pk_fma_f16 v11, v16, v21, v30 op_sel_hi:[1,0,1]
	v_pk_fma_f16 v4, v16, v21, v4 op_sel:[0,1,0]
	;; [unrolled: 2-line block ×8, first 2 shown]
	ds_load_b128 v[4:7], v95 offset:240
	ds_load_2addr_b64 v[8:11], v115 offset0:152 offset1:172
	s_waitcnt lgkmcnt(0)
	s_barrier
	buffer_gl0_inv
	s_load_b32 s6, s[16:17], 0x4
	v_pk_fma_f16 v16, v12, v24, v16 op_sel_hi:[1,0,1]
	v_pk_fma_f16 v17, v12, v24, v17 op_sel:[0,1,0]
	v_pk_fma_f16 v20, v12, v25, v20 op_sel_hi:[1,0,1]
	v_pk_fma_f16 v12, v12, v25, v18 op_sel:[0,1,0]
	;; [unrolled: 2-line block ×12, first 2 shown]
	s_waitcnt lgkmcnt(0)
	s_lshl_b32 s6, s6, 5
	v_pk_fma_f16 v89, v10, v6, v15 op_sel_hi:[1,0,1]
	v_pk_fma_f16 v86, v10, v6, v16 op_sel:[0,1,0]
	v_pk_fma_f16 v83, v10, v7, v17 op_sel_hi:[1,0,1]
	v_pk_fma_f16 v82, v10, v7, v8 op_sel:[0,1,0]
	;; [unrolled: 2-line block ×4, first 2 shown]
	s_add_i32 s23, s6, s23
	s_delay_alu instid0(SALU_CYCLE_1)
	s_cmp_ge_i32 s23, s34
	s_cbranch_scc1 .LBB5_29
; %bb.28:                               ;   in Loop: Header=BB5_11 Depth=1
	v_dual_mov_b32 v4, v0 :: v_dual_mov_b32 v7, v2
	v_dual_mov_b32 v6, v1 :: v_dual_mov_b32 v5, v3
	;; [unrolled: 1-line block ×4, first 2 shown]
	s_branch .LBB5_11
.LBB5_29:
	v_mov_b32_e32 v7, v85
.LBB5_30:
	v_cmp_lt_i32_e32 vcc_lo, v106, v88
	s_cmp_lg_u64 s[24:25], 0
	s_cselect_b32 s3, -1, 0
	s_cmp_eq_u32 s14, 0
	v_cndmask_b32_e32 v4, v7, v106, vcc_lo
	v_cmp_lt_i32_e32 vcc_lo, v107, v88
	s_cselect_b32 s4, -1, 0
	s_delay_alu instid0(SALU_CYCLE_1) | instskip(SKIP_2) | instid1(VALU_DEP_2)
	s_and_b32 s3, s4, s3
	v_cndmask_b32_e32 v9, v7, v107, vcc_lo
	v_cmp_lt_i32_e32 vcc_lo, v108, v88
	v_lshlrev_b32_e32 v9, 2, v9
	v_lshlrev_b32_e32 v4, 2, v4
	ds_bpermute_b32 v5, v4, v114
	s_waitcnt lgkmcnt(0)
	v_add_f32_e32 v5, v114, v5
	ds_bpermute_b32 v6, v4, v112
	ds_bpermute_b32 v8, v4, v113
	ds_bpermute_b32 v4, v4, v111
	ds_bpermute_b32 v10, v9, v5
	s_waitcnt lgkmcnt(3)
	v_add_f32_e32 v6, v112, v6
	s_waitcnt lgkmcnt(0)
	v_dual_add_f32 v4, v111, v4 :: v_dual_add_f32 v5, v5, v10
	ds_bpermute_b32 v11, v9, v6
	v_cndmask_b32_e32 v13, v7, v108, vcc_lo
	v_cmp_lt_i32_e32 vcc_lo, v109, v88
	s_waitcnt lgkmcnt(0)
	v_add_f32_e32 v6, v6, v11
	s_delay_alu instid0(VALU_DEP_3)
	v_dual_add_f32 v8, v113, v8 :: v_dual_lshlrev_b32 v13, 2, v13
	ds_bpermute_b32 v12, v9, v8
	ds_bpermute_b32 v9, v9, v4
	;; [unrolled: 1-line block ×3, first 2 shown]
	s_waitcnt lgkmcnt(2)
	v_add_f32_e32 v8, v8, v12
	s_waitcnt lgkmcnt(1)
	v_add_f32_e32 v4, v4, v9
	ds_bpermute_b32 v9, v13, v5
	s_waitcnt lgkmcnt(1)
	v_add_f32_e32 v6, v6, v10
	ds_bpermute_b32 v11, v13, v8
	ds_bpermute_b32 v12, v13, v4
	v_cndmask_b32_e32 v13, v7, v109, vcc_lo
	v_cmp_lt_i32_e32 vcc_lo, v110, v88
	s_delay_alu instid0(VALU_DEP_2)
	v_lshlrev_b32_e32 v13, 2, v13
	v_cndmask_b32_e32 v7, v7, v110, vcc_lo
	s_and_b32 vcc_lo, exec_lo, s3
	ds_bpermute_b32 v10, v13, v6
	v_lshlrev_b32_e32 v7, 2, v7
	s_waitcnt lgkmcnt(2)
	v_dual_add_f32 v5, v5, v9 :: v_dual_add_f32 v8, v8, v11
	s_waitcnt lgkmcnt(1)
	v_add_f32_e32 v4, v4, v12
	ds_bpermute_b32 v9, v13, v5
	ds_bpermute_b32 v11, v13, v8
	ds_bpermute_b32 v12, v13, v4
	s_waitcnt lgkmcnt(3)
	v_add_f32_e32 v6, v6, v10
	ds_bpermute_b32 v10, v7, v6
	s_waitcnt lgkmcnt(2)
	v_dual_add_f32 v5, v5, v9 :: v_dual_add_f32 v8, v8, v11
	s_waitcnt lgkmcnt(1)
	v_add_f32_e32 v9, v4, v12
	ds_bpermute_b32 v4, v7, v5
	s_waitcnt lgkmcnt(0)
	v_dual_add_f32 v4, v5, v4 :: v_dual_add_f32 v5, v6, v10
	ds_bpermute_b32 v11, v7, v8
	ds_bpermute_b32 v7, v7, v9
	s_waitcnt lgkmcnt(1)
	v_add_f32_e32 v6, v8, v11
	s_waitcnt lgkmcnt(0)
	v_add_f32_e32 v7, v9, v7
	s_cbranch_vccz .LBB5_33
; %bb.31:
	v_dual_max_f32 v13, v1, v1 :: v_dual_add_nc_u32 v8, s22, v80
	s_delay_alu instid0(VALU_DEP_1) | instskip(NEXT) | instid1(VALU_DEP_1)
	v_ashrrev_i32_e32 v9, 31, v8
	v_lshlrev_b64 v[8:9], 2, v[8:9]
	s_delay_alu instid0(VALU_DEP_1) | instskip(NEXT) | instid1(VALU_DEP_2)
	v_add_co_u32 v8, vcc_lo, s24, v8
	v_add_co_ci_u32_e32 v9, vcc_lo, s25, v9, vcc_lo
	global_load_b128 v[8:11], v[8:9], off
	v_max_f32_e32 v12, v0, v0
	s_waitcnt vmcnt(0)
	v_dual_max_f32 v14, v2, v2 :: v_dual_max_f32 v15, v8, v8
	v_dual_max_f32 v17, v9, v9 :: v_dual_max_f32 v16, v3, v3
	;; [unrolled: 1-line block ×3, first 2 shown]
	s_delay_alu instid0(VALU_DEP_2) | instskip(NEXT) | instid1(VALU_DEP_2)
	v_dual_max_f32 v13, v13, v17 :: v_dual_max_f32 v12, v12, v15
	v_dual_max_f32 v14, v14, v18 :: v_dual_max_f32 v15, v16, v19
	s_delay_alu instid0(VALU_DEP_2) | instskip(SKIP_1) | instid1(VALU_DEP_3)
	v_dual_sub_f32 v17, v1, v13 :: v_dual_sub_f32 v16, v0, v12
	v_dual_sub_f32 v9, v9, v13 :: v_dual_sub_f32 v8, v8, v12
	;; [unrolled: 1-line block ×3, first 2 shown]
	v_dual_sub_f32 v11, v11, v15 :: v_dual_mov_b32 v0, v12
	v_dual_mov_b32 v3, v15 :: v_dual_sub_f32 v10, v10, v14
	v_dual_mov_b32 v1, v13 :: v_dual_mov_b32 v2, v14
	v_mul_f32_e32 v13, 0x3fb8aa3b, v8
	v_dual_mul_f32 v12, 0x3fb8aa3b, v16 :: v_dual_mul_f32 v15, 0x3fb8aa3b, v9
	s_delay_alu instid0(VALU_DEP_4) | instskip(NEXT) | instid1(VALU_DEP_3)
	v_dual_mul_f32 v14, 0x3fb8aa3b, v17 :: v_dual_mul_f32 v21, 0x3fb8aa3b, v10
	v_fma_f32 v26, 0x3fb8aa3b, v8, -v13
	s_delay_alu instid0(VALU_DEP_3)
	v_fma_f32 v24, 0x3fb8aa3b, v16, -v12
	v_rndne_f32_e32 v25, v12
	v_rndne_f32_e32 v27, v13
	;; [unrolled: 1-line block ×3, first 2 shown]
	v_fma_f32 v30, 0x3fb8aa3b, v9, -v15
	v_fmac_f32_e32 v24, 0x32a5705f, v16
	v_sub_f32_e32 v12, v12, v25
	v_fma_f32 v34, 0x3fb8aa3b, v10, -v21
	v_sub_f32_e32 v15, v15, v31
	v_rndne_f32_e32 v35, v21
	v_dual_fmac_f32 v26, 0x32a5705f, v8 :: v_dual_sub_f32 v13, v13, v27
	v_add_f32_e32 v12, v12, v24
	v_dual_mul_f32 v20, 0x3fb8aa3b, v18 :: v_dual_mul_f32 v23, 0x3fb8aa3b, v11
	v_fma_f32 v28, 0x3fb8aa3b, v17, -v14
	v_rndne_f32_e32 v29, v14
	v_dual_fmac_f32 v34, 0x32a5705f, v10 :: v_dual_sub_f32 v21, v21, v35
	v_dual_mul_f32 v22, 0x3fb8aa3b, v19 :: v_dual_add_f32 v13, v13, v26
	v_exp_f32_e32 v12, v12
	v_rndne_f32_e32 v39, v23
	v_cvt_i32_f32_e32 v25, v25
	v_fmac_f32_e32 v28, 0x32a5705f, v17
	v_dual_fmac_f32 v30, 0x32a5705f, v9 :: v_dual_add_f32 v21, v21, v34
	v_sub_f32_e32 v14, v14, v29
	v_exp_f32_e32 v13, v13
	v_fma_f32 v32, 0x3fb8aa3b, v18, -v20
	s_delay_alu instid0(VALU_DEP_3)
	v_add_f32_e32 v15, v15, v30
	v_rndne_f32_e32 v33, v20
	v_fma_f32 v38, 0x3fb8aa3b, v11, -v23
	v_cvt_i32_f32_e32 v27, v27
	v_dual_sub_f32 v23, v23, v39 :: v_dual_add_f32 v14, v14, v28
	v_ldexp_f32 v12, v12, v25
	v_cmp_ngt_f32_e32 vcc_lo, 0xc2ce8ed0, v16
	v_fmac_f32_e32 v38, 0x32a5705f, v11
	v_sub_f32_e32 v20, v20, v33
	v_exp_f32_e32 v14, v14
	v_ldexp_f32 v13, v13, v27
	v_cndmask_b32_e32 v12, 0, v12, vcc_lo
	v_cmp_ngt_f32_e32 vcc_lo, 0xc2ce8ed0, v8
	v_fmac_f32_e32 v32, 0x32a5705f, v18
	v_cvt_i32_f32_e32 v29, v29
	v_add_f32_e32 v23, v23, v38
	v_exp_f32_e32 v15, v15
	s_delay_alu instid0(VALU_DEP_3)
	v_dual_cndmask_b32 v13, 0, v13 :: v_dual_add_f32 v20, v20, v32
	v_cvt_i32_f32_e32 v31, v31
	v_ldexp_f32 v14, v14, v29
	v_cmp_ngt_f32_e32 vcc_lo, 0xc2ce8ed0, v17
	v_cvt_i32_f32_e32 v33, v33
	v_exp_f32_e32 v20, v20
	v_exp_f32_e32 v21, v21
	;; [unrolled: 1-line block ×3, first 2 shown]
	v_ldexp_f32 v15, v15, v31
	v_cndmask_b32_e32 v14, 0, v14, vcc_lo
	v_cmp_ngt_f32_e32 vcc_lo, 0xc2ce8ed0, v9
	v_fma_f32 v36, 0x3fb8aa3b, v19, -v22
	v_rndne_f32_e32 v37, v22
	v_cvt_i32_f32_e32 v35, v35
	v_cvt_i32_f32_e32 v26, v39
	v_ldexp_f32 v20, v20, v33
	v_cndmask_b32_e32 v15, 0, v15, vcc_lo
	v_cmp_ngt_f32_e32 vcc_lo, 0xc2ce8ed0, v18
	v_ldexp_f32 v21, v21, v35
	v_ldexp_f32 v23, v23, v26
	v_sub_f32_e32 v22, v22, v37
	v_cvt_i32_f32_e32 v24, v37
	v_cndmask_b32_e32 v20, 0, v20, vcc_lo
	v_cmp_ngt_f32_e32 vcc_lo, 0xc2ce8ed0, v10
	v_dual_fmac_f32 v36, 0x32a5705f, v19 :: v_dual_cndmask_b32 v21, 0, v21
	s_delay_alu instid0(VALU_DEP_1) | instskip(SKIP_1) | instid1(VALU_DEP_2)
	v_add_f32_e32 v22, v22, v36
	v_cmp_ngt_f32_e32 vcc_lo, 0xc2ce8ed0, v19
	v_exp_f32_e32 v22, v22
	s_waitcnt_depctr 0xfff
	v_ldexp_f32 v22, v22, v24
	s_delay_alu instid0(VALU_DEP_1)
	v_cndmask_b32_e32 v22, 0, v22, vcc_lo
	v_cmp_ngt_f32_e32 vcc_lo, 0xc2ce8ed0, v11
	v_cndmask_b32_e32 v23, 0, v23, vcc_lo
	v_cmp_nlt_f32_e32 vcc_lo, 0x42b17218, v16
	v_cndmask_b32_e32 v12, 0x7f800000, v12, vcc_lo
	v_cmp_nlt_f32_e32 vcc_lo, 0x42b17218, v8
	;; [unrolled: 2-line block ×3, first 2 shown]
	s_delay_alu instid0(VALU_DEP_2) | instskip(SKIP_4) | instid1(VALU_DEP_3)
	v_dual_fmac_f32 v8, v4, v12 :: v_dual_cndmask_b32 v13, 0x7f800000, v14
	v_cmp_nlt_f32_e32 vcc_lo, 0x42b17218, v9
	v_cvt_f16_f32_e32 v4, v12
	v_cndmask_b32_e32 v9, 0x7f800000, v15, vcc_lo
	v_cmp_nlt_f32_e32 vcc_lo, 0x42b17218, v18
	v_pk_mul_f16 v89, v4, v89 op_sel_hi:[0,1]
	v_pk_mul_f16 v90, v4, v90 op_sel_hi:[0,1]
	s_delay_alu instid0(VALU_DEP_4)
	v_dual_mov_b32 v4, v8 :: v_dual_fmac_f32 v9, v5, v13
	v_cndmask_b32_e32 v14, 0x7f800000, v20, vcc_lo
	v_cmp_nlt_f32_e32 vcc_lo, 0x42b17218, v10
	v_cvt_f16_f32_e32 v5, v13
	v_cndmask_b32_e32 v10, 0x7f800000, v21, vcc_lo
	v_cmp_nlt_f32_e32 vcc_lo, 0x42b17218, v19
	s_delay_alu instid0(VALU_DEP_3) | instskip(SKIP_1) | instid1(VALU_DEP_4)
	v_pk_mul_f16 v86, v5, v86 op_sel_hi:[0,1]
	v_pk_mul_f16 v87, v5, v87 op_sel_hi:[0,1]
	v_dual_mov_b32 v5, v9 :: v_dual_fmac_f32 v10, v6, v14
	v_cndmask_b32_e32 v15, 0x7f800000, v22, vcc_lo
	v_cmp_nlt_f32_e32 vcc_lo, 0x42b17218, v11
	v_cvt_f16_f32_e32 v6, v14
	v_cndmask_b32_e32 v11, 0x7f800000, v23, vcc_lo
	s_delay_alu instid0(VALU_DEP_2) | instskip(SKIP_1) | instid1(VALU_DEP_3)
	v_pk_mul_f16 v83, v6, v83 op_sel_hi:[0,1]
	v_pk_mul_f16 v84, v6, v84 op_sel_hi:[0,1]
	v_dual_mov_b32 v6, v10 :: v_dual_fmac_f32 v11, v7, v15
	v_cvt_f16_f32_e32 v7, v15
	s_delay_alu instid0(VALU_DEP_1) | instskip(SKIP_1) | instid1(VALU_DEP_4)
	v_pk_mul_f16 v82, v7, v82 op_sel_hi:[0,1]
	v_pk_mul_f16 v81, v7, v81 op_sel_hi:[0,1]
	v_mov_b32_e32 v7, v11
	s_mov_b32 s3, exec_lo
	v_cmpx_gt_i32_e64 s38, v70
	s_cbranch_execnz .LBB5_34
.LBB5_32:
	s_nop 0
	s_sendmsg sendmsg(MSG_DEALLOC_VGPRS)
	s_endpgm
.LBB5_33:
	s_delay_alu instid0(VALU_DEP_1)
	v_dual_mov_b32 v11, v7 :: v_dual_mov_b32 v10, v6
	v_dual_mov_b32 v9, v5 :: v_dual_mov_b32 v8, v4
	s_mov_b32 s3, exec_lo
	v_cmpx_gt_i32_e64 s38, v70
	s_cbranch_execz .LBB5_32
.LBB5_34:
	s_load_b32 s0, s[0:1], 0xd4
	v_mov_b32_e32 v13, 1.0
	s_waitcnt lgkmcnt(0)
	s_cmp_lg_u32 s0, 1
	s_cselect_b32 s1, -1, 0
	s_cmp_eq_u32 s0, 1
	s_cselect_b32 s3, -1, 0
	s_and_b32 vcc_lo, exec_lo, s1
	s_cbranch_vccnz .LBB5_36
; %bb.35:
	v_div_scale_f32 v12, null, v4, v4, 1.0
	s_delay_alu instid0(VALU_DEP_1) | instskip(SKIP_2) | instid1(VALU_DEP_1)
	v_rcp_f32_e32 v13, v12
	s_waitcnt_depctr 0xfff
	v_fma_f32 v14, -v12, v13, 1.0
	v_fmac_f32_e32 v13, v14, v13
	v_div_scale_f32 v14, vcc_lo, 1.0, v4, 1.0
	s_delay_alu instid0(VALU_DEP_1) | instskip(NEXT) | instid1(VALU_DEP_1)
	v_mul_f32_e32 v15, v14, v13
	v_fma_f32 v16, -v12, v15, v14
	s_delay_alu instid0(VALU_DEP_1) | instskip(NEXT) | instid1(VALU_DEP_1)
	v_fmac_f32_e32 v15, v16, v13
	v_fma_f32 v12, -v12, v15, v14
	s_delay_alu instid0(VALU_DEP_1) | instskip(NEXT) | instid1(VALU_DEP_1)
	v_div_fmas_f32 v12, v12, v13, v15
	v_div_fixup_f32 v13, v12, v4, 1.0
.LBB5_36:
	v_mad_u64_u32 v[14:15], null, s33, s38, v[70:71]
	s_delay_alu instid0(VALU_DEP_1) | instskip(NEXT) | instid1(VALU_DEP_1)
	v_mul_lo_u32 v4, v14, s39
	v_add3_u32 v4, s22, v80, v4
	s_delay_alu instid0(VALU_DEP_1) | instskip(NEXT) | instid1(VALU_DEP_1)
	v_mul_lo_u32 v4, s0, v4
	v_add_nc_u32_e32 v12, s14, v4
	s_and_saveexec_b32 s4, s2
	s_cbranch_execz .LBB5_38
; %bb.37:
	v_lshrrev_b32_e32 v16, 16, v90
	s_delay_alu instid0(VALU_DEP_2) | instskip(SKIP_2) | instid1(VALU_DEP_4)
	v_mad_u64_u32 v[14:15], null, 0x50, v12, v[68:69]
	v_lshrrev_b32_e32 v17, 16, v89
	v_cvt_f32_f16_e32 v19, v90
	v_cvt_f32_f16_e32 v16, v16
	v_mov_b32_e32 v15, 0
	v_cvt_f32_f16_e32 v21, v89
	v_cvt_f32_f16_e32 v20, v17
	s_delay_alu instid0(VALU_DEP_4) | instskip(NEXT) | instid1(VALU_DEP_4)
	v_mul_f32_e32 v16, v13, v16
	v_lshlrev_b64 v[17:18], 2, v[14:15]
	v_mul_f32_e32 v15, v13, v19
	s_delay_alu instid0(VALU_DEP_4) | instskip(SKIP_1) | instid1(VALU_DEP_4)
	v_mul_f32_e32 v14, v13, v20
	v_mul_f32_e32 v13, v13, v21
	v_add_co_u32 v17, vcc_lo, s28, v17
	v_add_co_ci_u32_e32 v18, vcc_lo, s29, v18, vcc_lo
	global_store_b128 v[17:18], v[13:16], off
.LBB5_38:
	s_or_b32 exec_lo, exec_lo, s4
	v_cmp_eq_u32_e32 vcc_lo, 0, v69
	s_and_b32 s1, vcc_lo, s1
	s_delay_alu instid0(SALU_CYCLE_1)
	s_and_saveexec_b32 s4, s1
	s_cbranch_execz .LBB5_40
; %bb.39:
	v_ashrrev_i32_e32 v13, 31, v12
	v_mov_b32_e32 v14, v0
	v_mov_b32_e32 v15, v8
	s_delay_alu instid0(VALU_DEP_3) | instskip(NEXT) | instid1(VALU_DEP_1)
	v_lshlrev_b64 v[12:13], 3, v[12:13]
	v_add_co_u32 v12, vcc_lo, s30, v12
	s_delay_alu instid0(VALU_DEP_2)
	v_add_co_ci_u32_e32 v13, vcc_lo, s31, v13, vcc_lo
	global_store_b64 v[12:13], v[14:15], off
.LBB5_40:
	s_or_b32 exec_lo, exec_lo, s4
	v_cndmask_b32_e64 v12, 0, 1, s3
	v_mov_b32_e32 v8, 1.0
	s_and_not1_b32 vcc_lo, exec_lo, s3
	s_cbranch_vccz .LBB5_51
; %bb.41:
	v_add_nc_u32_e32 v0, s0, v4
	s_delay_alu instid0(VALU_DEP_1)
	v_add_nc_u32_e32 v4, s14, v0
	s_and_saveexec_b32 s3, s2
	s_cbranch_execnz .LBB5_52
.LBB5_42:
	s_or_b32 exec_lo, exec_lo, s3
	s_and_saveexec_b32 s3, s1
	s_cbranch_execz .LBB5_44
.LBB5_43:
	v_ashrrev_i32_e32 v5, 31, v4
	v_mov_b32_e32 v8, v1
	s_delay_alu instid0(VALU_DEP_2) | instskip(NEXT) | instid1(VALU_DEP_1)
	v_lshlrev_b64 v[4:5], 3, v[4:5]
	v_add_co_u32 v4, vcc_lo, s30, v4
	s_delay_alu instid0(VALU_DEP_2)
	v_add_co_ci_u32_e32 v5, vcc_lo, s31, v5, vcc_lo
	global_store_b64 v[4:5], v[8:9], off
.LBB5_44:
	s_or_b32 exec_lo, exec_lo, s3
	v_cmp_ne_u32_e32 vcc_lo, 1, v12
	v_mov_b32_e32 v1, 1.0
	s_cbranch_vccz .LBB5_53
; %bb.45:
	v_add_nc_u32_e32 v4, s0, v0
	s_delay_alu instid0(VALU_DEP_1)
	v_add_nc_u32_e32 v0, s14, v4
	s_and_saveexec_b32 s3, s2
	s_cbranch_execnz .LBB5_54
.LBB5_46:
	s_or_b32 exec_lo, exec_lo, s3
	s_and_saveexec_b32 s3, s1
	s_cbranch_execz .LBB5_48
.LBB5_47:
	v_ashrrev_i32_e32 v1, 31, v0
	v_mov_b32_e32 v9, v2
	s_delay_alu instid0(VALU_DEP_2) | instskip(NEXT) | instid1(VALU_DEP_1)
	v_lshlrev_b64 v[0:1], 3, v[0:1]
	v_add_co_u32 v0, vcc_lo, s30, v0
	s_delay_alu instid0(VALU_DEP_2)
	v_add_co_ci_u32_e32 v1, vcc_lo, s31, v1, vcc_lo
	global_store_b64 v[0:1], v[9:10], off
.LBB5_48:
	s_or_b32 exec_lo, exec_lo, s3
	v_cmp_ne_u32_e32 vcc_lo, 1, v12
	v_mov_b32_e32 v1, 1.0
	s_cbranch_vccz .LBB5_55
; %bb.49:
	v_add3_u32 v0, s14, s0, v4
	s_and_saveexec_b32 s0, s2
	s_cbranch_execnz .LBB5_56
.LBB5_50:
	s_or_b32 exec_lo, exec_lo, s0
	s_delay_alu instid0(SALU_CYCLE_1)
	s_and_b32 exec_lo, exec_lo, s1
	s_cbranch_execz .LBB5_32
	s_branch .LBB5_57
.LBB5_51:
	v_div_scale_f32 v0, null, v5, v5, 1.0
	s_delay_alu instid0(VALU_DEP_1) | instskip(SKIP_2) | instid1(VALU_DEP_1)
	v_rcp_f32_e32 v8, v0
	s_waitcnt_depctr 0xfff
	v_fma_f32 v13, -v0, v8, 1.0
	v_fmac_f32_e32 v8, v13, v8
	v_div_scale_f32 v13, vcc_lo, 1.0, v5, 1.0
	s_delay_alu instid0(VALU_DEP_1) | instskip(NEXT) | instid1(VALU_DEP_1)
	v_mul_f32_e32 v14, v13, v8
	v_fma_f32 v15, -v0, v14, v13
	s_delay_alu instid0(VALU_DEP_1) | instskip(NEXT) | instid1(VALU_DEP_1)
	v_fmac_f32_e32 v14, v15, v8
	v_fma_f32 v0, -v0, v14, v13
	s_delay_alu instid0(VALU_DEP_1) | instskip(NEXT) | instid1(VALU_DEP_1)
	v_div_fmas_f32 v0, v0, v8, v14
	v_div_fixup_f32 v8, v0, v5, 1.0
	v_add_nc_u32_e32 v0, s0, v4
	s_delay_alu instid0(VALU_DEP_1)
	v_add_nc_u32_e32 v4, s14, v0
	s_and_saveexec_b32 s3, s2
	s_cbranch_execz .LBB5_42
.LBB5_52:
	s_delay_alu instid0(VALU_DEP_1)
	v_mad_u64_u32 v[13:14], null, 0x50, v4, v[68:69]
	v_lshrrev_b32_e32 v15, 16, v86
	v_cvt_f32_f16_e32 v19, v87
	v_mov_b32_e32 v14, 0
	v_lshrrev_b32_e32 v5, 16, v87
	v_cvt_f32_f16_e32 v21, v86
	v_cvt_f32_f16_e32 v20, v15
	v_mul_f32_e32 v15, v8, v19
	v_lshlrev_b64 v[17:18], 2, v[13:14]
	v_cvt_f32_f16_e32 v5, v5
	v_mul_f32_e32 v13, v8, v21
	v_mul_f32_e32 v14, v8, v20
	s_delay_alu instid0(VALU_DEP_3)
	v_mul_f32_e32 v16, v8, v5
	v_add_co_u32 v17, vcc_lo, s28, v17
	v_add_co_ci_u32_e32 v18, vcc_lo, s29, v18, vcc_lo
	global_store_b128 v[17:18], v[13:16], off
	s_or_b32 exec_lo, exec_lo, s3
	s_and_saveexec_b32 s3, s1
	s_cbranch_execnz .LBB5_43
	s_branch .LBB5_44
.LBB5_53:
	v_div_scale_f32 v1, null, v6, v6, 1.0
	s_delay_alu instid0(VALU_DEP_1) | instskip(SKIP_2) | instid1(VALU_DEP_1)
	v_rcp_f32_e32 v4, v1
	s_waitcnt_depctr 0xfff
	v_fma_f32 v5, -v1, v4, 1.0
	v_fmac_f32_e32 v4, v5, v4
	v_div_scale_f32 v5, vcc_lo, 1.0, v6, 1.0
	s_delay_alu instid0(VALU_DEP_1) | instskip(NEXT) | instid1(VALU_DEP_1)
	v_mul_f32_e32 v8, v5, v4
	v_fma_f32 v9, -v1, v8, v5
	s_delay_alu instid0(VALU_DEP_1) | instskip(NEXT) | instid1(VALU_DEP_1)
	v_fmac_f32_e32 v8, v9, v4
	v_fma_f32 v1, -v1, v8, v5
	s_delay_alu instid0(VALU_DEP_1) | instskip(NEXT) | instid1(VALU_DEP_1)
	v_div_fmas_f32 v1, v1, v4, v8
	v_div_fixup_f32 v1, v1, v6, 1.0
	v_add_nc_u32_e32 v4, s0, v0
	s_delay_alu instid0(VALU_DEP_1)
	v_add_nc_u32_e32 v0, s14, v4
	s_and_saveexec_b32 s3, s2
	s_cbranch_execz .LBB5_46
.LBB5_54:
	s_delay_alu instid0(VALU_DEP_1)
	v_mad_u64_u32 v[5:6], null, 0x50, v0, v[68:69]
	v_cvt_f32_f16_e32 v13, v84
	v_mov_b32_e32 v6, 0
	v_lshrrev_b32_e32 v8, 16, v84
	v_lshrrev_b32_e32 v9, 16, v83
	v_cvt_f32_f16_e32 v17, v83
	v_mul_f32_e32 v15, v1, v13
	v_lshlrev_b64 v[5:6], 2, v[5:6]
	v_cvt_f32_f16_e32 v8, v8
	v_cvt_f32_f16_e32 v9, v9
	v_mul_f32_e32 v13, v1, v17
	s_delay_alu instid0(VALU_DEP_3) | instskip(SKIP_1) | instid1(VALU_DEP_4)
	v_mul_f32_e32 v16, v1, v8
	v_add_co_u32 v5, vcc_lo, s28, v5
	v_mul_f32_e32 v14, v1, v9
	v_add_co_ci_u32_e32 v6, vcc_lo, s29, v6, vcc_lo
	global_store_b128 v[5:6], v[13:16], off
	s_or_b32 exec_lo, exec_lo, s3
	s_and_saveexec_b32 s3, s1
	s_cbranch_execnz .LBB5_47
	s_branch .LBB5_48
.LBB5_55:
	v_div_scale_f32 v0, null, v7, v7, 1.0
	s_delay_alu instid0(VALU_DEP_1) | instskip(SKIP_2) | instid1(VALU_DEP_1)
	v_rcp_f32_e32 v1, v0
	s_waitcnt_depctr 0xfff
	v_fma_f32 v2, -v0, v1, 1.0
	v_fmac_f32_e32 v1, v2, v1
	v_div_scale_f32 v2, vcc_lo, 1.0, v7, 1.0
	s_delay_alu instid0(VALU_DEP_1) | instskip(NEXT) | instid1(VALU_DEP_1)
	v_mul_f32_e32 v5, v2, v1
	v_fma_f32 v6, -v0, v5, v2
	s_delay_alu instid0(VALU_DEP_1) | instskip(NEXT) | instid1(VALU_DEP_1)
	v_fmac_f32_e32 v5, v6, v1
	v_fma_f32 v0, -v0, v5, v2
	s_delay_alu instid0(VALU_DEP_1) | instskip(NEXT) | instid1(VALU_DEP_1)
	v_div_fmas_f32 v0, v0, v1, v5
	v_div_fixup_f32 v1, v0, v7, 1.0
	v_add3_u32 v0, s14, s0, v4
	s_and_saveexec_b32 s0, s2
	s_cbranch_execz .LBB5_50
.LBB5_56:
	s_delay_alu instid0(VALU_DEP_1)
	v_mad_u64_u32 v[4:5], null, 0x50, v0, v[68:69]
	v_lshrrev_b32_e32 v6, 16, v82
	v_cvt_f32_f16_e32 v10, v81
	v_mov_b32_e32 v5, 0
	v_lshrrev_b32_e32 v2, 16, v81
	v_cvt_f32_f16_e32 v13, v82
	v_cvt_f32_f16_e32 v12, v6
	v_mul_f32_e32 v6, v1, v10
	v_lshlrev_b64 v[8:9], 2, v[4:5]
	v_cvt_f32_f16_e32 v2, v2
	v_mul_f32_e32 v4, v1, v13
	v_mul_f32_e32 v5, v1, v12
	s_delay_alu instid0(VALU_DEP_3) | instskip(SKIP_4) | instid1(SALU_CYCLE_1)
	v_mul_f32_e32 v7, v1, v2
	v_add_co_u32 v1, vcc_lo, s28, v8
	v_add_co_ci_u32_e32 v2, vcc_lo, s29, v9, vcc_lo
	global_store_b128 v[1:2], v[4:7], off
	s_or_b32 exec_lo, exec_lo, s0
	s_and_b32 exec_lo, exec_lo, s1
	s_cbranch_execz .LBB5_32
.LBB5_57:
	v_ashrrev_i32_e32 v1, 31, v0
	v_mov_b32_e32 v10, v3
	s_delay_alu instid0(VALU_DEP_2) | instskip(NEXT) | instid1(VALU_DEP_1)
	v_lshlrev_b64 v[0:1], 3, v[0:1]
	v_add_co_u32 v0, vcc_lo, s30, v0
	s_delay_alu instid0(VALU_DEP_2)
	v_add_co_ci_u32_e32 v1, vcc_lo, s31, v1, vcc_lo
	global_store_b64 v[0:1], v[10:11], off
	s_nop 0
	s_sendmsg sendmsg(MSG_DEALLOC_VGPRS)
	s_endpgm
	.section	.rodata,"a",@progbits
	.p2align	6, 0x0
	.amdhsa_kernel _ZL15flash_attn_tileILi80ELi80ELi4ELi8ELb0EEvPKcS1_S1_S1_S1_PKiPfP15HIP_vector_typeIfLj2EEffffjfiS5_IjLj3EEiiiiiiiiiiiliiliiiiil
		.amdhsa_group_segment_fixed_size 10432
		.amdhsa_private_segment_fixed_size 0
		.amdhsa_kernarg_size 464
		.amdhsa_user_sgpr_count 13
		.amdhsa_user_sgpr_dispatch_ptr 0
		.amdhsa_user_sgpr_queue_ptr 0
		.amdhsa_user_sgpr_kernarg_segment_ptr 1
		.amdhsa_user_sgpr_dispatch_id 0
		.amdhsa_user_sgpr_private_segment_size 0
		.amdhsa_wavefront_size32 1
		.amdhsa_uses_dynamic_stack 0
		.amdhsa_enable_private_segment 0
		.amdhsa_system_sgpr_workgroup_id_x 1
		.amdhsa_system_sgpr_workgroup_id_y 1
		.amdhsa_system_sgpr_workgroup_id_z 1
		.amdhsa_system_sgpr_workgroup_info 0
		.amdhsa_system_vgpr_workitem_id 1
		.amdhsa_next_free_vgpr 132
		.amdhsa_next_free_sgpr 42
		.amdhsa_reserve_vcc 1
		.amdhsa_float_round_mode_32 0
		.amdhsa_float_round_mode_16_64 0
		.amdhsa_float_denorm_mode_32 3
		.amdhsa_float_denorm_mode_16_64 3
		.amdhsa_dx10_clamp 1
		.amdhsa_ieee_mode 1
		.amdhsa_fp16_overflow 0
		.amdhsa_workgroup_processor_mode 1
		.amdhsa_memory_ordered 1
		.amdhsa_forward_progress 0
		.amdhsa_shared_vgpr_count 0
		.amdhsa_exception_fp_ieee_invalid_op 0
		.amdhsa_exception_fp_denorm_src 0
		.amdhsa_exception_fp_ieee_div_zero 0
		.amdhsa_exception_fp_ieee_overflow 0
		.amdhsa_exception_fp_ieee_underflow 0
		.amdhsa_exception_fp_ieee_inexact 0
		.amdhsa_exception_int_div_zero 0
	.end_amdhsa_kernel
	.section	.text._ZL15flash_attn_tileILi80ELi80ELi4ELi8ELb0EEvPKcS1_S1_S1_S1_PKiPfP15HIP_vector_typeIfLj2EEffffjfiS5_IjLj3EEiiiiiiiiiiiliiliiiiil,"axG",@progbits,_ZL15flash_attn_tileILi80ELi80ELi4ELi8ELb0EEvPKcS1_S1_S1_S1_PKiPfP15HIP_vector_typeIfLj2EEffffjfiS5_IjLj3EEiiiiiiiiiiiliiliiiiil,comdat
.Lfunc_end5:
	.size	_ZL15flash_attn_tileILi80ELi80ELi4ELi8ELb0EEvPKcS1_S1_S1_S1_PKiPfP15HIP_vector_typeIfLj2EEffffjfiS5_IjLj3EEiiiiiiiiiiiliiliiiiil, .Lfunc_end5-_ZL15flash_attn_tileILi80ELi80ELi4ELi8ELb0EEvPKcS1_S1_S1_S1_PKiPfP15HIP_vector_typeIfLj2EEffffjfiS5_IjLj3EEiiiiiiiiiiiliiliiiiil
                                        ; -- End function
	.section	.AMDGPU.csdata,"",@progbits
; Kernel info:
; codeLenInByte = 13516
; NumSgprs: 44
; NumVgprs: 132
; ScratchSize: 0
; MemoryBound: 0
; FloatMode: 240
; IeeeMode: 1
; LDSByteSize: 10432 bytes/workgroup (compile time only)
; SGPRBlocks: 5
; VGPRBlocks: 16
; NumSGPRsForWavesPerEU: 44
; NumVGPRsForWavesPerEU: 132
; Occupancy: 10
; WaveLimiterHint : 1
; COMPUTE_PGM_RSRC2:SCRATCH_EN: 0
; COMPUTE_PGM_RSRC2:USER_SGPR: 13
; COMPUTE_PGM_RSRC2:TRAP_HANDLER: 0
; COMPUTE_PGM_RSRC2:TGID_X_EN: 1
; COMPUTE_PGM_RSRC2:TGID_Y_EN: 1
; COMPUTE_PGM_RSRC2:TGID_Z_EN: 1
; COMPUTE_PGM_RSRC2:TIDIG_COMP_CNT: 1
	.section	.text._ZL25flash_attn_mask_to_KV_maxILi4EEvPK7__half2Piiii,"axG",@progbits,_ZL25flash_attn_mask_to_KV_maxILi4EEvPK7__half2Piiii,comdat
	.globl	_ZL25flash_attn_mask_to_KV_maxILi4EEvPK7__half2Piiii ; -- Begin function _ZL25flash_attn_mask_to_KV_maxILi4EEvPK7__half2Piiii
	.p2align	8
	.type	_ZL25flash_attn_mask_to_KV_maxILi4EEvPK7__half2Piiii,@function
_ZL25flash_attn_mask_to_KV_maxILi4EEvPK7__half2Piiii: ; @_ZL25flash_attn_mask_to_KV_maxILi4EEvPK7__half2Piiii
; %bb.0:
	s_load_b128 s[4:7], s[0:1], 0x0
	s_mov_b32 s2, exec_lo
	v_cmpx_gt_u32_e32 32, v0
	s_cbranch_execz .LBB6_2
; %bb.1:
	v_dual_mov_b32 v2, 1 :: v_dual_lshlrev_b32 v1, 2, v0
	ds_store_b32 v1, v2
.LBB6_2:
	s_or_b32 exec_lo, exec_lo, s2
	s_clause 0x1
	s_load_b128 s[8:11], s[0:1], 0x10
	s_load_b32 s1, s[0:1], 0x20
	v_dual_mov_b32 v2, 0 :: v_dual_and_b32 v1, 31, v0
	v_lshrrev_b32_e32 v5, 3, v0
	s_waitcnt lgkmcnt(0)
	s_barrier
	s_delay_alu instid0(VALU_DEP_2) | instskip(SKIP_4) | instid1(SALU_CYCLE_1)
	v_lshlrev_b32_e32 v6, 2, v1
	buffer_gl0_inv
	s_mul_i32 s0, s14, s9
	s_mul_i32 s2, s15, s10
	s_lshl_b32 s0, s0, 2
	s_add_i32 s2, s2, s0
	v_cmp_eq_u32_e64 s0, 0, v1
	s_ashr_i32 s3, s2, 31
	s_delay_alu instid0(SALU_CYCLE_1) | instskip(NEXT) | instid1(SALU_CYCLE_1)
	s_lshl_b64 s[10:11], s[2:3], 2
	s_add_u32 s3, s4, s10
	s_addc_u32 s4, s5, s11
	s_lshl_b32 s5, s8, 8
	s_branch .LBB6_4
.LBB6_3:                                ;   in Loop: Header=BB6_4 Depth=1
	s_or_b32 exec_lo, exec_lo, s10
	s_waitcnt lgkmcnt(0)
	s_barrier
	buffer_gl0_inv
	ds_load_b32 v1, v6
	s_waitcnt lgkmcnt(0)
	s_barrier
	buffer_gl0_inv
	;;#ASMSTART
	;;#ASMEND
	v_cmp_ne_u32_e32 vcc_lo, 0, v1
	s_cmp_lg_u32 vcc_lo, exec_lo
	s_cselect_b32 s8, -1, 0
	s_delay_alu instid0(SALU_CYCLE_1)
	s_and_b32 vcc_lo, exec_lo, s8
	s_cbranch_vccnz .LBB6_20
.LBB6_4:                                ; =>This Inner Loop Header: Depth=1
	s_mov_b32 s2, s5
	s_addk_i32 s5, 0xff00
	s_delay_alu instid0(SALU_CYCLE_1)
	s_cmp_lt_i32 s5, 0
	s_cbranch_scc1 .LBB6_19
; %bb.5:                                ;   in Loop: Header=BB6_4 Depth=1
	s_lshr_b32 s8, s5, 1
	s_mov_b32 s10, 0
	v_add_nc_u32_e32 v1, s8, v0
	s_delay_alu instid0(VALU_DEP_1) | instskip(NEXT) | instid1(VALU_DEP_1)
	v_lshlrev_b64 v[3:4], 2, v[1:2]
	v_add_co_u32 v3, vcc_lo, s3, v3
	s_delay_alu instid0(VALU_DEP_2) | instskip(SKIP_4) | instid1(VALU_DEP_2)
	v_add_co_ci_u32_e32 v4, vcc_lo, s4, v4, vcc_lo
	global_load_b32 v3, v[3:4], off
	s_waitcnt vmcnt(0)
	v_lshrrev_b32_e32 v4, 16, v3
	v_cmp_class_f16_e64 s8, v3, 0x204
	v_and_b32_e32 v4, 0x7fff, v4
	s_delay_alu instid0(VALU_DEP_1) | instskip(NEXT) | instid1(VALU_DEP_3)
	v_cmp_eq_f16_e32 vcc_lo, 0x7c00, v4
	s_and_b32 s11, s8, vcc_lo
	s_delay_alu instid0(SALU_CYCLE_1)
	s_and_saveexec_b32 s8, s11
	s_cbranch_execz .LBB6_17
; %bb.6:                                ;   in Loop: Header=BB6_4 Depth=1
	v_add_nc_u32_e32 v3, s9, v1
	s_mov_b32 s11, 0
	s_delay_alu instid0(VALU_DEP_1) | instskip(NEXT) | instid1(VALU_DEP_1)
	v_ashrrev_i32_e32 v4, 31, v3
	v_lshlrev_b64 v[7:8], 2, v[3:4]
	s_delay_alu instid0(VALU_DEP_1) | instskip(NEXT) | instid1(VALU_DEP_2)
	v_add_co_u32 v7, vcc_lo, s3, v7
	v_add_co_ci_u32_e32 v8, vcc_lo, s4, v8, vcc_lo
	global_load_b32 v1, v[7:8], off
	s_waitcnt vmcnt(0)
	v_cmp_class_f16_e64 s12, v1, 0x204
	s_delay_alu instid0(VALU_DEP_1)
	s_and_saveexec_b32 s10, s12
	s_cbranch_execz .LBB6_16
; %bb.7:                                ;   in Loop: Header=BB6_4 Depth=1
	v_lshrrev_b32_e32 v1, 16, v1
	s_mov_b32 s12, 0
	s_delay_alu instid0(VALU_DEP_1) | instskip(NEXT) | instid1(VALU_DEP_1)
	v_cmp_class_f16_e64 s13, v1, 0x204
	s_and_saveexec_b32 s11, s13
	s_cbranch_execz .LBB6_15
; %bb.8:                                ;   in Loop: Header=BB6_4 Depth=1
	v_add_nc_u32_e32 v3, s9, v3
	s_mov_b32 s13, 0
	s_delay_alu instid0(VALU_DEP_1) | instskip(NEXT) | instid1(VALU_DEP_1)
	v_ashrrev_i32_e32 v4, 31, v3
	v_lshlrev_b64 v[7:8], 2, v[3:4]
	s_delay_alu instid0(VALU_DEP_1) | instskip(NEXT) | instid1(VALU_DEP_2)
	v_add_co_u32 v7, vcc_lo, s3, v7
	v_add_co_ci_u32_e32 v8, vcc_lo, s4, v8, vcc_lo
	global_load_b32 v1, v[7:8], off
	s_waitcnt vmcnt(0)
	v_cmp_class_f16_e64 s16, v1, 0x204
	s_delay_alu instid0(VALU_DEP_1)
	s_and_saveexec_b32 s12, s16
	s_cbranch_execz .LBB6_14
; %bb.9:                                ;   in Loop: Header=BB6_4 Depth=1
	v_lshrrev_b32_e32 v1, 16, v1
	s_mov_b32 s16, 0
	s_delay_alu instid0(VALU_DEP_1) | instskip(NEXT) | instid1(VALU_DEP_1)
	v_cmp_class_f16_e64 s17, v1, 0x204
	s_and_saveexec_b32 s13, s17
	s_cbranch_execz .LBB6_13
; %bb.10:                               ;   in Loop: Header=BB6_4 Depth=1
	v_add_nc_u32_e32 v3, s9, v3
	s_delay_alu instid0(VALU_DEP_1) | instskip(NEXT) | instid1(VALU_DEP_1)
	v_ashrrev_i32_e32 v4, 31, v3
	v_lshlrev_b64 v[3:4], 2, v[3:4]
	s_delay_alu instid0(VALU_DEP_1) | instskip(NEXT) | instid1(VALU_DEP_2)
	v_add_co_u32 v3, vcc_lo, s3, v3
	v_add_co_ci_u32_e32 v4, vcc_lo, s4, v4, vcc_lo
	global_load_b32 v1, v[3:4], off
	s_waitcnt vmcnt(0)
	v_cmp_class_f16_e64 s18, v1, 0x204
	s_delay_alu instid0(VALU_DEP_1)
	s_and_saveexec_b32 s17, s18
; %bb.11:                               ;   in Loop: Header=BB6_4 Depth=1
	v_lshrrev_b32_e32 v1, 16, v1
	s_delay_alu instid0(VALU_DEP_1) | instskip(NEXT) | instid1(VALU_DEP_1)
	v_cmp_class_f16_e64 s16, v1, 0x204
	s_and_b32 s16, s16, exec_lo
; %bb.12:                               ;   in Loop: Header=BB6_4 Depth=1
	s_or_b32 exec_lo, exec_lo, s17
	s_delay_alu instid0(SALU_CYCLE_1)
	s_and_b32 s16, s16, exec_lo
.LBB6_13:                               ;   in Loop: Header=BB6_4 Depth=1
	s_or_b32 exec_lo, exec_lo, s13
	s_delay_alu instid0(SALU_CYCLE_1)
	s_and_b32 s13, s16, exec_lo
.LBB6_14:                               ;   in Loop: Header=BB6_4 Depth=1
	s_or_b32 exec_lo, exec_lo, s12
	s_delay_alu instid0(SALU_CYCLE_1)
	s_and_b32 s12, s13, exec_lo
.LBB6_15:                               ;   in Loop: Header=BB6_4 Depth=1
	s_or_b32 exec_lo, exec_lo, s11
	s_delay_alu instid0(SALU_CYCLE_1)
	s_and_b32 s11, s12, exec_lo
.LBB6_16:                               ;   in Loop: Header=BB6_4 Depth=1
	s_or_b32 exec_lo, exec_lo, s10
	s_delay_alu instid0(SALU_CYCLE_1)
	s_and_b32 s10, s11, exec_lo
.LBB6_17:                               ;   in Loop: Header=BB6_4 Depth=1
	s_or_b32 exec_lo, exec_lo, s8
	v_cndmask_b32_e64 v1, 0, 1, s10
	;;#ASMSTART
	;;#ASMEND
	s_delay_alu instid0(VALU_DEP_1)
	v_cmp_ne_u32_e32 vcc_lo, 0, v1
	s_mov_b32 s8, exec_lo
	s_and_saveexec_b32 s10, s0
	s_cbranch_execz .LBB6_3
; %bb.18:                               ;   in Loop: Header=BB6_4 Depth=1
	s_cmp_eq_u32 vcc_lo, s8
	s_cselect_b32 s8, -1, 0
	s_delay_alu instid0(SALU_CYCLE_1)
	v_cndmask_b32_e64 v1, 0, 1, s8
	ds_store_b32 v5, v1
	s_branch .LBB6_3
.LBB6_19:                               ;   in Loop: Header=BB6_4 Depth=1
                                        ; implicit-def: $sgpr5
	s_cbranch_execz .LBB6_4
.LBB6_20:
	s_mov_b32 s0, exec_lo
	v_cmpx_eq_u32_e32 0, v0
	s_cbranch_execz .LBB6_22
; %bb.21:
	s_mul_i32 s0, s1, s15
	v_dual_mov_b32 v0, 0 :: v_dual_mov_b32 v1, s2
	s_add_i32 s0, s0, s14
	s_delay_alu instid0(SALU_CYCLE_1) | instskip(NEXT) | instid1(SALU_CYCLE_1)
	s_ashr_i32 s1, s0, 31
	s_lshl_b64 s[0:1], s[0:1], 2
	s_delay_alu instid0(SALU_CYCLE_1)
	s_add_u32 s0, s6, s0
	s_addc_u32 s1, s7, s1
	global_store_b32 v0, v1, s[0:1]
.LBB6_22:
	s_nop 0
	s_sendmsg sendmsg(MSG_DEALLOC_VGPRS)
	s_endpgm
	.section	.rodata,"a",@progbits
	.p2align	6, 0x0
	.amdhsa_kernel _ZL25flash_attn_mask_to_KV_maxILi4EEvPK7__half2Piiii
		.amdhsa_group_segment_fixed_size 128
		.amdhsa_private_segment_fixed_size 0
		.amdhsa_kernarg_size 288
		.amdhsa_user_sgpr_count 14
		.amdhsa_user_sgpr_dispatch_ptr 0
		.amdhsa_user_sgpr_queue_ptr 0
		.amdhsa_user_sgpr_kernarg_segment_ptr 1
		.amdhsa_user_sgpr_dispatch_id 0
		.amdhsa_user_sgpr_private_segment_size 0
		.amdhsa_wavefront_size32 1
		.amdhsa_uses_dynamic_stack 0
		.amdhsa_enable_private_segment 0
		.amdhsa_system_sgpr_workgroup_id_x 1
		.amdhsa_system_sgpr_workgroup_id_y 1
		.amdhsa_system_sgpr_workgroup_id_z 0
		.amdhsa_system_sgpr_workgroup_info 0
		.amdhsa_system_vgpr_workitem_id 0
		.amdhsa_next_free_vgpr 9
		.amdhsa_next_free_sgpr 19
		.amdhsa_reserve_vcc 1
		.amdhsa_float_round_mode_32 0
		.amdhsa_float_round_mode_16_64 0
		.amdhsa_float_denorm_mode_32 3
		.amdhsa_float_denorm_mode_16_64 3
		.amdhsa_dx10_clamp 1
		.amdhsa_ieee_mode 1
		.amdhsa_fp16_overflow 0
		.amdhsa_workgroup_processor_mode 1
		.amdhsa_memory_ordered 1
		.amdhsa_forward_progress 0
		.amdhsa_shared_vgpr_count 0
		.amdhsa_exception_fp_ieee_invalid_op 0
		.amdhsa_exception_fp_denorm_src 0
		.amdhsa_exception_fp_ieee_div_zero 0
		.amdhsa_exception_fp_ieee_overflow 0
		.amdhsa_exception_fp_ieee_underflow 0
		.amdhsa_exception_fp_ieee_inexact 0
		.amdhsa_exception_int_div_zero 0
	.end_amdhsa_kernel
	.section	.text._ZL25flash_attn_mask_to_KV_maxILi4EEvPK7__half2Piiii,"axG",@progbits,_ZL25flash_attn_mask_to_KV_maxILi4EEvPK7__half2Piiii,comdat
.Lfunc_end6:
	.size	_ZL25flash_attn_mask_to_KV_maxILi4EEvPK7__half2Piiii, .Lfunc_end6-_ZL25flash_attn_mask_to_KV_maxILi4EEvPK7__half2Piiii
                                        ; -- End function
	.section	.AMDGPU.csdata,"",@progbits
; Kernel info:
; codeLenInByte = 848
; NumSgprs: 21
; NumVgprs: 9
; ScratchSize: 0
; MemoryBound: 0
; FloatMode: 240
; IeeeMode: 1
; LDSByteSize: 128 bytes/workgroup (compile time only)
; SGPRBlocks: 2
; VGPRBlocks: 1
; NumSGPRsForWavesPerEU: 21
; NumVGPRsForWavesPerEU: 9
; Occupancy: 16
; WaveLimiterHint : 0
; COMPUTE_PGM_RSRC2:SCRATCH_EN: 0
; COMPUTE_PGM_RSRC2:USER_SGPR: 14
; COMPUTE_PGM_RSRC2:TRAP_HANDLER: 0
; COMPUTE_PGM_RSRC2:TGID_X_EN: 1
; COMPUTE_PGM_RSRC2:TGID_Y_EN: 1
; COMPUTE_PGM_RSRC2:TGID_Z_EN: 0
; COMPUTE_PGM_RSRC2:TIDIG_COMP_CNT: 0
	.section	.text._ZL33flash_attn_stream_k_fixup_uniformILi80ELi4ELi8EEvPfPK15HIP_vector_typeIfLj2EEiiiiiiS1_IjLj3EES5_S5_,"axG",@progbits,_ZL33flash_attn_stream_k_fixup_uniformILi80ELi4ELi8EEvPfPK15HIP_vector_typeIfLj2EEiiiiiiS1_IjLj3EES5_S5_,comdat
	.globl	_ZL33flash_attn_stream_k_fixup_uniformILi80ELi4ELi8EEvPfPK15HIP_vector_typeIfLj2EEiiiiiiS1_IjLj3EES5_S5_ ; -- Begin function _ZL33flash_attn_stream_k_fixup_uniformILi80ELi4ELi8EEvPfPK15HIP_vector_typeIfLj2EEiiiiiiS1_IjLj3EES5_S5_
	.p2align	8
	.type	_ZL33flash_attn_stream_k_fixup_uniformILi80ELi4ELi8EEvPfPK15HIP_vector_typeIfLj2EEiiiiiiS1_IjLj3EES5_S5_,@function
_ZL33flash_attn_stream_k_fixup_uniformILi80ELi4ELi8EEvPfPK15HIP_vector_typeIfLj2EEiiiiiiS1_IjLj3EES5_S5_: ; @_ZL33flash_attn_stream_k_fixup_uniformILi80ELi4ELi8EEvPfPK15HIP_vector_typeIfLj2EEiiiiiiS1_IjLj3EES5_S5_
; %bb.0:
	s_clause 0x1
	s_load_b256 s[4:11], s[0:1], 0x1c
	s_load_b128 s[16:19], s[0:1], 0x3c
	s_waitcnt lgkmcnt(0)
	s_mul_hi_u32 s2, s7, s13
	s_delay_alu instid0(SALU_CYCLE_1) | instskip(NEXT) | instid1(SALU_CYCLE_1)
	s_add_i32 s2, s13, s2
	s_lshr_b32 s2, s2, s8
	s_delay_alu instid0(SALU_CYCLE_1) | instskip(SKIP_2) | instid1(SALU_CYCLE_1)
	s_mul_i32 s3, s2, s9
	s_load_b64 s[8:9], s[0:1], 0x10
	s_sub_i32 s3, s13, s3
	s_mul_hi_u32 s7, s3, s10
	s_delay_alu instid0(SALU_CYCLE_1) | instskip(NEXT) | instid1(SALU_CYCLE_1)
	s_add_i32 s7, s3, s7
	s_lshr_b32 s7, s7, s11
	s_delay_alu instid0(SALU_CYCLE_1) | instskip(NEXT) | instid1(SALU_CYCLE_1)
	s_mul_i32 s10, s7, s16
	s_sub_i32 s3, s3, s10
	s_delay_alu instid0(SALU_CYCLE_1) | instskip(NEXT) | instid1(SALU_CYCLE_1)
	s_mul_hi_u32 s10, s3, s17
	s_add_i32 s10, s3, s10
	s_delay_alu instid0(SALU_CYCLE_1) | instskip(NEXT) | instid1(SALU_CYCLE_1)
	s_lshr_b32 s11, s10, s18
	s_mul_i32 s10, s11, s19
	s_lshl_b32 s11, s11, 3
	s_sub_i32 s10, s3, s10
	s_delay_alu instid0(SALU_CYCLE_1) | instskip(NEXT) | instid1(SALU_CYCLE_1)
	s_lshl_b32 s3, s10, 2
	s_add_i32 s3, s3, s14
	s_waitcnt lgkmcnt(0)
	s_cmp_lt_i32 s3, s8
	s_cselect_b32 s3, -1, 0
	s_add_i32 s11, s11, s15
	s_delay_alu instid0(SALU_CYCLE_1) | instskip(SKIP_1) | instid1(SALU_CYCLE_1)
	s_cmp_lt_i32 s11, s5
	s_cselect_b32 s12, -1, 0
	s_and_b32 s3, s3, s12
	s_delay_alu instid0(SALU_CYCLE_1)
	s_and_not1_b32 vcc_lo, exec_lo, s3
	s_cbranch_vccnz .LBB7_6
; %bb.1:
	s_mul_i32 s8, s2, s8
	s_mul_i32 s7, s7, s5
	s_add_i32 s8, s8, s14
	s_add_i32 s5, s11, s7
	s_mul_i32 s8, s8, s9
	s_load_b128 s[0:3], s[0:1], 0x0
	s_mul_i32 s7, s9, s10
	s_add_i32 s5, s5, s8
	s_mulk_i32 s7, 0x140
	s_mulk_i32 s5, 0x50
	s_lshl_b32 s9, s14, 3
	v_add3_u32 v1, s5, s7, v0
	s_mul_i32 s5, s13, s6
	s_delay_alu instid0(SALU_CYCLE_1) | instskip(NEXT) | instid1(VALU_DEP_1)
	s_add_i32 s10, s5, s6
	v_ashrrev_i32_e32 v2, 31, v1
	s_delay_alu instid0(VALU_DEP_1) | instskip(SKIP_1) | instid1(VALU_DEP_1)
	v_lshlrev_b64 v[1:2], 2, v[1:2]
	s_waitcnt lgkmcnt(0)
	v_add_co_u32 v1, vcc_lo, s0, v1
	s_delay_alu instid0(VALU_DEP_2) | instskip(SKIP_4) | instid1(SALU_CYCLE_1)
	v_add_co_ci_u32_e32 v2, vcc_lo, s1, v2, vcc_lo
	s_add_i32 s0, s9, s15
	s_lshl_b32 s1, s10, 5
	global_load_b32 v5, v[1:2], off
	s_add_i32 s0, s0, s1
	s_sub_i32 s0, s0, 32
	s_delay_alu instid0(SALU_CYCLE_1) | instskip(NEXT) | instid1(SALU_CYCLE_1)
	s_ashr_i32 s1, s0, 31
	s_lshl_b64 s[0:1], s[0:1], 3
	s_delay_alu instid0(SALU_CYCLE_1)
	s_add_u32 s0, s2, s0
	s_addc_u32 s1, s3, s1
	s_add_i32 s7, s10, -2
	s_load_b32 s11, s[0:1], 0x4
	s_cmp_lt_i32 s7, s5
	s_cbranch_scc1 .LBB7_4
; %bb.2:
	s_load_b32 s12, s[0:1], 0x0
	s_lshl_b32 s16, s4, 7
	s_mulk_i32 s14, 0x280
	s_ashr_i32 s17, s16, 31
	s_waitcnt lgkmcnt(0)
	v_mov_b32_e32 v6, s11
	s_lshl_b64 s[0:1], s[16:17], 2
	s_delay_alu instid0(SALU_CYCLE_1)
	s_add_u32 s7, s2, s0
	s_addc_u32 s8, s3, s1
	s_add_i32 s13, s13, 1
	s_lshl_b32 s4, s4, 5
	s_mul_i32 s0, s6, s13
	s_mul_i32 s6, s15, 0x50
	s_lshl_b32 s1, s0, 5
	s_mulk_i32 s0, 0xa00
	s_add_i32 s6, s6, s14
	s_add_i32 s1, s15, s1
	;; [unrolled: 1-line block ×4, first 2 shown]
	v_add3_u32 v3, s6, v0, 0xffffec00
	v_mov_b32_e32 v0, s12
	s_add_i32 s0, s0, s9
	s_add_i32 s4, s10, -1
	s_sub_i32 s0, s0, 64
.LBB7_3:                                ; =>This Inner Loop Header: Depth=1
	s_delay_alu instid0(VALU_DEP_2) | instskip(SKIP_1) | instid1(SALU_CYCLE_1)
	v_ashrrev_i32_e32 v4, 31, v3
	s_ashr_i32 s1, s0, 31
	s_lshl_b64 s[10:11], s[0:1], 3
	s_delay_alu instid0(SALU_CYCLE_1) | instskip(NEXT) | instid1(VALU_DEP_1)
	s_add_u32 s10, s2, s10
	v_lshlrev_b64 v[7:8], 2, v[3:4]
	s_addc_u32 s11, s3, s11
	s_add_i32 s4, s4, -1
	s_sub_i32 s0, s0, 32
	s_cmp_le_i32 s4, s5
	s_load_b64 s[10:11], s[10:11], 0x0
	v_add_co_u32 v7, vcc_lo, s7, v7
	v_add_co_ci_u32_e32 v8, vcc_lo, s8, v8, vcc_lo
	global_load_b32 v4, v[7:8], off
	v_max_f32_e32 v7, v0, v0
	s_waitcnt lgkmcnt(0)
	v_max_f32_e64 v8, s10, s10
	s_delay_alu instid0(VALU_DEP_1) | instskip(NEXT) | instid1(VALU_DEP_1)
	v_max_f32_e32 v7, v7, v8
	v_sub_f32_e32 v8, s10, v7
	s_delay_alu instid0(VALU_DEP_1) | instskip(NEXT) | instid1(VALU_DEP_1)
	v_dual_sub_f32 v0, v0, v7 :: v_dual_mul_f32 v9, 0x3fb8aa3b, v8
	v_fma_f32 v10, 0x3fb8aa3b, v8, -v9
	v_rndne_f32_e32 v11, v9
	s_delay_alu instid0(VALU_DEP_3) | instskip(NEXT) | instid1(VALU_DEP_2)
	v_mul_f32_e32 v12, 0x3fb8aa3b, v0
	v_dual_fmac_f32 v10, 0x32a5705f, v8 :: v_dual_sub_f32 v9, v9, v11
	v_cvt_i32_f32_e32 v11, v11
	s_delay_alu instid0(VALU_DEP_3) | instskip(SKIP_1) | instid1(VALU_DEP_4)
	v_fma_f32 v13, 0x3fb8aa3b, v0, -v12
	v_rndne_f32_e32 v14, v12
	v_add_f32_e32 v9, v9, v10
	v_cmp_ngt_f32_e32 vcc_lo, 0xc2ce8ed0, v8
	s_delay_alu instid0(VALU_DEP_3) | instskip(NEXT) | instid1(VALU_DEP_3)
	v_sub_f32_e32 v10, v12, v14
	v_exp_f32_e32 v9, v9
	s_waitcnt_depctr 0xfff
	v_ldexp_f32 v9, v9, v11
	v_cvt_i32_f32_e32 v11, v14
	s_delay_alu instid0(VALU_DEP_2) | instskip(SKIP_1) | instid1(VALU_DEP_2)
	v_cndmask_b32_e32 v9, 0, v9, vcc_lo
	v_cmp_nlt_f32_e32 vcc_lo, 0x42b17218, v8
	v_cndmask_b32_e32 v9, 0x7f800000, v9, vcc_lo
	v_cmp_ngt_f32_e32 vcc_lo, 0xc2ce8ed0, v0
	v_fmac_f32_e32 v13, 0x32a5705f, v0
	s_delay_alu instid0(VALU_DEP_1) | instskip(NEXT) | instid1(VALU_DEP_1)
	v_add_f32_e32 v10, v10, v13
	v_exp_f32_e32 v10, v10
	s_waitcnt_depctr 0xfff
	v_ldexp_f32 v10, v10, v11
	s_delay_alu instid0(VALU_DEP_1)
	v_dual_mov_b32 v11, v6 :: v_dual_cndmask_b32 v10, 0, v10
	v_cmp_le_f32_e32 vcc_lo, 0xc1a00000, v8
	s_waitcnt vmcnt(1)
	v_dual_cndmask_b32 v8, 0, v9 :: v_dual_mov_b32 v9, v5
	v_cmp_nlt_f32_e32 vcc_lo, 0x42b17218, v0
	v_cndmask_b32_e32 v5, 0x7f800000, v10, vcc_lo
	s_delay_alu instid0(VALU_DEP_3) | instskip(SKIP_2) | instid1(VALU_DEP_3)
	v_mul_f32_e32 v10, s11, v8
	v_cmp_le_f32_e32 vcc_lo, 0xc1a00000, v0
	v_mov_b32_e32 v0, v7
	v_mov_b32_e32 v6, v10
	s_waitcnt vmcnt(0)
	v_dual_cndmask_b32 v12, 0, v5 :: v_dual_mul_f32 v5, v4, v8
	s_delay_alu instid0(VALU_DEP_1) | instskip(NEXT) | instid1(VALU_DEP_2)
	v_dual_fmac_f32 v6, v11, v12 :: v_dual_add_nc_u32 v3, 0xfffff600, v3
	v_fmac_f32_e32 v5, v9, v12
	s_cbranch_scc0 .LBB7_3
	s_branch .LBB7_5
.LBB7_4:
	s_waitcnt lgkmcnt(0)
	v_mov_b32_e32 v6, s11
.LBB7_5:
	s_waitcnt vmcnt(0)
	s_delay_alu instid0(VALU_DEP_1) | instskip(NEXT) | instid1(VALU_DEP_1)
	v_div_scale_f32 v0, null, v6, v6, v5
	v_rcp_f32_e32 v3, v0
	s_waitcnt_depctr 0xfff
	v_fma_f32 v4, -v0, v3, 1.0
	s_delay_alu instid0(VALU_DEP_1) | instskip(SKIP_1) | instid1(VALU_DEP_1)
	v_fmac_f32_e32 v3, v4, v3
	v_div_scale_f32 v4, vcc_lo, v5, v6, v5
	v_mul_f32_e32 v7, v4, v3
	s_delay_alu instid0(VALU_DEP_1) | instskip(NEXT) | instid1(VALU_DEP_1)
	v_fma_f32 v8, -v0, v7, v4
	v_fmac_f32_e32 v7, v8, v3
	s_delay_alu instid0(VALU_DEP_1) | instskip(NEXT) | instid1(VALU_DEP_1)
	v_fma_f32 v0, -v0, v7, v4
	v_div_fmas_f32 v0, v0, v3, v7
	s_delay_alu instid0(VALU_DEP_1)
	v_div_fixup_f32 v0, v0, v6, v5
	global_store_b32 v[1:2], v0, off
.LBB7_6:
	s_nop 0
	s_sendmsg sendmsg(MSG_DEALLOC_VGPRS)
	s_endpgm
	.section	.rodata,"a",@progbits
	.p2align	6, 0x0
	.amdhsa_kernel _ZL33flash_attn_stream_k_fixup_uniformILi80ELi4ELi8EEvPfPK15HIP_vector_typeIfLj2EEiiiiiiS1_IjLj3EES5_S5_
		.amdhsa_group_segment_fixed_size 0
		.amdhsa_private_segment_fixed_size 0
		.amdhsa_kernarg_size 76
		.amdhsa_user_sgpr_count 13
		.amdhsa_user_sgpr_dispatch_ptr 0
		.amdhsa_user_sgpr_queue_ptr 0
		.amdhsa_user_sgpr_kernarg_segment_ptr 1
		.amdhsa_user_sgpr_dispatch_id 0
		.amdhsa_user_sgpr_private_segment_size 0
		.amdhsa_wavefront_size32 1
		.amdhsa_uses_dynamic_stack 0
		.amdhsa_enable_private_segment 0
		.amdhsa_system_sgpr_workgroup_id_x 1
		.amdhsa_system_sgpr_workgroup_id_y 1
		.amdhsa_system_sgpr_workgroup_id_z 1
		.amdhsa_system_sgpr_workgroup_info 0
		.amdhsa_system_vgpr_workitem_id 0
		.amdhsa_next_free_vgpr 15
		.amdhsa_next_free_sgpr 20
		.amdhsa_reserve_vcc 1
		.amdhsa_float_round_mode_32 0
		.amdhsa_float_round_mode_16_64 0
		.amdhsa_float_denorm_mode_32 3
		.amdhsa_float_denorm_mode_16_64 3
		.amdhsa_dx10_clamp 1
		.amdhsa_ieee_mode 1
		.amdhsa_fp16_overflow 0
		.amdhsa_workgroup_processor_mode 1
		.amdhsa_memory_ordered 1
		.amdhsa_forward_progress 0
		.amdhsa_shared_vgpr_count 0
		.amdhsa_exception_fp_ieee_invalid_op 0
		.amdhsa_exception_fp_denorm_src 0
		.amdhsa_exception_fp_ieee_div_zero 0
		.amdhsa_exception_fp_ieee_overflow 0
		.amdhsa_exception_fp_ieee_underflow 0
		.amdhsa_exception_fp_ieee_inexact 0
		.amdhsa_exception_int_div_zero 0
	.end_amdhsa_kernel
	.section	.text._ZL33flash_attn_stream_k_fixup_uniformILi80ELi4ELi8EEvPfPK15HIP_vector_typeIfLj2EEiiiiiiS1_IjLj3EES5_S5_,"axG",@progbits,_ZL33flash_attn_stream_k_fixup_uniformILi80ELi4ELi8EEvPfPK15HIP_vector_typeIfLj2EEiiiiiiS1_IjLj3EES5_S5_,comdat
.Lfunc_end7:
	.size	_ZL33flash_attn_stream_k_fixup_uniformILi80ELi4ELi8EEvPfPK15HIP_vector_typeIfLj2EEiiiiiiS1_IjLj3EES5_S5_, .Lfunc_end7-_ZL33flash_attn_stream_k_fixup_uniformILi80ELi4ELi8EEvPfPK15HIP_vector_typeIfLj2EEiiiiiiS1_IjLj3EES5_S5_
                                        ; -- End function
	.section	.AMDGPU.csdata,"",@progbits
; Kernel info:
; codeLenInByte = 992
; NumSgprs: 22
; NumVgprs: 15
; ScratchSize: 0
; MemoryBound: 0
; FloatMode: 240
; IeeeMode: 1
; LDSByteSize: 0 bytes/workgroup (compile time only)
; SGPRBlocks: 2
; VGPRBlocks: 1
; NumSGPRsForWavesPerEU: 22
; NumVGPRsForWavesPerEU: 15
; Occupancy: 16
; WaveLimiterHint : 0
; COMPUTE_PGM_RSRC2:SCRATCH_EN: 0
; COMPUTE_PGM_RSRC2:USER_SGPR: 13
; COMPUTE_PGM_RSRC2:TRAP_HANDLER: 0
; COMPUTE_PGM_RSRC2:TGID_X_EN: 1
; COMPUTE_PGM_RSRC2:TGID_Y_EN: 1
; COMPUTE_PGM_RSRC2:TGID_Z_EN: 1
; COMPUTE_PGM_RSRC2:TIDIG_COMP_CNT: 0
	.section	.text._ZL33flash_attn_stream_k_fixup_generalILi80ELi4ELi8EEvPfPK15HIP_vector_typeIfLj2EEiiiiS1_IjLj3EES5_S5_S5_,"axG",@progbits,_ZL33flash_attn_stream_k_fixup_generalILi80ELi4ELi8EEvPfPK15HIP_vector_typeIfLj2EEiiiiS1_IjLj3EES5_S5_S5_,comdat
	.globl	_ZL33flash_attn_stream_k_fixup_generalILi80ELi4ELi8EEvPfPK15HIP_vector_typeIfLj2EEiiiiS1_IjLj3EES5_S5_S5_ ; -- Begin function _ZL33flash_attn_stream_k_fixup_generalILi80ELi4ELi8EEvPfPK15HIP_vector_typeIfLj2EEiiiiS1_IjLj3EES5_S5_S5_
	.p2align	8
	.type	_ZL33flash_attn_stream_k_fixup_generalILi80ELi4ELi8EEvPfPK15HIP_vector_typeIfLj2EEiiiiS1_IjLj3EES5_S5_S5_,@function
_ZL33flash_attn_stream_k_fixup_generalILi80ELi4ELi8EEvPfPK15HIP_vector_typeIfLj2EEiiiiS1_IjLj3EES5_S5_S5_: ; @_ZL33flash_attn_stream_k_fixup_generalILi80ELi4ELi8EEvPfPK15HIP_vector_typeIfLj2EEiiiiS1_IjLj3EES5_S5_S5_
; %bb.0:
	s_clause 0x1
	s_load_b128 s[4:7], s[0:1], 0x10
	s_load_b32 s20, s[0:1], 0x50
	s_mov_b32 s2, 0
	s_waitcnt lgkmcnt(0)
	s_mul_hi_i32 s3, s7, s13
	s_mul_i32 s12, s7, s13
	s_cmp_lg_u64 s[2:3], 0
	s_cbranch_scc0 .LBB8_21
; %bb.1:
	v_cvt_f32_ubyte0_e32 v1, 0
	v_cvt_f32_u32_e32 v2, s20
	s_sub_u32 s10, 0, s20
	s_subb_u32 s11, 0, 0
	s_delay_alu instid0(VALU_DEP_1) | instskip(NEXT) | instid1(VALU_DEP_1)
	v_fmamk_f32 v1, v1, 0x4f800000, v2
	v_rcp_f32_e32 v1, v1
	s_waitcnt_depctr 0xfff
	v_mul_f32_e32 v1, 0x5f7ffffc, v1
	s_delay_alu instid0(VALU_DEP_1) | instskip(NEXT) | instid1(VALU_DEP_1)
	v_mul_f32_e32 v2, 0x2f800000, v1
	v_trunc_f32_e32 v2, v2
	s_delay_alu instid0(VALU_DEP_1) | instskip(SKIP_1) | instid1(VALU_DEP_2)
	v_fmamk_f32 v1, v2, 0xcf800000, v1
	v_cvt_u32_f32_e32 v2, v2
	v_cvt_u32_f32_e32 v1, v1
	s_delay_alu instid0(VALU_DEP_2) | instskip(NEXT) | instid1(VALU_DEP_2)
	v_readfirstlane_b32 s8, v2
	v_readfirstlane_b32 s9, v1
	s_delay_alu instid0(VALU_DEP_2) | instskip(NEXT) | instid1(VALU_DEP_1)
	s_mul_i32 s16, s10, s8
	s_mul_hi_u32 s18, s10, s9
	s_mul_i32 s17, s11, s9
	s_add_i32 s16, s18, s16
	s_mul_i32 s19, s10, s9
	s_add_i32 s16, s16, s17
	s_mul_hi_u32 s18, s9, s19
	s_mul_hi_u32 s21, s8, s19
	s_mul_i32 s17, s8, s19
	s_mul_hi_u32 s19, s9, s16
	s_mul_i32 s9, s9, s16
	s_mul_hi_u32 s22, s8, s16
	s_add_u32 s9, s18, s9
	s_addc_u32 s18, 0, s19
	s_add_u32 s9, s9, s17
	s_mul_i32 s16, s8, s16
	s_addc_u32 s9, s18, s21
	s_addc_u32 s17, s22, 0
	s_add_u32 s9, s9, s16
	s_addc_u32 s16, 0, s17
	v_add_co_u32 v1, s9, v1, s9
	s_delay_alu instid0(VALU_DEP_1) | instskip(SKIP_1) | instid1(VALU_DEP_1)
	s_cmp_lg_u32 s9, 0
	s_addc_u32 s8, s8, s16
	v_readfirstlane_b32 s9, v1
	s_mul_i32 s16, s10, s8
	s_delay_alu instid0(VALU_DEP_1)
	s_mul_hi_u32 s17, s10, s9
	s_mul_i32 s11, s11, s9
	s_add_i32 s16, s17, s16
	s_mul_i32 s10, s10, s9
	s_add_i32 s16, s16, s11
	s_mul_hi_u32 s17, s8, s10
	s_mul_i32 s18, s8, s10
	s_mul_hi_u32 s10, s9, s10
	s_mul_hi_u32 s19, s9, s16
	s_mul_i32 s9, s9, s16
	s_mul_hi_u32 s11, s8, s16
	s_add_u32 s9, s10, s9
	s_addc_u32 s10, 0, s19
	s_add_u32 s9, s9, s18
	s_mul_i32 s16, s8, s16
	s_addc_u32 s9, s10, s17
	s_addc_u32 s10, s11, 0
	s_add_u32 s9, s9, s16
	s_addc_u32 s10, 0, s10
	v_add_co_u32 v1, s9, v1, s9
	s_delay_alu instid0(VALU_DEP_1) | instskip(SKIP_2) | instid1(SALU_CYCLE_1)
	s_cmp_lg_u32 s9, 0
	s_addc_u32 s16, s8, s10
	s_ashr_i32 s8, s3, 31
	s_add_u32 s10, s12, s8
	s_addc_u32 s11, s3, s8
	v_readfirstlane_b32 s3, v1
	s_mov_b32 s9, s8
	s_delay_alu instid0(SALU_CYCLE_1) | instskip(NEXT) | instid1(SALU_CYCLE_1)
	s_xor_b64 s[10:11], s[10:11], s[8:9]
	s_mul_i32 s18, s10, s16
	s_delay_alu instid0(VALU_DEP_1)
	s_mul_hi_u32 s19, s10, s3
	s_mul_hi_u32 s17, s10, s16
	;; [unrolled: 1-line block ×3, first 2 shown]
	s_mul_i32 s3, s11, s3
	s_add_u32 s18, s19, s18
	s_addc_u32 s17, 0, s17
	s_mul_hi_u32 s21, s11, s16
	s_add_u32 s3, s18, s3
	s_mul_i32 s16, s11, s16
	s_addc_u32 s3, s17, s22
	s_addc_u32 s17, s21, 0
	s_add_u32 s3, s3, s16
	s_addc_u32 s16, 0, s17
	s_mul_i32 s18, s20, s3
	s_add_u32 s17, s3, 1
	v_sub_co_u32 v1, s10, s10, s18
	s_mul_hi_u32 s18, s20, s3
	s_addc_u32 s19, s16, 0
	s_mul_i32 s21, s20, s16
	s_delay_alu instid0(VALU_DEP_1)
	v_sub_co_u32 v2, s22, v1, s20
	s_add_u32 s23, s3, 2
	s_addc_u32 s24, s16, 0
	s_add_i32 s18, s18, s21
	s_cmp_lg_u32 s10, 0
	v_readfirstlane_b32 s10, v2
	s_subb_u32 s11, s11, s18
	s_cmp_lg_u32 s22, 0
	s_subb_u32 s18, s11, 0
	s_delay_alu instid0(VALU_DEP_1) | instskip(SKIP_4) | instid1(SALU_CYCLE_1)
	s_cmp_ge_u32 s10, s20
	s_cselect_b32 s10, -1, 0
	s_cmp_eq_u32 s18, 0
	v_readfirstlane_b32 s18, v1
	s_cselect_b32 s10, s10, -1
	s_cmp_lg_u32 s10, 0
	s_cselect_b32 s10, s23, s17
	s_cselect_b32 s17, s24, s19
	s_cmp_ge_u32 s18, s20
	s_cselect_b32 s18, -1, 0
	s_cmp_eq_u32 s11, 0
	s_cselect_b32 s11, s18, -1
	s_delay_alu instid0(SALU_CYCLE_1) | instskip(SKIP_2) | instid1(SALU_CYCLE_1)
	s_cmp_lg_u32 s11, 0
	s_cselect_b32 s11, s17, s16
	s_cselect_b32 s10, s10, s3
	s_xor_b64 s[10:11], s[10:11], s[8:9]
	s_delay_alu instid0(SALU_CYCLE_1)
	s_sub_u32 s16, s10, s8
	s_load_b128 s[8:11], s[0:1], 0x44
	s_and_not1_b32 vcc_lo, exec_lo, s2
	s_cbranch_vccnz .LBB8_3
.LBB8_2:
	v_cvt_f32_u32_e32 v1, s20
	s_sub_i32 s3, 0, s20
	s_delay_alu instid0(VALU_DEP_1) | instskip(SKIP_2) | instid1(VALU_DEP_1)
	v_rcp_iflag_f32_e32 v1, v1
	s_waitcnt_depctr 0xfff
	v_mul_f32_e32 v1, 0x4f7ffffe, v1
	v_cvt_u32_f32_e32 v1, v1
	s_delay_alu instid0(VALU_DEP_1) | instskip(NEXT) | instid1(VALU_DEP_1)
	v_readfirstlane_b32 s2, v1
	s_mul_i32 s3, s3, s2
	s_delay_alu instid0(SALU_CYCLE_1) | instskip(NEXT) | instid1(SALU_CYCLE_1)
	s_mul_hi_u32 s3, s2, s3
	s_add_i32 s2, s2, s3
	s_delay_alu instid0(SALU_CYCLE_1) | instskip(NEXT) | instid1(SALU_CYCLE_1)
	s_mul_hi_u32 s2, s12, s2
	s_mul_i32 s3, s2, s20
	s_waitcnt lgkmcnt(0)
	s_add_i32 s11, s2, 1
	s_sub_i32 s3, s12, s3
	s_delay_alu instid0(SALU_CYCLE_1)
	s_sub_i32 s12, s3, s20
	s_cmp_ge_u32 s3, s20
	s_cselect_b32 s2, s11, s2
	s_cselect_b32 s3, s12, s3
	s_add_i32 s11, s2, 1
	s_cmp_ge_u32 s3, s20
	s_cselect_b32 s16, s11, s2
.LBB8_3:
	s_waitcnt lgkmcnt(0)
	s_add_i32 s11, s13, 1
	s_mov_b32 s2, 0
	s_mul_hi_i32 s3, s7, s11
	s_mul_i32 s11, s7, s11
	s_cmp_lg_u64 s[2:3], 0
	s_cbranch_scc0 .LBB8_22
; %bb.4:
	v_cvt_f32_ubyte0_e32 v1, 0
	v_cvt_f32_u32_e32 v2, s20
	s_sub_u32 s18, 0, s20
	s_subb_u32 s19, 0, 0
	s_delay_alu instid0(VALU_DEP_1) | instskip(NEXT) | instid1(VALU_DEP_1)
	v_fmamk_f32 v1, v1, 0x4f800000, v2
	v_rcp_f32_e32 v1, v1
	s_waitcnt_depctr 0xfff
	v_mul_f32_e32 v1, 0x5f7ffffc, v1
	s_delay_alu instid0(VALU_DEP_1) | instskip(NEXT) | instid1(VALU_DEP_1)
	v_mul_f32_e32 v2, 0x2f800000, v1
	v_trunc_f32_e32 v2, v2
	s_delay_alu instid0(VALU_DEP_1) | instskip(SKIP_1) | instid1(VALU_DEP_2)
	v_fmamk_f32 v1, v2, 0xcf800000, v1
	v_cvt_u32_f32_e32 v2, v2
	v_cvt_u32_f32_e32 v1, v1
	s_delay_alu instid0(VALU_DEP_2) | instskip(NEXT) | instid1(VALU_DEP_2)
	v_readfirstlane_b32 s12, v2
	v_readfirstlane_b32 s17, v1
	s_delay_alu instid0(VALU_DEP_2) | instskip(NEXT) | instid1(VALU_DEP_1)
	s_mul_i32 s21, s18, s12
	s_mul_hi_u32 s23, s18, s17
	s_mul_i32 s22, s19, s17
	s_add_i32 s21, s23, s21
	s_mul_i32 s24, s18, s17
	s_add_i32 s21, s21, s22
	s_mul_hi_u32 s23, s17, s24
	s_mul_hi_u32 s25, s12, s24
	s_mul_i32 s22, s12, s24
	s_mul_hi_u32 s24, s17, s21
	s_mul_i32 s17, s17, s21
	s_mul_hi_u32 s26, s12, s21
	s_add_u32 s17, s23, s17
	s_addc_u32 s23, 0, s24
	s_add_u32 s17, s17, s22
	s_mul_i32 s21, s12, s21
	s_addc_u32 s17, s23, s25
	s_addc_u32 s22, s26, 0
	s_add_u32 s17, s17, s21
	s_addc_u32 s21, 0, s22
	v_add_co_u32 v1, s17, v1, s17
	s_delay_alu instid0(VALU_DEP_1) | instskip(SKIP_1) | instid1(VALU_DEP_1)
	s_cmp_lg_u32 s17, 0
	s_addc_u32 s12, s12, s21
	v_readfirstlane_b32 s17, v1
	s_mul_i32 s21, s18, s12
	s_delay_alu instid0(VALU_DEP_1)
	s_mul_hi_u32 s22, s18, s17
	s_mul_i32 s19, s19, s17
	s_add_i32 s21, s22, s21
	s_mul_i32 s18, s18, s17
	s_add_i32 s21, s21, s19
	s_mul_hi_u32 s22, s12, s18
	s_mul_i32 s23, s12, s18
	s_mul_hi_u32 s18, s17, s18
	s_mul_hi_u32 s24, s17, s21
	s_mul_i32 s17, s17, s21
	s_mul_hi_u32 s19, s12, s21
	s_add_u32 s17, s18, s17
	s_addc_u32 s18, 0, s24
	s_add_u32 s17, s17, s23
	s_mul_i32 s21, s12, s21
	s_addc_u32 s17, s18, s22
	s_addc_u32 s18, s19, 0
	s_add_u32 s17, s17, s21
	s_addc_u32 s18, 0, s18
	v_add_co_u32 v1, s17, v1, s17
	s_delay_alu instid0(VALU_DEP_1) | instskip(SKIP_2) | instid1(SALU_CYCLE_1)
	s_cmp_lg_u32 s17, 0
	s_addc_u32 s12, s12, s18
	s_ashr_i32 s18, s3, 31
	s_add_u32 s22, s11, s18
	s_addc_u32 s23, s3, s18
	v_readfirstlane_b32 s3, v1
	s_mov_b32 s19, s18
	s_delay_alu instid0(SALU_CYCLE_1) | instskip(NEXT) | instid1(SALU_CYCLE_1)
	s_xor_b64 s[22:23], s[22:23], s[18:19]
	s_mul_i32 s21, s22, s12
	s_delay_alu instid0(VALU_DEP_1)
	s_mul_hi_u32 s24, s22, s3
	s_mul_hi_u32 s17, s22, s12
	;; [unrolled: 1-line block ×3, first 2 shown]
	s_mul_i32 s3, s23, s3
	s_add_u32 s21, s24, s21
	s_addc_u32 s17, 0, s17
	s_mul_hi_u32 s25, s23, s12
	s_add_u32 s3, s21, s3
	s_mul_i32 s12, s23, s12
	s_addc_u32 s3, s17, s26
	s_addc_u32 s17, s25, 0
	s_add_u32 s3, s3, s12
	s_addc_u32 s12, 0, s17
	s_mul_i32 s21, s20, s3
	s_add_u32 s17, s3, 1
	v_sub_co_u32 v1, s21, s22, s21
	s_mul_hi_u32 s22, s20, s3
	s_addc_u32 s24, s12, 0
	s_mul_i32 s25, s20, s12
	s_delay_alu instid0(VALU_DEP_1)
	v_sub_co_u32 v2, s26, v1, s20
	s_add_u32 s27, s3, 2
	s_addc_u32 s28, s12, 0
	s_add_i32 s22, s22, s25
	s_cmp_lg_u32 s21, 0
	v_readfirstlane_b32 s21, v2
	s_subb_u32 s22, s23, s22
	s_cmp_lg_u32 s26, 0
	s_subb_u32 s23, s22, 0
	s_delay_alu instid0(VALU_DEP_1) | instskip(SKIP_4) | instid1(SALU_CYCLE_1)
	s_cmp_ge_u32 s21, s20
	s_cselect_b32 s21, -1, 0
	s_cmp_eq_u32 s23, 0
	v_readfirstlane_b32 s23, v1
	s_cselect_b32 s21, s21, -1
	s_cmp_lg_u32 s21, 0
	s_cselect_b32 s17, s27, s17
	s_cselect_b32 s21, s28, s24
	s_cmp_ge_u32 s23, s20
	s_cselect_b32 s23, -1, 0
	s_cmp_eq_u32 s22, 0
	s_cselect_b32 s22, s23, -1
	s_delay_alu instid0(SALU_CYCLE_1) | instskip(SKIP_2) | instid1(SALU_CYCLE_1)
	s_cmp_lg_u32 s22, 0
	s_cselect_b32 s23, s21, s12
	s_cselect_b32 s22, s17, s3
	s_xor_b64 s[22:23], s[22:23], s[18:19]
	s_delay_alu instid0(SALU_CYCLE_1)
	s_sub_u32 s18, s22, s18
	s_and_not1_b32 vcc_lo, exec_lo, s2
	s_cbranch_vccnz .LBB8_6
.LBB8_5:
	v_cvt_f32_u32_e32 v1, s20
	s_sub_i32 s3, 0, s20
	s_delay_alu instid0(VALU_DEP_1) | instskip(SKIP_2) | instid1(VALU_DEP_1)
	v_rcp_iflag_f32_e32 v1, v1
	s_waitcnt_depctr 0xfff
	v_mul_f32_e32 v1, 0x4f7ffffe, v1
	v_cvt_u32_f32_e32 v1, v1
	s_delay_alu instid0(VALU_DEP_1) | instskip(NEXT) | instid1(VALU_DEP_1)
	v_readfirstlane_b32 s2, v1
	s_mul_i32 s3, s3, s2
	s_delay_alu instid0(SALU_CYCLE_1) | instskip(NEXT) | instid1(SALU_CYCLE_1)
	s_mul_hi_u32 s3, s2, s3
	s_add_i32 s2, s2, s3
	s_delay_alu instid0(SALU_CYCLE_1) | instskip(NEXT) | instid1(SALU_CYCLE_1)
	s_mul_hi_u32 s2, s11, s2
	s_mul_i32 s3, s2, s20
	s_delay_alu instid0(SALU_CYCLE_1)
	s_sub_i32 s3, s11, s3
	s_add_i32 s11, s2, 1
	s_sub_i32 s12, s3, s20
	s_cmp_ge_u32 s3, s20
	s_cselect_b32 s2, s11, s2
	s_cselect_b32 s3, s12, s3
	s_add_i32 s11, s2, 1
	s_cmp_ge_u32 s3, s20
	s_cselect_b32 s18, s11, s2
.LBB8_6:
	s_delay_alu instid0(SALU_CYCLE_1) | instskip(SKIP_3) | instid1(SALU_CYCLE_1)
	s_cmp_eq_u32 s16, s18
	s_mul_hi_u32 s2, s16, s8
	s_cselect_b32 s3, -1, 0
	s_add_i32 s2, s2, s16
	s_lshr_b32 s11, s2, s9
	s_delay_alu instid0(SALU_CYCLE_1) | instskip(NEXT) | instid1(SALU_CYCLE_1)
	s_mul_i32 s2, s11, s10
	s_cmp_eq_u32 s2, s16
	s_mul_hi_u32 s2, s18, s8
	s_cselect_b32 s12, -1, 0
	s_add_i32 s2, s2, s18
	s_delay_alu instid0(SALU_CYCLE_1) | instskip(NEXT) | instid1(SALU_CYCLE_1)
	s_lshr_b32 s2, s2, s9
	s_cmp_eq_u32 s11, s2
	s_mul_i32 s2, s2, s10
	s_cselect_b32 s17, -1, 0
	s_cmp_lg_u32 s2, s18
	s_cselect_b32 s2, -1, 0
	s_or_b32 s3, s3, s12
	s_and_b32 s2, s17, s2
	s_delay_alu instid0(SALU_CYCLE_1) | instskip(NEXT) | instid1(SALU_CYCLE_1)
	s_or_b32 s2, s3, s2
	s_and_b32 vcc_lo, exec_lo, s2
	s_cbranch_vccnz .LBB8_24
; %bb.7:
	s_load_b256 s[24:31], s[0:1], 0x20
	s_waitcnt lgkmcnt(0)
	s_mul_hi_u32 s2, s16, s24
	s_delay_alu instid0(SALU_CYCLE_1) | instskip(NEXT) | instid1(SALU_CYCLE_1)
	s_add_i32 s2, s2, s16
	s_lshr_b32 s17, s2, s25
	s_load_b32 s2, s[0:1], 0x40
	s_mul_i32 s3, s17, s26
	s_delay_alu instid0(SALU_CYCLE_1) | instskip(NEXT) | instid1(SALU_CYCLE_1)
	s_sub_i32 s3, s16, s3
	s_mul_hi_u32 s12, s3, s27
	s_delay_alu instid0(SALU_CYCLE_1) | instskip(NEXT) | instid1(SALU_CYCLE_1)
	s_add_i32 s12, s3, s12
	s_lshr_b32 s19, s12, s28
	s_delay_alu instid0(SALU_CYCLE_1) | instskip(NEXT) | instid1(SALU_CYCLE_1)
	s_mul_i32 s12, s19, s29
	s_sub_i32 s3, s3, s12
	s_delay_alu instid0(SALU_CYCLE_1) | instskip(NEXT) | instid1(SALU_CYCLE_1)
	s_mul_hi_u32 s12, s3, s30
	s_add_i32 s12, s3, s12
	s_delay_alu instid0(SALU_CYCLE_1)
	s_lshr_b32 s12, s12, s31
	s_waitcnt lgkmcnt(0)
	s_mul_i32 s2, s12, s2
	s_lshl_b32 s21, s12, 3
	s_sub_i32 s2, s3, s2
	s_mov_b32 s12, 0
	s_mul_hi_u32 s3, s2, s8
	s_delay_alu instid0(SALU_CYCLE_1) | instskip(NEXT) | instid1(SALU_CYCLE_1)
	s_add_i32 s2, s2, s3
	s_lshr_b32 s18, s2, s9
	s_delay_alu instid0(SALU_CYCLE_1) | instskip(NEXT) | instid1(SALU_CYCLE_1)
	s_lshl_b32 s2, s18, 2
	s_add_i32 s2, s2, s14
	s_delay_alu instid0(SALU_CYCLE_1) | instskip(SKIP_2) | instid1(SALU_CYCLE_1)
	s_cmp_lt_i32 s2, s4
	s_cselect_b32 s2, -1, 0
	s_add_i32 s21, s21, s15
	s_cmp_lt_i32 s21, s6
	s_cselect_b32 s3, -1, 0
	s_delay_alu instid0(SALU_CYCLE_1) | instskip(NEXT) | instid1(SALU_CYCLE_1)
	s_and_b32 s2, s2, s3
	s_and_not1_b32 vcc_lo, exec_lo, s2
	s_cbranch_vccnz .LBB8_24
; %bb.8:
	s_load_b128 s[0:3], s[0:1], 0x0
	s_lshl_b32 s22, s20, 7
	s_mov_b32 s23, s12
	s_lshl_b32 s24, s14, 3
	s_lshl_b64 s[22:23], s[22:23], 2
	s_mul_i32 s19, s19, s6
	s_mul_i32 s4, s17, s4
	s_add_i32 s6, s24, s15
	v_cvt_f32_ubyte0_e32 v3, 0
	v_cvt_f32_u32_e32 v4, s20
	s_waitcnt lgkmcnt(0)
	s_add_u32 s15, s2, s22
	s_addc_u32 s17, s3, s23
	s_add_i32 s4, s4, s14
	s_add_i32 s14, s21, s19
	s_mul_i32 s4, s4, s5
	s_mul_i32 s5, s5, s18
	s_add_i32 s4, s14, s4
	s_mulk_i32 s5, 0x140
	s_mulk_i32 s4, 0x50
	s_delay_alu instid0(SALU_CYCLE_1) | instskip(NEXT) | instid1(VALU_DEP_1)
	v_add3_u32 v1, s5, s4, v0
	v_ashrrev_i32_e32 v2, 31, v1
	s_delay_alu instid0(VALU_DEP_1) | instskip(NEXT) | instid1(VALU_DEP_1)
	v_lshlrev_b64 v[1:2], 2, v[1:2]
	v_add_co_u32 v1, vcc_lo, s0, v1
	s_delay_alu instid0(VALU_DEP_2) | instskip(SKIP_1) | instid1(SALU_CYCLE_1)
	v_add_co_ci_u32_e32 v2, vcc_lo, s1, v2, vcc_lo
	s_lshl_b32 s0, s13, 5
	s_add_i32 s0, s6, s0
	global_load_b32 v5, v[1:2], off
	s_ashr_i32 s1, s0, 31
	s_delay_alu instid0(SALU_CYCLE_1) | instskip(NEXT) | instid1(SALU_CYCLE_1)
	s_lshl_b64 s[0:1], s[0:1], 3
	s_add_u32 s0, s2, s0
	s_addc_u32 s1, s3, s1
	s_add_i32 s18, s13, -1
	s_load_b64 s[0:1], s[0:1], 0x0
	v_fmac_f32_e32 v4, 0x4f800000, v3
	s_sub_i32 s14, 0, s20
	s_delay_alu instid0(VALU_DEP_1)
	v_rcp_f32_e32 v3, v4
	s_waitcnt_depctr 0xfff
	v_mul_f32_e32 v6, 0x5f7ffffc, v3
	v_cvt_f32_u32_e32 v3, s20
	s_waitcnt lgkmcnt(0)
	v_mov_b32_e32 v8, s0
	s_delay_alu instid0(VALU_DEP_3) | instskip(NEXT) | instid1(VALU_DEP_3)
	v_mul_f32_e32 v4, 0x2f800000, v6
	v_rcp_iflag_f32_e32 v7, v3
	s_delay_alu instid0(VALU_DEP_1) | instskip(SKIP_1) | instid1(VALU_DEP_2)
	v_trunc_f32_e32 v9, v4
	v_mad_u64_u32 v[3:4], null, 0x50, s6, v[0:1]
	v_fmac_f32_e32 v6, 0xcf800000, v9
	s_waitcnt_depctr 0xfff
	v_dual_mul_f32 v10, 0x4f7ffffe, v7 :: v_dual_mov_b32 v7, s1
	v_cvt_u32_f32_e32 v4, v9
	v_cvt_u32_f32_e32 v0, v6
	s_delay_alu instid0(VALU_DEP_3)
	v_cvt_u32_f32_e32 v6, v10
.LBB8_9:                                ; =>This Inner Loop Header: Depth=1
	s_mul_hi_i32 s13, s18, s7
	s_mul_i32 s4, s18, s7
	s_cmp_lg_u64 s[12:13], 0
	s_mov_b32 s5, -1
                                        ; implicit-def: $sgpr0_sgpr1
	s_cbranch_scc0 .LBB8_11
; %bb.10:                               ;   in Loop: Header=BB8_9 Depth=1
	v_readfirstlane_b32 s0, v0
	v_readfirstlane_b32 s1, v4
	s_sub_u32 s5, 0, s20
	s_subb_u32 s19, 0, 0
	s_delay_alu instid0(VALU_DEP_2) | instskip(NEXT) | instid1(VALU_DEP_1)
	s_mul_hi_u32 s21, s5, s0
	s_mul_i32 s22, s5, s1
	s_mul_i32 s23, s19, s0
	s_add_i32 s21, s21, s22
	s_mul_i32 s22, s5, s0
	s_add_i32 s21, s21, s23
	s_mul_hi_u32 s23, s0, s22
	s_mul_i32 s24, s0, s21
	s_mul_hi_u32 s0, s0, s21
	s_add_u32 s23, s23, s24
	s_mul_i32 s25, s1, s22
	s_addc_u32 s0, 0, s0
	s_mul_hi_u32 s22, s1, s22
	s_mul_hi_u32 s24, s1, s21
	s_add_u32 s23, s23, s25
	s_addc_u32 s0, s0, s22
	s_mul_i32 s21, s1, s21
	s_addc_u32 s22, s24, 0
	s_add_u32 s0, s0, s21
	s_addc_u32 s21, 0, s22
	v_add_co_u32 v9, s0, v0, s0
	s_delay_alu instid0(VALU_DEP_1) | instskip(SKIP_1) | instid1(VALU_DEP_1)
	s_cmp_lg_u32 s0, 0
	s_addc_u32 s1, s1, s21
	v_readfirstlane_b32 s0, v9
	s_mul_i32 s21, s5, s1
	s_delay_alu instid0(VALU_DEP_1)
	s_mul_hi_u32 s22, s5, s0
	s_mul_i32 s19, s19, s0
	s_add_i32 s21, s22, s21
	s_mul_i32 s5, s5, s0
	s_add_i32 s21, s21, s19
	s_mul_hi_u32 s19, s1, s5
	s_mul_i32 s23, s1, s5
	s_mul_i32 s24, s0, s21
	s_mul_hi_u32 s5, s0, s5
	s_mul_hi_u32 s0, s0, s21
	s_add_u32 s5, s5, s24
	s_addc_u32 s0, 0, s0
	s_mul_hi_u32 s22, s1, s21
	s_add_u32 s5, s5, s23
	s_addc_u32 s0, s0, s19
	s_mul_i32 s5, s1, s21
	s_addc_u32 s19, s22, 0
	s_add_u32 s0, s0, s5
	s_addc_u32 s5, 0, s19
	v_add_co_u32 v9, s0, v9, s0
	s_delay_alu instid0(VALU_DEP_1) | instskip(SKIP_2) | instid1(SALU_CYCLE_1)
	s_cmp_lg_u32 s0, 0
	s_addc_u32 s5, s1, s5
	s_ashr_i32 s0, s13, 31
	s_add_u32 s22, s4, s0
	s_addc_u32 s23, s13, s0
	v_readfirstlane_b32 s13, v9
	s_mov_b32 s1, s0
	s_delay_alu instid0(SALU_CYCLE_1) | instskip(NEXT) | instid1(SALU_CYCLE_1)
	s_xor_b64 s[22:23], s[22:23], s[0:1]
	s_mul_i32 s19, s22, s5
	s_delay_alu instid0(VALU_DEP_1)
	s_mul_hi_u32 s21, s22, s13
	s_mul_hi_u32 s24, s22, s5
	s_add_u32 s19, s21, s19
	s_mul_i32 s25, s23, s13
	s_addc_u32 s21, 0, s24
	s_mul_hi_u32 s13, s23, s13
	s_mul_hi_u32 s24, s23, s5
	s_add_u32 s19, s19, s25
	s_addc_u32 s13, s21, s13
	s_mul_i32 s5, s23, s5
	s_addc_u32 s19, s24, 0
	s_add_u32 s5, s13, s5
	s_addc_u32 s13, 0, s19
	s_mul_i32 s21, s20, s5
	s_add_u32 s19, s5, 1
	v_sub_co_u32 v9, s21, s22, s21
	s_addc_u32 s22, s13, 0
	s_mul_i32 s25, s20, s13
	s_mul_hi_u32 s27, s20, s5
	s_delay_alu instid0(VALU_DEP_1)
	v_sub_co_u32 v10, s26, v9, s20
	s_add_u32 s24, s5, 2
	s_addc_u32 s28, s13, 0
	s_add_i32 s27, s27, s25
	s_cmp_lg_u32 s21, 0
	v_readfirstlane_b32 s21, v10
	s_subb_u32 s23, s23, s27
	s_cmp_lg_u32 s26, 0
	s_subb_u32 s25, s23, 0
	s_delay_alu instid0(VALU_DEP_1) | instskip(SKIP_4) | instid1(SALU_CYCLE_1)
	s_cmp_ge_u32 s21, s20
	s_cselect_b32 s21, -1, 0
	s_cmp_eq_u32 s25, 0
	v_readfirstlane_b32 s25, v9
	s_cselect_b32 s21, s21, -1
	s_cmp_lg_u32 s21, 0
	s_cselect_b32 s19, s24, s19
	s_cselect_b32 s21, s28, s22
	s_cmp_ge_u32 s25, s20
	s_cselect_b32 s22, -1, 0
	s_cmp_eq_u32 s23, 0
	s_cselect_b32 s22, s22, -1
	s_delay_alu instid0(SALU_CYCLE_1) | instskip(SKIP_4) | instid1(SALU_CYCLE_1)
	s_cmp_lg_u32 s22, 0
	s_cselect_b32 s23, s21, s13
	s_cselect_b32 s22, s19, s5
	s_mov_b32 s5, 0
	s_xor_b64 s[22:23], s[22:23], s[0:1]
	s_sub_u32 s0, s22, s0
.LBB8_11:                               ;   in Loop: Header=BB8_9 Depth=1
	s_and_not1_b32 vcc_lo, exec_lo, s5
	s_cbranch_vccnz .LBB8_13
; %bb.12:                               ;   in Loop: Header=BB8_9 Depth=1
	v_readfirstlane_b32 s0, v6
	s_delay_alu instid0(VALU_DEP_1) | instskip(NEXT) | instid1(SALU_CYCLE_1)
	s_mul_i32 s1, s14, s0
	s_mul_hi_u32 s1, s0, s1
	s_delay_alu instid0(SALU_CYCLE_1) | instskip(NEXT) | instid1(SALU_CYCLE_1)
	s_add_i32 s0, s0, s1
	s_mul_hi_u32 s0, s4, s0
	s_delay_alu instid0(SALU_CYCLE_1) | instskip(NEXT) | instid1(SALU_CYCLE_1)
	s_mul_i32 s1, s0, s20
	s_sub_i32 s1, s4, s1
	s_add_i32 s4, s0, 1
	s_sub_i32 s5, s1, s20
	s_cmp_ge_u32 s1, s20
	s_cselect_b32 s0, s4, s0
	s_cselect_b32 s1, s5, s1
	s_add_i32 s4, s0, 1
	s_cmp_ge_u32 s1, s20
	s_cselect_b32 s0, s4, s0
.LBB8_13:                               ;   in Loop: Header=BB8_9 Depth=1
	s_delay_alu instid0(SALU_CYCLE_1)
	s_cmp_lg_u32 s16, s0
	s_cbranch_scc0 .LBB8_17
; %bb.14:                               ;   in Loop: Header=BB8_9 Depth=1
	s_add_i32 s1, s18, s20
	s_mov_b32 s5, s12
	s_lshl_b32 s1, s1, 5
	s_mov_b32 s19, s16
	s_add_i32 s4, s1, s6
	s_mul_hi_u32 s1, s0, s8
	s_lshl_b64 s[4:5], s[4:5], 3
	s_delay_alu instid0(SALU_CYCLE_1) | instskip(SKIP_2) | instid1(SALU_CYCLE_1)
	s_add_u32 s4, s2, s4
	s_addc_u32 s5, s3, s5
	s_add_i32 s1, s1, s0
	s_lshr_b32 s1, s1, s9
	s_delay_alu instid0(SALU_CYCLE_1) | instskip(NEXT) | instid1(SALU_CYCLE_1)
	s_mul_i32 s13, s1, s10
	s_cmp_eq_u32 s13, s0
	s_cselect_b32 s13, -1, 0
	s_cmp_lt_u32 s1, s11
	s_cselect_b32 s1, -1, 0
	s_delay_alu instid0(SALU_CYCLE_1)
	s_or_b32 s1, s1, s13
	s_mov_b32 s13, -1
	s_and_b32 vcc_lo, exec_lo, s1
	s_mov_b32 s1, s18
	s_cbranch_vccnz .LBB8_16
; %bb.15:                               ;   in Loop: Header=BB8_9 Depth=1
	s_add_i32 s1, s18, -1
	s_mov_b32 s13, 0
	s_mov_b32 s19, s0
.LBB8_16:                               ;   in Loop: Header=BB8_9 Depth=1
	v_mad_u64_u32 v[9:10], null, 0xa00, s18, v[3:4]
	s_load_b64 s[4:5], s[4:5], 0x0
	s_delay_alu instid0(VALU_DEP_1) | instskip(NEXT) | instid1(VALU_DEP_1)
	v_ashrrev_i32_e32 v10, 31, v9
	v_lshlrev_b64 v[9:10], 2, v[9:10]
	s_delay_alu instid0(VALU_DEP_1) | instskip(NEXT) | instid1(VALU_DEP_2)
	v_add_co_u32 v9, vcc_lo, s15, v9
	v_add_co_ci_u32_e32 v10, vcc_lo, s17, v10, vcc_lo
	s_waitcnt lgkmcnt(0)
	v_max_f32_e64 v11, s4, s4
	global_load_b32 v10, v[9:10], off
	v_max_f32_e32 v9, v8, v8
	s_delay_alu instid0(VALU_DEP_1) | instskip(NEXT) | instid1(VALU_DEP_1)
	v_max_f32_e32 v9, v9, v11
	v_sub_f32_e32 v12, v8, v9
	s_delay_alu instid0(VALU_DEP_1) | instskip(NEXT) | instid1(VALU_DEP_1)
	v_dual_mul_f32 v14, 0x3fb8aa3b, v12 :: v_dual_sub_f32 v11, s4, v9
	v_rndne_f32_e32 v18, v14
	s_delay_alu instid0(VALU_DEP_2) | instskip(SKIP_2) | instid1(VALU_DEP_4)
	v_mul_f32_e32 v13, 0x3fb8aa3b, v11
	v_fma_f32 v17, 0x3fb8aa3b, v12, -v14
	v_cmp_ngt_f32_e32 vcc_lo, 0xc2ce8ed0, v11
	v_sub_f32_e32 v14, v14, v18
	s_delay_alu instid0(VALU_DEP_4) | instskip(SKIP_2) | instid1(VALU_DEP_3)
	v_fma_f32 v15, 0x3fb8aa3b, v11, -v13
	v_rndne_f32_e32 v16, v13
	v_fmac_f32_e32 v17, 0x32a5705f, v12
	v_fmac_f32_e32 v15, 0x32a5705f, v11
	s_delay_alu instid0(VALU_DEP_2) | instskip(NEXT) | instid1(VALU_DEP_1)
	v_dual_sub_f32 v13, v13, v16 :: v_dual_add_f32 v14, v14, v17
	v_add_f32_e32 v13, v13, v15
	s_delay_alu instid0(VALU_DEP_2) | instskip(SKIP_2) | instid1(VALU_DEP_3)
	v_exp_f32_e32 v14, v14
	v_cvt_i32_f32_e32 v15, v16
	v_cvt_i32_f32_e32 v16, v18
	v_exp_f32_e32 v13, v13
	s_waitcnt_depctr 0xfff
	v_ldexp_f32 v14, v14, v16
	v_ldexp_f32 v13, v13, v15
	s_delay_alu instid0(VALU_DEP_1) | instskip(SKIP_1) | instid1(VALU_DEP_4)
	v_cndmask_b32_e32 v13, 0, v13, vcc_lo
	v_cmp_ngt_f32_e32 vcc_lo, 0xc2ce8ed0, v12
	v_cndmask_b32_e32 v14, 0, v14, vcc_lo
	v_cmp_nlt_f32_e32 vcc_lo, 0x42b17218, v11
	s_delay_alu instid0(VALU_DEP_4) | instskip(SKIP_1) | instid1(VALU_DEP_4)
	v_cndmask_b32_e32 v13, 0x7f800000, v13, vcc_lo
	v_cmp_nlt_f32_e32 vcc_lo, 0x42b17218, v12
	v_cndmask_b32_e32 v14, 0x7f800000, v14, vcc_lo
	v_cmp_le_f32_e32 vcc_lo, 0xc1a00000, v11
	s_delay_alu instid0(VALU_DEP_4) | instskip(SKIP_1) | instid1(VALU_DEP_4)
	v_cndmask_b32_e32 v11, 0, v13, vcc_lo
	v_cmp_le_f32_e32 vcc_lo, 0xc1a00000, v12
	v_cndmask_b32_e32 v12, 0, v14, vcc_lo
	s_waitcnt vmcnt(0)
	s_delay_alu instid0(VALU_DEP_3) | instskip(NEXT) | instid1(VALU_DEP_1)
	v_mul_f32_e32 v10, v10, v11
	v_dual_mul_f32 v11, s5, v11 :: v_dual_fmac_f32 v10, v5, v12
	s_delay_alu instid0(VALU_DEP_1)
	v_fmac_f32_e32 v11, v7, v12
	s_cbranch_execz .LBB8_18
	s_branch .LBB8_19
.LBB8_17:                               ;   in Loop: Header=BB8_9 Depth=1
                                        ; implicit-def: $sgpr13
                                        ; implicit-def: $vgpr10
                                        ; implicit-def: $vgpr9
                                        ; implicit-def: $vgpr11
                                        ; implicit-def: $sgpr1
                                        ; implicit-def: $sgpr19
.LBB8_18:                               ;   in Loop: Header=BB8_9 Depth=1
	s_waitcnt vmcnt(0)
	v_dual_mov_b32 v11, v7 :: v_dual_mov_b32 v10, v5
	v_mov_b32_e32 v9, v8
	s_add_i32 s1, s18, -1
	s_mov_b32 s13, 0
	s_mov_b32 s19, s16
.LBB8_19:                               ;   in Loop: Header=BB8_9 Depth=1
	s_and_not1_b32 vcc_lo, exec_lo, s13
	s_cbranch_vccz .LBB8_23
; %bb.20:                               ;   in Loop: Header=BB8_9 Depth=1
	v_dual_mov_b32 v7, v11 :: v_dual_mov_b32 v8, v9
	s_waitcnt vmcnt(0)
	v_mov_b32_e32 v5, v10
	s_mov_b32 s16, s19
	s_mov_b32 s18, s1
	s_branch .LBB8_9
.LBB8_21:
                                        ; implicit-def: $sgpr16_sgpr17
	s_load_b128 s[8:11], s[0:1], 0x44
	s_branch .LBB8_2
.LBB8_22:
                                        ; implicit-def: $sgpr18_sgpr19
	s_branch .LBB8_5
.LBB8_23:
	v_div_scale_f32 v0, null, v11, v11, v10
	s_delay_alu instid0(VALU_DEP_1) | instskip(SKIP_2) | instid1(VALU_DEP_1)
	v_rcp_f32_e32 v3, v0
	s_waitcnt_depctr 0xfff
	v_fma_f32 v4, -v0, v3, 1.0
	v_fmac_f32_e32 v3, v4, v3
	v_div_scale_f32 v4, vcc_lo, v10, v11, v10
	s_waitcnt vmcnt(0)
	s_delay_alu instid0(VALU_DEP_1) | instskip(NEXT) | instid1(VALU_DEP_1)
	v_mul_f32_e32 v5, v4, v3
	v_fma_f32 v6, -v0, v5, v4
	s_delay_alu instid0(VALU_DEP_1) | instskip(NEXT) | instid1(VALU_DEP_1)
	v_fmac_f32_e32 v5, v6, v3
	v_fma_f32 v0, -v0, v5, v4
	s_delay_alu instid0(VALU_DEP_1) | instskip(NEXT) | instid1(VALU_DEP_1)
	v_div_fmas_f32 v0, v0, v3, v5
	v_div_fixup_f32 v0, v0, v11, v10
	global_store_b32 v[1:2], v0, off
.LBB8_24:
	s_nop 0
	s_sendmsg sendmsg(MSG_DEALLOC_VGPRS)
	s_endpgm
	.section	.rodata,"a",@progbits
	.p2align	6, 0x0
	.amdhsa_kernel _ZL33flash_attn_stream_k_fixup_generalILi80ELi4ELi8EEvPfPK15HIP_vector_typeIfLj2EEiiiiS1_IjLj3EES5_S5_S5_
		.amdhsa_group_segment_fixed_size 0
		.amdhsa_private_segment_fixed_size 0
		.amdhsa_kernarg_size 336
		.amdhsa_user_sgpr_count 13
		.amdhsa_user_sgpr_dispatch_ptr 0
		.amdhsa_user_sgpr_queue_ptr 0
		.amdhsa_user_sgpr_kernarg_segment_ptr 1
		.amdhsa_user_sgpr_dispatch_id 0
		.amdhsa_user_sgpr_private_segment_size 0
		.amdhsa_wavefront_size32 1
		.amdhsa_uses_dynamic_stack 0
		.amdhsa_enable_private_segment 0
		.amdhsa_system_sgpr_workgroup_id_x 1
		.amdhsa_system_sgpr_workgroup_id_y 1
		.amdhsa_system_sgpr_workgroup_id_z 1
		.amdhsa_system_sgpr_workgroup_info 0
		.amdhsa_system_vgpr_workitem_id 0
		.amdhsa_next_free_vgpr 19
		.amdhsa_next_free_sgpr 32
		.amdhsa_reserve_vcc 1
		.amdhsa_float_round_mode_32 0
		.amdhsa_float_round_mode_16_64 0
		.amdhsa_float_denorm_mode_32 3
		.amdhsa_float_denorm_mode_16_64 3
		.amdhsa_dx10_clamp 1
		.amdhsa_ieee_mode 1
		.amdhsa_fp16_overflow 0
		.amdhsa_workgroup_processor_mode 1
		.amdhsa_memory_ordered 1
		.amdhsa_forward_progress 0
		.amdhsa_shared_vgpr_count 0
		.amdhsa_exception_fp_ieee_invalid_op 0
		.amdhsa_exception_fp_denorm_src 0
		.amdhsa_exception_fp_ieee_div_zero 0
		.amdhsa_exception_fp_ieee_overflow 0
		.amdhsa_exception_fp_ieee_underflow 0
		.amdhsa_exception_fp_ieee_inexact 0
		.amdhsa_exception_int_div_zero 0
	.end_amdhsa_kernel
	.section	.text._ZL33flash_attn_stream_k_fixup_generalILi80ELi4ELi8EEvPfPK15HIP_vector_typeIfLj2EEiiiiS1_IjLj3EES5_S5_S5_,"axG",@progbits,_ZL33flash_attn_stream_k_fixup_generalILi80ELi4ELi8EEvPfPK15HIP_vector_typeIfLj2EEiiiiS1_IjLj3EES5_S5_S5_,comdat
.Lfunc_end8:
	.size	_ZL33flash_attn_stream_k_fixup_generalILi80ELi4ELi8EEvPfPK15HIP_vector_typeIfLj2EEiiiiS1_IjLj3EES5_S5_S5_, .Lfunc_end8-_ZL33flash_attn_stream_k_fixup_generalILi80ELi4ELi8EEvPfPK15HIP_vector_typeIfLj2EEiiiiS1_IjLj3EES5_S5_S5_
                                        ; -- End function
	.section	.AMDGPU.csdata,"",@progbits
; Kernel info:
; codeLenInByte = 3224
; NumSgprs: 34
; NumVgprs: 19
; ScratchSize: 0
; MemoryBound: 0
; FloatMode: 240
; IeeeMode: 1
; LDSByteSize: 0 bytes/workgroup (compile time only)
; SGPRBlocks: 4
; VGPRBlocks: 2
; NumSGPRsForWavesPerEU: 34
; NumVGPRsForWavesPerEU: 19
; Occupancy: 16
; WaveLimiterHint : 0
; COMPUTE_PGM_RSRC2:SCRATCH_EN: 0
; COMPUTE_PGM_RSRC2:USER_SGPR: 13
; COMPUTE_PGM_RSRC2:TRAP_HANDLER: 0
; COMPUTE_PGM_RSRC2:TGID_X_EN: 1
; COMPUTE_PGM_RSRC2:TGID_Y_EN: 1
; COMPUTE_PGM_RSRC2:TGID_Z_EN: 1
; COMPUTE_PGM_RSRC2:TIDIG_COMP_CNT: 0
	.section	.text._ZL15flash_attn_tileILi80ELi80ELi2ELi8ELb0EEvPKcS1_S1_S1_S1_PKiPfP15HIP_vector_typeIfLj2EEffffjfiS5_IjLj3EEiiiiiiiiiiiliiliiiiil,"axG",@progbits,_ZL15flash_attn_tileILi80ELi80ELi2ELi8ELb0EEvPKcS1_S1_S1_S1_PKiPfP15HIP_vector_typeIfLj2EEffffjfiS5_IjLj3EEiiiiiiiiiiiliiliiiiil,comdat
	.globl	_ZL15flash_attn_tileILi80ELi80ELi2ELi8ELb0EEvPKcS1_S1_S1_S1_PKiPfP15HIP_vector_typeIfLj2EEffffjfiS5_IjLj3EEiiiiiiiiiiiliiliiiiil ; -- Begin function _ZL15flash_attn_tileILi80ELi80ELi2ELi8ELb0EEvPKcS1_S1_S1_S1_PKiPfP15HIP_vector_typeIfLj2EEffffjfiS5_IjLj3EEiiiiiiiiiiiliiliiiiil
	.p2align	8
	.type	_ZL15flash_attn_tileILi80ELi80ELi2ELi8ELb0EEvPKcS1_S1_S1_S1_PKiPfP15HIP_vector_typeIfLj2EEffffjfiS5_IjLj3EEiiiiiiiiiiiliiliiiiil,@function
_ZL15flash_attn_tileILi80ELi80ELi2ELi8ELb0EEvPKcS1_S1_S1_S1_PKiPfP15HIP_vector_typeIfLj2EEffffjfiS5_IjLj3EEiiiiiiiiiiiliiliiiiil: ; @_ZL15flash_attn_tileILi80ELi80ELi2ELi8ELb0EEvPKcS1_S1_S1_S1_PKiPfP15HIP_vector_typeIfLj2EEffffjfiS5_IjLj3EEiiiiiiiiiiiliiliiiiil
; %bb.0:
	s_clause 0x1
	s_load_b128 s[36:39], s[0:1], 0x5c
	s_load_b64 s[34:35], s[0:1], 0x80
	s_mov_b64 s[40:41], 0
	s_waitcnt lgkmcnt(0)
	s_ashr_i32 s2, s39, 31
	s_delay_alu instid0(SALU_CYCLE_1) | instskip(NEXT) | instid1(SALU_CYCLE_1)
	s_lshr_b32 s2, s2, 29
	s_add_i32 s2, s39, s2
	s_delay_alu instid0(SALU_CYCLE_1) | instskip(NEXT) | instid1(SALU_CYCLE_1)
	s_ashr_i32 s2, s2, 3
	v_cvt_f32_u32_e32 v1, s2
	s_sub_i32 s4, 0, s2
	s_delay_alu instid0(VALU_DEP_1) | instskip(SKIP_2) | instid1(VALU_DEP_1)
	v_rcp_iflag_f32_e32 v1, v1
	s_waitcnt_depctr 0xfff
	v_mul_f32_e32 v1, 0x4f7ffffe, v1
	v_cvt_u32_f32_e32 v1, v1
	s_delay_alu instid0(VALU_DEP_1) | instskip(NEXT) | instid1(VALU_DEP_1)
	v_readfirstlane_b32 s3, v1
	s_mul_i32 s4, s4, s3
	s_delay_alu instid0(SALU_CYCLE_1) | instskip(NEXT) | instid1(SALU_CYCLE_1)
	s_mul_hi_u32 s4, s3, s4
	s_add_i32 s3, s3, s4
	s_delay_alu instid0(SALU_CYCLE_1) | instskip(NEXT) | instid1(SALU_CYCLE_1)
	s_mul_hi_u32 s3, s15, s3
	s_mul_i32 s4, s3, s2
	s_add_i32 s5, s3, 1
	s_sub_i32 s4, s15, s4
	s_delay_alu instid0(SALU_CYCLE_1)
	s_sub_i32 s6, s4, s2
	s_cmp_ge_u32 s4, s2
	s_cselect_b32 s3, s5, s3
	s_cselect_b32 s4, s6, s4
	s_add_i32 s5, s3, 1
	s_cmp_ge_u32 s4, s2
	s_cselect_b32 s11, s5, s3
	s_abs_i32 s2, s35
	s_abs_i32 s5, s39
	v_cvt_f32_u32_e32 v1, s2
	s_sub_i32 s4, 0, s2
	s_xor_b32 s6, s39, s35
	s_delay_alu instid0(SALU_CYCLE_1) | instskip(NEXT) | instid1(VALU_DEP_1)
	s_ashr_i32 s6, s6, 31
	v_rcp_iflag_f32_e32 v1, v1
	s_waitcnt_depctr 0xfff
	v_mul_f32_e32 v1, 0x4f7ffffe, v1
	s_delay_alu instid0(VALU_DEP_1) | instskip(NEXT) | instid1(VALU_DEP_1)
	v_cvt_u32_f32_e32 v1, v1
	v_readfirstlane_b32 s3, v1
	s_delay_alu instid0(VALU_DEP_1) | instskip(NEXT) | instid1(SALU_CYCLE_1)
	s_mul_i32 s4, s4, s3
	s_mul_hi_u32 s4, s3, s4
	s_delay_alu instid0(SALU_CYCLE_1) | instskip(SKIP_2) | instid1(SALU_CYCLE_1)
	s_add_i32 s3, s3, s4
	s_lshl_b32 s4, s15, 3
	s_mul_hi_u32 s3, s5, s3
	s_mul_i32 s7, s3, s2
	s_delay_alu instid0(SALU_CYCLE_1)
	s_sub_i32 s5, s5, s7
	s_add_i32 s7, s3, 1
	s_sub_i32 s8, s5, s2
	s_cmp_ge_u32 s5, s2
	s_cselect_b32 s3, s7, s3
	s_cselect_b32 s5, s8, s5
	s_add_i32 s7, s3, 1
	s_cmp_ge_u32 s5, s2
	s_mul_i32 s5, s11, s39
	s_cselect_b32 s2, s7, s3
	s_delay_alu instid0(SALU_CYCLE_1) | instskip(NEXT) | instid1(SALU_CYCLE_1)
	s_xor_b32 s2, s2, s6
	s_sub_i32 s9, s2, s6
	s_clause 0x1
	s_load_b512 s[16:31], s[0:1], 0x0
	s_load_b64 s[2:3], s[0:1], 0xb8
	s_abs_i32 s8, s9
	s_delay_alu instid0(SALU_CYCLE_1) | instskip(NEXT) | instid1(VALU_DEP_1)
	v_cvt_f32_u32_e32 v1, s8
	v_rcp_iflag_f32_e32 v1, v1
	s_waitcnt_depctr 0xfff
	v_mul_f32_e32 v1, 0x4f7ffffe, v1
	s_waitcnt lgkmcnt(0)
	s_cmp_eq_u64 s[22:23], 0
	s_delay_alu instid0(VALU_DEP_1) | instskip(NEXT) | instid1(VALU_DEP_1)
	v_cvt_u32_f32_e32 v1, v1
	v_readfirstlane_b32 s10, v1
	s_cbranch_scc1 .LBB9_2
; %bb.1:
	s_abs_i32 s2, s2
	s_abs_i32 s12, s11
	v_cvt_f32_u32_e32 v1, s2
	s_sub_i32 s7, 0, s2
	s_delay_alu instid0(VALU_DEP_1) | instskip(SKIP_2) | instid1(VALU_DEP_1)
	v_rcp_iflag_f32_e32 v1, v1
	s_waitcnt_depctr 0xfff
	v_mul_f32_e32 v1, 0x4f7ffffe, v1
	v_cvt_u32_f32_e32 v1, v1
	s_delay_alu instid0(VALU_DEP_1) | instskip(NEXT) | instid1(VALU_DEP_1)
	v_readfirstlane_b32 s6, v1
	s_mul_i32 s7, s7, s6
	s_delay_alu instid0(SALU_CYCLE_1) | instskip(NEXT) | instid1(SALU_CYCLE_1)
	s_mul_hi_u32 s7, s6, s7
	s_add_i32 s15, s6, s7
	s_load_b64 s[6:7], s[0:1], 0xc8
	s_mul_hi_u32 s15, s12, s15
	s_delay_alu instid0(SALU_CYCLE_1) | instskip(NEXT) | instid1(SALU_CYCLE_1)
	s_mul_i32 s15, s15, s2
	s_sub_i32 s12, s12, s15
	s_ashr_i32 s15, s11, 31
	s_sub_i32 s33, s12, s2
	s_cmp_ge_u32 s12, s2
	s_cselect_b32 s12, s33, s12
	s_delay_alu instid0(SALU_CYCLE_1) | instskip(SKIP_2) | instid1(SALU_CYCLE_1)
	s_sub_i32 s33, s12, s2
	s_cmp_ge_u32 s12, s2
	s_cselect_b32 s2, s33, s12
	s_xor_b32 s2, s2, s15
	s_delay_alu instid0(SALU_CYCLE_1)
	s_sub_i32 s2, s2, s15
	s_waitcnt lgkmcnt(0)
	s_mul_i32 s7, s2, s7
	s_mul_hi_u32 s12, s2, s6
	s_ashr_i32 s15, s2, 31
	s_add_i32 s7, s12, s7
	s_mul_i32 s15, s15, s6
	s_mul_i32 s2, s2, s6
	s_add_i32 s7, s7, s15
	s_add_u32 s40, s22, s2
	s_addc_u32 s41, s23, s7
.LBB9_2:
	v_bfe_u32 v1, v0, 10, 10
	v_and_b32_e32 v49, 0x3ff, v0
	s_sub_i32 s15, s4, s5
	s_delay_alu instid0(VALU_DEP_2) | instskip(SKIP_1) | instid1(VALU_DEP_3)
	v_lshrrev_b32_e32 v2, 2, v1
	v_lshlrev_b32_e32 v3, 1, v1
	v_cmp_gt_u32_e64 s2, 20, v49
	v_lshlrev_b32_e32 v48, 2, v49
	v_lshlrev_b32_e32 v0, 1, v49
	v_lshl_add_u32 v50, s13, 1, v2
	v_and_b32_e32 v62, 6, v3
	s_delay_alu instid0(VALU_DEP_2) | instskip(NEXT) | instid1(VALU_DEP_1)
	v_mul_hi_u32 v2, s36, v50
	v_add_nc_u32_e32 v2, v50, v2
	s_delay_alu instid0(VALU_DEP_1) | instskip(NEXT) | instid1(VALU_DEP_1)
	v_lshrrev_b32_e32 v2, s37, v2
	v_mul_lo_u32 v2, v2, s38
	s_delay_alu instid0(VALU_DEP_1)
	v_sub_nc_u32_e32 v2, v50, v2
	s_and_saveexec_b32 s12, s2
	s_cbranch_execz .LBB9_4
; %bb.3:
	s_load_b128 s[4:7], s[0:1], 0x70
	v_or_b32_e32 v12, 1, v3
	s_delay_alu instid0(VALU_DEP_1)
	v_mul_u32_u24_e32 v16, 40, v12
	s_waitcnt lgkmcnt(0)
	s_mul_i32 s6, s11, s6
	s_mul_i32 s7, s15, s5
	s_ashr_i32 s22, s6, 31
	s_add_u32 s6, s16, s6
	s_addc_u32 s16, s17, s22
	s_ashr_i32 s17, s7, 31
	s_add_u32 s6, s6, s7
	s_addc_u32 s7, s16, s17
	s_ashr_i32 s16, s4, 31
	s_delay_alu instid0(SALU_CYCLE_1) | instskip(SKIP_1) | instid1(SALU_CYCLE_1)
	v_alignbit_b32 v5, s16, s4, 2
	s_ashr_i32 s4, s5, 31
	v_alignbit_b32 v9, s4, s5, 2
	s_lshr_b32 s5, s16, 2
	s_delay_alu instid0(VALU_DEP_2) | instskip(SKIP_1) | instid1(VALU_DEP_2)
	v_mad_u64_u32 v[3:4], null, v5, v2, 0
	s_lshr_b32 s4, s4, 2
	v_mad_u64_u32 v[5:6], null, v9, v62, 0
	v_and_b32_e32 v13, 7, v12
	s_delay_alu instid0(VALU_DEP_1) | instskip(NEXT) | instid1(VALU_DEP_3)
	v_mad_u64_u32 v[7:8], null, v9, v13, 0
	v_mad_u64_u32 v[9:10], null, s5, v2, v[4:5]
	s_delay_alu instid0(VALU_DEP_4) | instskip(NEXT) | instid1(VALU_DEP_3)
	v_mov_b32_e32 v4, v6
	v_mov_b32_e32 v6, v8
	s_delay_alu instid0(VALU_DEP_2) | instskip(NEXT) | instid1(VALU_DEP_4)
	v_mad_u64_u32 v[10:11], null, s4, v62, v[4:5]
	v_mov_b32_e32 v4, v9
	s_delay_alu instid0(VALU_DEP_3) | instskip(SKIP_1) | instid1(VALU_DEP_3)
	v_mad_u64_u32 v[8:9], null, s4, v13, v[6:7]
	v_lshlrev_b32_e32 v9, 2, v48
	v_lshlrev_b64 v[3:4], 2, v[3:4]
	v_mov_b32_e32 v6, v10
	s_load_b32 s4, s[0:1], 0x40
	s_delay_alu instid0(VALU_DEP_2) | instskip(NEXT) | instid1(VALU_DEP_3)
	v_add_co_u32 v10, vcc_lo, s6, v3
	v_add_co_ci_u32_e32 v11, vcc_lo, s7, v4, vcc_lo
	s_delay_alu instid0(VALU_DEP_3) | instskip(NEXT) | instid1(VALU_DEP_3)
	v_lshlrev_b64 v[3:4], 2, v[5:6]
	v_add_co_u32 v9, vcc_lo, v10, v9
	s_delay_alu instid0(VALU_DEP_3) | instskip(SKIP_1) | instid1(VALU_DEP_3)
	v_add_co_ci_u32_e32 v10, vcc_lo, 0, v11, vcc_lo
	v_lshlrev_b64 v[5:6], 2, v[7:8]
	v_add_co_u32 v3, vcc_lo, v9, v3
	s_delay_alu instid0(VALU_DEP_3) | instskip(SKIP_1) | instid1(VALU_DEP_4)
	v_add_co_ci_u32_e32 v4, vcc_lo, v10, v4, vcc_lo
	v_mul_u32_u24_e32 v11, 0x50, v1
	v_add_co_u32 v7, vcc_lo, v9, v5
	v_add_co_ci_u32_e32 v8, vcc_lo, v10, v6, vcc_lo
	s_clause 0x1
	global_load_b128 v[3:6], v[3:4], off
	global_load_b128 v[7:10], v[7:8], off
	v_add_lshl_u32 v15, v11, v0, 2
	s_waitcnt vmcnt(1) lgkmcnt(0)
	v_fma_mixlo_f16 v12, v5, s4, 0
	v_fma_mixlo_f16 v11, v3, s4, 0
	s_waitcnt vmcnt(0)
	v_fma_mixlo_f16 v14, v9, s4, 0
	v_fma_mixlo_f16 v13, v7, s4, 0
	v_add_lshl_u32 v3, v16, v0, 2
	v_fma_mixhi_f16 v12, v6, s4, 0
	v_fma_mixhi_f16 v11, v4, s4, 0
	;; [unrolled: 1-line block ×4, first 2 shown]
	ds_store_b64 v15, v[11:12] offset:3264
	ds_store_b64 v3, v[13:14] offset:3264
.LBB9_4:
	s_or_b32 exec_lo, exec_lo, s12
	s_cmp_eq_u64 s[26:27], 0
	s_waitcnt lgkmcnt(0)
	s_barrier
	buffer_gl0_inv
	s_cbranch_scc1 .LBB9_6
; %bb.5:
	s_load_b32 s4, s[0:1], 0xd0
	s_mov_b32 s5, 0
	s_waitcnt lgkmcnt(0)
	s_mul_i32 s4, s4, s11
	s_delay_alu instid0(SALU_CYCLE_1) | instskip(NEXT) | instid1(SALU_CYCLE_1)
	s_add_i32 s4, s4, s13
	s_lshl_b64 s[4:5], s[4:5], 2
	s_delay_alu instid0(SALU_CYCLE_1)
	s_add_u32 s4, s26, s4
	s_addc_u32 s5, s27, s5
	s_load_b32 s34, s[4:5], 0x0
.LBB9_6:
	v_mbcnt_lo_u32_b32 v63, -1, 0
	s_lshl_b32 s16, s14, 5
	s_waitcnt lgkmcnt(0)
	s_cmp_lt_i32 s16, s34
	s_cbranch_scc1 .LBB9_8
; %bb.7:
	v_mbcnt_lo_u32_b32 v3, -1, 0
	v_mov_b32_e32 v66, 32
	s_mov_b32 s4, 0
	s_mov_b32 s5, 0xfeffffff
	s_delay_alu instid0(VALU_DEP_2)
	v_xor_b32_e32 v83, 16, v3
	v_xor_b32_e32 v84, 8, v3
	;; [unrolled: 1-line block ×5, first 2 shown]
	s_branch .LBB9_9
.LBB9_8:
	s_mov_b32 s4, -1
                                        ; implicit-def: $sgpr5
                                        ; implicit-def: $vgpr3
                                        ; implicit-def: $vgpr66
                                        ; implicit-def: $vgpr83
                                        ; implicit-def: $vgpr84
                                        ; implicit-def: $vgpr85
                                        ; implicit-def: $vgpr86
                                        ; implicit-def: $vgpr87
.LBB9_9:
	s_delay_alu instid0(SALU_CYCLE_1) | instskip(SKIP_2) | instid1(VALU_DEP_3)
	v_cndmask_b32_e64 v4, 0, 1, s4
	v_dual_mov_b32 v61, s5 :: v_dual_mov_b32 v88, s4
	v_dual_mov_b32 v67, s4 :: v_dual_mov_b32 v60, s5
	v_cmp_ne_u32_e32 vcc_lo, 1, v4
	v_dual_mov_b32 v89, s4 :: v_dual_mov_b32 v68, s4
	v_dual_mov_b32 v65, s4 :: v_dual_mov_b32 v64, s4
	s_cbranch_vccnz .LBB9_30
; %bb.10:
	s_clause 0x1
	s_load_b128 s[4:7], s[0:1], 0x98
	s_load_b64 s[12:13], s[0:1], 0x8c
	s_sub_i32 s17, 0, s8
	s_abs_i32 s23, s15
	s_mul_i32 s17, s17, s10
	s_ashr_i32 s35, s3, 1
	s_mul_hi_u32 s17, s10, s17
	s_ashr_i32 s33, s15, 31
	s_add_i32 s10, s10, s17
	s_ashr_i32 s9, s9, 31
	s_mul_hi_u32 s3, s23, s10
	s_ashr_i32 s10, s11, 31
	s_load_b64 s[26:27], s[0:1], 0xa8
	s_mul_i32 s36, s3, s8
	v_lshrrev_b32_e32 v3, 2, v49
	v_dual_mov_b32 v64, 0 :: v_dual_and_b32 v9, 12, v48
	v_lshrrev_b32_e32 v8, 1, v49
	v_lshl_add_u32 v73, v1, 7, 0x16c0
	s_delay_alu instid0(VALU_DEP_4)
	v_lshl_add_u32 v6, v1, 3, v3
	s_waitcnt lgkmcnt(0)
	s_ashr_i32 s17, s6, 2
	s_mul_i32 s5, s11, s5
	s_mul_hi_u32 s6, s11, s4
	s_ashr_i32 s22, s12, 2
	s_mul_i32 s12, s10, s4
	s_add_i32 s5, s6, s5
	s_mul_i32 s4, s11, s4
	s_add_i32 s5, s5, s12
	s_add_u32 s4, s18, s4
	s_addc_u32 s5, s19, s5
	s_xor_b32 s6, s33, s9
	s_sub_i32 s9, s23, s36
	s_add_i32 s12, s3, 1
	s_sub_i32 s18, s9, s8
	s_cmp_ge_u32 s9, s8
	v_lshlrev_b32_e32 v7, 2, v9
	s_cselect_b32 s3, s12, s3
	s_cselect_b32 s9, s18, s9
	s_add_i32 s12, s3, 1
	s_cmp_ge_u32 s9, s8
	v_lshl_add_u32 v8, v1, 4, v8
	s_cselect_b32 s3, s12, s3
	v_lshl_add_u32 v75, v0, 1, v73
	v_dual_mov_b32 v66, 32 :: v_dual_lshlrev_b32 v77, 2, v0
	v_mov_b32_e32 v0, 0xfeffffff
	v_mad_u32_u24 v72, 0x60, v6, v7
	v_lshrrev_b32_e32 v7, 3, v49
	s_xor_b32 s3, s3, s6
	v_mad_u64_u32 v[51:52], null, v2, s35, v[49:50]
	s_sub_i32 s3, s3, s6
	v_dual_mov_b32 v65, 0 :: v_dual_and_b32 v74, 4, v48
	v_mul_u32_u24_e32 v2, 0xa0, v8
	v_lshl_add_u32 v4, v1, 5, v49
	s_mul_i32 s6, s3, s13
	v_mul_u32_u24_e32 v70, 0x140, v1
	v_lshl_add_u32 v10, v1, 2, v7
	v_mul_lo_u32 v1, s17, v8
	s_mul_i32 s8, s11, s27
	s_mul_hi_u32 s9, s11, s26
	s_ashr_i32 s13, s6, 31
	s_add_u32 s18, s4, s6
	v_dual_mov_b32 v67, 0 :: v_dual_and_b32 v76, 28, v48
	v_lshl_or_b32 v2, v74, 2, v2
	s_mul_i32 s10, s10, s26
	s_addc_u32 s19, s5, s13
	s_add_i32 s4, s9, s8
	s_mul_i32 s12, s11, s26
	v_mul_lo_u32 v3, s22, v4
	v_mul_lo_u32 v5, s22, v6
	;; [unrolled: 1-line block ×3, first 2 shown]
	s_add_i32 s4, s4, s10
	s_add_u32 s5, s20, s12
	s_addc_u32 s6, s21, s4
	v_cmp_gt_u32_e64 s4, 16, v8
	v_lshlrev_b32_e32 v8, 2, v76
	v_dual_mov_b32 v81, 0 :: v_dual_add_nc_u32 v78, 0x80, v2
	v_ashrrev_i32_e32 v2, 31, v1
	s_mul_i32 s3, s3, s7
	v_cmp_gt_u32_e32 vcc_lo, 32, v4
	s_ashr_i32 s7, s3, 31
	s_add_u32 s20, s5, s3
	v_cmp_gt_u32_e64 s3, 32, v6
	v_mad_u32_u24 v71, 0x60, v4, 64
	v_ashrrev_i32_e32 v4, 31, v3
	v_ashrrev_i32_e32 v6, 31, v5
	v_lshlrev_b64 v[56:57], 2, v[1:2]
	v_mov_b32_e32 v1, 0xfeffffff
	v_mad_u32_u24 v79, 0xa0, v10, v8
	v_ashrrev_i32_e32 v8, 31, v7
	v_lshlrev_b64 v[52:53], 2, v[3:4]
	v_lshlrev_b64 v[54:55], 2, v[5:6]
	v_mul_u32_u24_e32 v69, 0x60, v49
	v_cmp_gt_u32_e64 s5, 16, v10
	v_lshlrev_b64 v[58:59], 2, v[7:8]
	v_lshlrev_b32_e32 v80, 2, v9
	v_mov_b32_e32 v68, 0
	v_mov_b32_e32 v82, 0
	s_addc_u32 s21, s6, s7
	s_add_u32 s12, s0, 0xd0
	s_addc_u32 s13, s1, 0
.LBB9_11:                               ; =>This Inner Loop Header: Depth=1
	s_mul_hi_i32 s7, s16, s22
	s_mul_i32 s6, s16, s22
	s_delay_alu instid0(SALU_CYCLE_1) | instskip(NEXT) | instid1(SALU_CYCLE_1)
	s_lshl_b64 s[8:9], s[6:7], 2
	s_add_u32 s7, s18, s8
	s_addc_u32 s8, s19, s9
	s_and_saveexec_b32 s9, vcc_lo
	s_cbranch_execz .LBB9_13
; %bb.12:                               ;   in Loop: Header=BB9_11 Depth=1
	v_add_co_u32 v2, s6, s7, v52
	s_delay_alu instid0(VALU_DEP_1)
	v_add_co_ci_u32_e64 v3, s6, s8, v53, s6
	global_load_b128 v[2:5], v[2:3], off offset:64
	s_waitcnt vmcnt(0)
	ds_store_b128 v71, v[2:5]
.LBB9_13:                               ;   in Loop: Header=BB9_11 Depth=1
	s_or_b32 exec_lo, exec_lo, s9
	s_and_saveexec_b32 s9, s3
	s_cbranch_execz .LBB9_15
; %bb.14:                               ;   in Loop: Header=BB9_11 Depth=1
	v_add_co_u32 v2, s6, s7, v54
	s_delay_alu instid0(VALU_DEP_1) | instskip(NEXT) | instid1(VALU_DEP_2)
	v_add_co_ci_u32_e64 v3, s6, s8, v55, s6
	v_add_co_u32 v2, s6, v2, v80
	s_delay_alu instid0(VALU_DEP_1)
	v_add_co_ci_u32_e64 v3, s6, 0, v3, s6
	global_load_b128 v[2:5], v[2:3], off
	s_waitcnt vmcnt(0)
	ds_store_b128 v72, v[2:5]
.LBB9_15:                               ;   in Loop: Header=BB9_11 Depth=1
	s_or_b32 exec_lo, exec_lo, s9
	s_waitcnt lgkmcnt(0)
	s_barrier
	buffer_gl0_inv
	ds_load_b128 v[4:7], v69
	ds_load_b128 v[8:11], v70 offset:3264
	ds_load_b128 v[12:15], v70 offset:3424
	v_dual_mov_b32 v2, 0 :: v_dual_mov_b32 v3, 0
	s_waitcnt lgkmcnt(1)
	;;#ASMSTART
	v_dot2_f32_f16 v2, v4, v8, v2
	;;#ASMEND
	;;#ASMSTART
	v_dot2_f32_f16 v2, v5, v9, v2
	;;#ASMEND
	;;#ASMSTART
	v_dot2_f32_f16 v2, v6, v10, v2
	;;#ASMEND
	;;#ASMSTART
	v_dot2_f32_f16 v2, v7, v11, v2
	;;#ASMEND
	s_waitcnt lgkmcnt(0)
	;;#ASMSTART
	v_dot2_f32_f16 v3, v4, v12, v3
	;;#ASMEND
	;;#ASMSTART
	v_dot2_f32_f16 v3, v5, v13, v3
	;;#ASMEND
	;;#ASMSTART
	v_dot2_f32_f16 v3, v6, v14, v3
	;;#ASMEND
	;;#ASMSTART
	v_dot2_f32_f16 v3, v7, v15, v3
	;;#ASMEND
	ds_load_b128 v[4:7], v69 offset:16
	ds_load_b128 v[8:11], v70 offset:3280
	ds_load_b128 v[12:15], v70 offset:3440
	s_waitcnt lgkmcnt(1)
	;;#ASMSTART
	v_dot2_f32_f16 v2, v4, v8, v2
	;;#ASMEND
	;;#ASMSTART
	v_dot2_f32_f16 v2, v5, v9, v2
	;;#ASMEND
	;;#ASMSTART
	v_dot2_f32_f16 v2, v6, v10, v2
	;;#ASMEND
	;;#ASMSTART
	v_dot2_f32_f16 v2, v7, v11, v2
	;;#ASMEND
	s_waitcnt lgkmcnt(0)
	;;#ASMSTART
	v_dot2_f32_f16 v3, v4, v12, v3
	;;#ASMEND
	;;#ASMSTART
	v_dot2_f32_f16 v3, v5, v13, v3
	;;#ASMEND
	;;#ASMSTART
	v_dot2_f32_f16 v3, v6, v14, v3
	;;#ASMEND
	;;#ASMSTART
	v_dot2_f32_f16 v3, v7, v15, v3
	;;#ASMEND
	ds_load_b128 v[4:7], v69 offset:32
	ds_load_b128 v[8:11], v70 offset:3296
	ds_load_b128 v[12:15], v70 offset:3456
	;; [unrolled: 29-line block ×4, first 2 shown]
	s_waitcnt lgkmcnt(1)
	;;#ASMSTART
	v_dot2_f32_f16 v2, v4, v8, v2
	;;#ASMEND
	;;#ASMSTART
	v_dot2_f32_f16 v2, v5, v9, v2
	;;#ASMEND
	;;#ASMSTART
	v_dot2_f32_f16 v2, v6, v10, v2
	;;#ASMEND
	;;#ASMSTART
	v_dot2_f32_f16 v2, v7, v11, v2
	;;#ASMEND
	s_waitcnt lgkmcnt(0)
	;;#ASMSTART
	v_dot2_f32_f16 v3, v4, v12, v3
	;;#ASMEND
	;;#ASMSTART
	v_dot2_f32_f16 v3, v5, v13, v3
	;;#ASMEND
	;;#ASMSTART
	v_dot2_f32_f16 v3, v6, v14, v3
	;;#ASMEND
	;;#ASMSTART
	v_dot2_f32_f16 v3, v7, v15, v3
	;;#ASMEND
	s_barrier
	buffer_gl0_inv
	s_and_saveexec_b32 s9, vcc_lo
	s_cbranch_execz .LBB9_17
; %bb.16:                               ;   in Loop: Header=BB9_11 Depth=1
	v_add_co_u32 v4, s6, s7, v52
	s_delay_alu instid0(VALU_DEP_1)
	v_add_co_ci_u32_e64 v5, s6, s8, v53, s6
	global_load_b128 v[4:7], v[4:5], off offset:144
	s_waitcnt vmcnt(0)
	ds_store_b128 v71, v[4:7]
.LBB9_17:                               ;   in Loop: Header=BB9_11 Depth=1
	s_or_b32 exec_lo, exec_lo, s9
	s_and_saveexec_b32 s9, s3
	s_cbranch_execz .LBB9_19
; %bb.18:                               ;   in Loop: Header=BB9_11 Depth=1
	v_add_co_u32 v4, s6, s7, v54
	s_delay_alu instid0(VALU_DEP_1) | instskip(NEXT) | instid1(VALU_DEP_2)
	v_add_co_ci_u32_e64 v5, s6, s8, v55, s6
	v_add_co_u32 v4, s6, v4, v80
	s_delay_alu instid0(VALU_DEP_1)
	v_add_co_ci_u32_e64 v5, s6, 0, v5, s6
	global_load_b128 v[4:7], v[4:5], off offset:80
	s_waitcnt vmcnt(0)
	ds_store_b128 v72, v[4:7]
.LBB9_19:                               ;   in Loop: Header=BB9_11 Depth=1
	s_or_b32 exec_lo, exec_lo, s9
	s_waitcnt lgkmcnt(0)
	s_barrier
	buffer_gl0_inv
	ds_load_b128 v[4:7], v69
	ds_load_b128 v[8:11], v70 offset:3344
	ds_load_b128 v[12:15], v70 offset:3504
	v_xor_b32_e32 v83, 16, v63
	v_xor_b32_e32 v84, 8, v63
	;; [unrolled: 1-line block ×5, first 2 shown]
	s_mul_hi_i32 s27, s16, s17
	s_mul_i32 s26, s16, s17
	v_lshlrev_b32_e32 v94, 2, v74
	s_lshl_b64 s[26:27], s[26:27], 2
	s_waitcnt lgkmcnt(1)
	;;#ASMSTART
	v_dot2_f32_f16 v2, v4, v8, v2
	;;#ASMEND
	;;#ASMSTART
	v_dot2_f32_f16 v2, v5, v9, v2
	;;#ASMEND
	;; [unrolled: 3-line block ×4, first 2 shown]
	s_waitcnt lgkmcnt(0)
	;;#ASMSTART
	v_dot2_f32_f16 v3, v4, v12, v3
	;;#ASMEND
	;;#ASMSTART
	v_dot2_f32_f16 v3, v5, v13, v3
	;;#ASMEND
	;; [unrolled: 3-line block ×4, first 2 shown]
	ds_load_b128 v[4:7], v69 offset:16
	ds_load_b128 v[8:11], v70 offset:3360
	ds_load_b128 v[12:15], v70 offset:3520
	s_add_u32 s23, s20, s26
	s_addc_u32 s26, s21, s27
	s_waitcnt lgkmcnt(1)
	;;#ASMSTART
	v_dot2_f32_f16 v2, v4, v8, v2
	;;#ASMEND
	;;#ASMSTART
	v_dot2_f32_f16 v2, v5, v9, v2
	;;#ASMEND
	;;#ASMSTART
	v_dot2_f32_f16 v2, v6, v10, v2
	;;#ASMEND
	;;#ASMSTART
	v_dot2_f32_f16 v2, v7, v11, v2
	;;#ASMEND
	s_waitcnt lgkmcnt(0)
	;;#ASMSTART
	v_dot2_f32_f16 v3, v4, v12, v3
	;;#ASMEND
	;;#ASMSTART
	v_dot2_f32_f16 v3, v5, v13, v3
	;;#ASMEND
	;;#ASMSTART
	v_dot2_f32_f16 v3, v6, v14, v3
	;;#ASMEND
	;;#ASMSTART
	v_dot2_f32_f16 v3, v7, v15, v3
	;;#ASMEND
	ds_load_b128 v[4:7], v69 offset:32
	ds_load_b128 v[8:11], v70 offset:3376
	ds_load_b128 v[12:15], v70 offset:3536
	s_waitcnt lgkmcnt(1)
	;;#ASMSTART
	v_dot2_f32_f16 v2, v4, v8, v2
	;;#ASMEND
	;;#ASMSTART
	v_dot2_f32_f16 v2, v5, v9, v2
	;;#ASMEND
	;;#ASMSTART
	v_dot2_f32_f16 v2, v6, v10, v2
	;;#ASMEND
	;;#ASMSTART
	v_dot2_f32_f16 v2, v7, v11, v2
	;;#ASMEND
	s_waitcnt lgkmcnt(0)
	;;#ASMSTART
	v_dot2_f32_f16 v3, v4, v12, v3
	;;#ASMEND
	;;#ASMSTART
	v_dot2_f32_f16 v3, v5, v13, v3
	;;#ASMEND
	;;#ASMSTART
	v_dot2_f32_f16 v3, v6, v14, v3
	;;#ASMEND
	;;#ASMSTART
	v_dot2_f32_f16 v3, v7, v15, v3
	;;#ASMEND
	ds_load_b128 v[4:7], v69 offset:48
	ds_load_b128 v[8:11], v70 offset:3392
	ds_load_b128 v[12:15], v70 offset:3552
	;; [unrolled: 29-line block ×3, first 2 shown]
	s_waitcnt lgkmcnt(1)
	;;#ASMSTART
	v_dot2_f32_f16 v2, v4, v8, v2
	;;#ASMEND
	;;#ASMSTART
	v_dot2_f32_f16 v2, v5, v9, v2
	;;#ASMEND
	;; [unrolled: 3-line block ×4, first 2 shown]
	s_waitcnt lgkmcnt(0)
	;;#ASMSTART
	v_dot2_f32_f16 v3, v4, v12, v3
	;;#ASMEND
	;;#ASMSTART
	v_dot2_f32_f16 v3, v5, v13, v3
	;;#ASMEND
	;; [unrolled: 3-line block ×4, first 2 shown]
	v_dual_max_f32 v7, v0, v0 :: v_dual_add_nc_u32 v16, s16, v51
	s_delay_alu instid0(VALU_DEP_1) | instskip(NEXT) | instid1(VALU_DEP_1)
	v_ashrrev_i32_e32 v17, 31, v16
	v_lshlrev_b64 v[16:17], 1, v[16:17]
	s_delay_alu instid0(VALU_DEP_1) | instskip(NEXT) | instid1(VALU_DEP_1)
	v_add_co_u32 v16, s6, s40, v16
	v_add_co_ci_u32_e64 v17, s6, s41, v17, s6
	v_cmp_gt_i32_e64 s6, 32, v83
	flat_load_u16 v4, v[16:17]
	s_waitcnt vmcnt(0) lgkmcnt(0)
	s_barrier
	buffer_gl0_inv
	v_cvt_f32_f16_e32 v4, v4
	s_delay_alu instid0(VALU_DEP_1) | instskip(SKIP_3) | instid1(VALU_DEP_4)
	v_dual_max_f32 v5, v1, v1 :: v_dual_add_f32 v2, v2, v4
	v_add_f32_e32 v3, v3, v4
	v_cndmask_b32_e64 v4, v63, v83, s6
	v_cmp_gt_i32_e64 s6, 32, v84
	v_add_f32_e32 v8, 0x40051340, v2
	s_delay_alu instid0(VALU_DEP_4) | instskip(NEXT) | instid1(VALU_DEP_1)
	v_add_f32_e32 v6, 0x40051340, v3
	v_dual_max_f32 v5, v5, v6 :: v_dual_lshlrev_b32 v4, 2, v4
	s_delay_alu instid0(VALU_DEP_3)
	v_max_f32_e32 v6, v7, v8
	v_cndmask_b32_e64 v8, v63, v84, s6
	v_cmp_gt_i32_e64 s6, 32, v85
	ds_bpermute_b32 v7, v4, v5
	s_waitcnt lgkmcnt(0)
	v_max_f32_e32 v7, v7, v7
	s_delay_alu instid0(VALU_DEP_1) | instskip(SKIP_4) | instid1(VALU_DEP_1)
	v_max_f32_e32 v5, v5, v7
	ds_bpermute_b32 v4, v4, v6
	v_lshlrev_b32_e32 v8, 2, v8
	s_waitcnt lgkmcnt(0)
	v_max_f32_e32 v4, v4, v4
	v_max_f32_e32 v4, v6, v4
	ds_bpermute_b32 v6, v8, v5
	s_waitcnt lgkmcnt(0)
	v_max_f32_e32 v6, v6, v6
	s_delay_alu instid0(VALU_DEP_1) | instskip(SKIP_3) | instid1(VALU_DEP_2)
	v_max_f32_e32 v5, v5, v6
	ds_bpermute_b32 v7, v8, v4
	v_cndmask_b32_e64 v8, v63, v85, s6
	v_cmp_gt_i32_e64 s6, 32, v86
	v_lshlrev_b32_e32 v8, 2, v8
	ds_bpermute_b32 v6, v8, v5
	s_waitcnt lgkmcnt(0)
	v_dual_max_f32 v7, v7, v7 :: v_dual_max_f32 v6, v6, v6
	s_delay_alu instid0(VALU_DEP_1) | instskip(SKIP_3) | instid1(VALU_DEP_2)
	v_dual_max_f32 v5, v5, v6 :: v_dual_max_f32 v4, v4, v7
	ds_bpermute_b32 v7, v8, v4
	v_cndmask_b32_e64 v8, v63, v86, s6
	v_cmp_gt_i32_e64 s6, 32, v87
	v_lshlrev_b32_e32 v8, 2, v8
	ds_bpermute_b32 v6, v8, v5
	s_waitcnt lgkmcnt(0)
	v_dual_max_f32 v7, v7, v7 :: v_dual_max_f32 v6, v6, v6
	s_delay_alu instid0(VALU_DEP_1) | instskip(SKIP_2) | instid1(VALU_DEP_1)
	v_dual_max_f32 v5, v5, v6 :: v_dual_max_f32 v4, v4, v7
	ds_bpermute_b32 v7, v8, v4
	v_cndmask_b32_e64 v8, v63, v87, s6
	v_lshlrev_b32_e32 v8, 2, v8
	ds_bpermute_b32 v6, v8, v5
	s_waitcnt lgkmcnt(0)
	v_dual_max_f32 v7, v7, v7 :: v_dual_max_f32 v6, v6, v6
	s_delay_alu instid0(VALU_DEP_1) | instskip(NEXT) | instid1(VALU_DEP_1)
	v_max_f32_e32 v61, v5, v6
	v_sub_f32_e32 v93, v1, v61
	s_delay_alu instid0(VALU_DEP_3) | instskip(NEXT) | instid1(VALU_DEP_2)
	v_dual_sub_f32 v3, v3, v61 :: v_dual_max_f32 v4, v4, v7
	v_cmp_ngt_f32_e64 s9, 0xc2ce8ed0, v93
	s_delay_alu instid0(VALU_DEP_2) | instskip(SKIP_4) | instid1(VALU_DEP_1)
	v_cmp_ngt_f32_e64 s6, 0xc2ce8ed0, v3
	ds_bpermute_b32 v7, v8, v4
	v_cmp_nlt_f32_e64 s8, 0x42b17218, v93
	s_waitcnt lgkmcnt(0)
	v_max_f32_e32 v7, v7, v7
	v_max_f32_e32 v60, v4, v7
	v_mul_f32_e32 v4, 0x3fb8aa3b, v3
	s_delay_alu instid0(VALU_DEP_2) | instskip(NEXT) | instid1(VALU_DEP_2)
	v_sub_f32_e32 v2, v2, v60
	v_fma_f32 v6, 0x3fb8aa3b, v3, -v4
	v_rndne_f32_e32 v7, v4
	s_delay_alu instid0(VALU_DEP_3) | instskip(NEXT) | instid1(VALU_DEP_3)
	v_dual_sub_f32 v92, v0, v60 :: v_dual_mul_f32 v5, 0x3fb8aa3b, v2
	v_fmac_f32_e32 v6, 0x32a5705f, v3
	s_delay_alu instid0(VALU_DEP_3) | instskip(NEXT) | instid1(VALU_DEP_3)
	v_sub_f32_e32 v4, v4, v7
	v_cmp_ngt_f32_e64 s7, 0xc2ce8ed0, v92
	s_delay_alu instid0(VALU_DEP_4) | instskip(SKIP_1) | instid1(VALU_DEP_4)
	v_fma_f32 v8, 0x3fb8aa3b, v2, -v5
	v_rndne_f32_e32 v9, v5
	v_add_f32_e32 v4, v4, v6
	v_cvt_i32_f32_e32 v6, v7
	s_delay_alu instid0(VALU_DEP_3) | instskip(NEXT) | instid1(VALU_DEP_3)
	v_dual_fmac_f32 v8, 0x32a5705f, v2 :: v_dual_sub_f32 v5, v5, v9
	v_exp_f32_e32 v4, v4
	v_cvt_i32_f32_e32 v7, v9
	s_delay_alu instid0(VALU_DEP_2) | instskip(NEXT) | instid1(VALU_DEP_1)
	v_add_f32_e32 v5, v5, v8
	v_exp_f32_e32 v5, v5
	s_waitcnt_depctr 0xfff
	v_ldexp_f32 v4, v4, v6
	s_delay_alu instid0(VALU_DEP_1) | instskip(SKIP_2) | instid1(VALU_DEP_1)
	v_cndmask_b32_e64 v4, 0, v4, s6
	v_cmp_ngt_f32_e64 s6, 0xc2ce8ed0, v2
	v_ldexp_f32 v5, v5, v7
	v_cndmask_b32_e64 v5, 0, v5, s6
	v_cmp_nlt_f32_e64 s6, 0x42b17218, v3
	s_delay_alu instid0(VALU_DEP_1) | instskip(SKIP_1) | instid1(VALU_DEP_2)
	v_cndmask_b32_e64 v88, 0x7f800000, v4, s6
	v_cmp_nlt_f32_e64 s6, 0x42b17218, v2
	v_cvt_f16_f32_e32 v0, v88
	s_delay_alu instid0(VALU_DEP_2) | instskip(SKIP_1) | instid1(VALU_DEP_2)
	v_cndmask_b32_e64 v89, 0x7f800000, v5, s6
	v_cmp_nlt_f32_e64 s6, 0x42b17218, v92
	v_cvt_f16_f32_e32 v1, v89
	s_delay_alu instid0(VALU_DEP_1)
	v_pack_b32_f16 v0, v1, v0
	ds_store_b32 v75, v0
	s_and_saveexec_b32 s27, s4
	s_cbranch_execz .LBB9_21
; %bb.20:                               ;   in Loop: Header=BB9_11 Depth=1
	v_add_co_u32 v0, s10, s23, v56
	s_delay_alu instid0(VALU_DEP_1) | instskip(NEXT) | instid1(VALU_DEP_2)
	v_add_co_ci_u32_e64 v1, s10, s26, v57, s10
	v_add_co_u32 v0, s10, v0, v94
	s_delay_alu instid0(VALU_DEP_1)
	v_add_co_ci_u32_e64 v1, s10, 0, v1, s10
	global_load_b128 v[0:3], v[0:1], off offset:128
	s_waitcnt vmcnt(0)
	ds_store_b128 v78, v[0:3]
.LBB9_21:                               ;   in Loop: Header=BB9_11 Depth=1
	s_or_b32 exec_lo, exec_lo, s27
	v_lshlrev_b32_e32 v95, 2, v76
	s_and_saveexec_b32 s27, s5
	s_cbranch_execz .LBB9_23
; %bb.22:                               ;   in Loop: Header=BB9_11 Depth=1
	v_add_co_u32 v0, s10, s23, v58
	s_delay_alu instid0(VALU_DEP_1) | instskip(NEXT) | instid1(VALU_DEP_2)
	v_add_co_ci_u32_e64 v1, s10, s26, v59, s10
	v_add_co_u32 v0, s10, v0, v95
	s_delay_alu instid0(VALU_DEP_1)
	v_add_co_ci_u32_e64 v1, s10, 0, v1, s10
	global_load_b128 v[0:3], v[0:1], off
	s_waitcnt vmcnt(0)
	ds_store_b128 v79, v[0:3]
.LBB9_23:                               ;   in Loop: Header=BB9_11 Depth=1
	s_or_b32 exec_lo, exec_lo, s27
	s_waitcnt lgkmcnt(0)
	s_barrier
	buffer_gl0_inv
	ds_load_2addr_b64 v[40:43], v77 offset1:20
	ds_load_b128 v[32:35], v73
	ds_load_b128 v[24:27], v73 offset:16
	ds_load_b128 v[8:11], v73 offset:32
	;; [unrolled: 1-line block ×3, first 2 shown]
	ds_load_2addr_b64 v[36:39], v77 offset0:40 offset1:60
	ds_load_2addr_b64 v[28:31], v77 offset0:80 offset1:100
	v_add_nc_u32_e32 v91, 0x400, v77
	v_add_nc_u32_e32 v90, 0x800, v77
	ds_load_2addr_b64 v[44:47], v77 offset0:120 offset1:140
	ds_load_2addr_b64 v[20:23], v77 offset0:160 offset1:180
	;; [unrolled: 1-line block ×5, first 2 shown]
	s_or_b32 s10, s16, 16
	s_waitcnt lgkmcnt(0)
	s_mul_hi_i32 s27, s10, s17
	s_mul_i32 s26, s10, s17
	s_barrier
	s_lshl_b64 s[26:27], s[26:27], 2
	buffer_gl0_inv
	s_add_u32 s23, s20, s26
	s_addc_u32 s26, s21, s27
	s_and_saveexec_b32 s27, s4
	s_cbranch_execz .LBB9_25
; %bb.24:                               ;   in Loop: Header=BB9_11 Depth=1
	v_add_co_u32 v96, s10, s23, v56
	s_delay_alu instid0(VALU_DEP_1) | instskip(NEXT) | instid1(VALU_DEP_2)
	v_add_co_ci_u32_e64 v97, s10, s26, v57, s10
	v_add_co_u32 v96, s10, v96, v94
	s_delay_alu instid0(VALU_DEP_1)
	v_add_co_ci_u32_e64 v97, s10, 0, v97, s10
	global_load_b128 v[96:99], v[96:97], off offset:128
	s_waitcnt vmcnt(0)
	ds_store_b128 v78, v[96:99]
.LBB9_25:                               ;   in Loop: Header=BB9_11 Depth=1
	s_or_b32 exec_lo, exec_lo, s27
	s_and_saveexec_b32 s27, s5
	s_cbranch_execz .LBB9_27
; %bb.26:                               ;   in Loop: Header=BB9_11 Depth=1
	v_add_co_u32 v94, s10, s23, v58
	s_delay_alu instid0(VALU_DEP_1) | instskip(NEXT) | instid1(VALU_DEP_2)
	v_add_co_ci_u32_e64 v96, s10, s26, v59, s10
	v_add_co_u32 v94, s10, v94, v95
	s_delay_alu instid0(VALU_DEP_1)
	v_add_co_ci_u32_e64 v95, s10, 0, v96, s10
	global_load_b128 v[94:97], v[94:95], off
	s_waitcnt vmcnt(0)
	ds_store_b128 v79, v[94:97]
.LBB9_27:                               ;   in Loop: Header=BB9_11 Depth=1
	s_or_b32 exec_lo, exec_lo, s27
	v_dual_mul_f32 v94, 0x3fb8aa3b, v92 :: v_dual_mul_f32 v95, 0x3fb8aa3b, v93
	s_waitcnt lgkmcnt(0)
	s_barrier
	buffer_gl0_inv
	v_fma_f32 v96, 0x3fb8aa3b, v92, -v94
	v_fma_f32 v97, 0x3fb8aa3b, v93, -v95
	v_rndne_f32_e32 v98, v95
	v_rndne_f32_e32 v99, v94
	s_delay_alu instid0(VALU_DEP_3) | instskip(NEXT) | instid1(VALU_DEP_2)
	v_dual_fmac_f32 v96, 0x32a5705f, v92 :: v_dual_fmac_f32 v97, 0x32a5705f, v93
	v_dual_sub_f32 v92, v95, v98 :: v_dual_sub_f32 v93, v94, v99
	v_cvt_i32_f32_e32 v94, v98
	v_cvt_i32_f32_e32 v95, v99
	s_delay_alu instid0(VALU_DEP_3) | instskip(SKIP_1) | instid1(VALU_DEP_2)
	v_dual_add_f32 v92, v92, v97 :: v_dual_add_f32 v93, v93, v96
	v_pk_mul_f16 v97, v41, v32 op_sel_hi:[1,0]
	v_exp_f32_e32 v92, v92
	s_delay_alu instid0(VALU_DEP_2)
	v_exp_f32_e32 v93, v93
	s_waitcnt_depctr 0xfff
	v_ldexp_f32 v92, v92, v94
	v_ldexp_f32 v93, v93, v95
	v_pk_mul_f16 v94, v40, v32 op_sel_hi:[1,0]
	v_pk_mul_f16 v40, v40, v32 op_sel:[0,1]
	s_delay_alu instid0(VALU_DEP_4) | instskip(NEXT) | instid1(VALU_DEP_4)
	v_cndmask_b32_e64 v92, 0, v92, s9
	v_cndmask_b32_e64 v93, 0, v93, s7
	s_delay_alu instid0(VALU_DEP_2) | instskip(NEXT) | instid1(VALU_DEP_2)
	v_cndmask_b32_e64 v92, 0x7f800000, v92, s8
	v_cndmask_b32_e64 v93, 0x7f800000, v93, s6
	s_delay_alu instid0(VALU_DEP_2) | instskip(NEXT) | instid1(VALU_DEP_2)
	v_cvt_f16_f32_e32 v95, v92
	v_cvt_f16_f32_e32 v96, v93
	v_dual_fmac_f32 v89, v82, v93 :: v_dual_fmac_f32 v88, v81, v92
	s_delay_alu instid0(VALU_DEP_3) | instskip(NEXT) | instid1(VALU_DEP_3)
	v_pk_mul_f16 v64, v95, v64 op_sel_hi:[0,1]
	v_pk_fma_f16 v67, v96, v67, v94 op_sel_hi:[0,1,1]
	v_pk_fma_f16 v40, v95, v65, v40 op_sel_hi:[0,1,1]
	;; [unrolled: 1-line block ×3, first 2 shown]
	s_delay_alu instid0(VALU_DEP_4) | instskip(NEXT) | instid1(VALU_DEP_4)
	v_pk_fma_f16 v32, v41, v32, v64 op_sel:[0,1,0]
	v_pk_fma_f16 v41, v42, v33, v67 op_sel_hi:[1,0,1]
	s_delay_alu instid0(VALU_DEP_4) | instskip(NEXT) | instid1(VALU_DEP_4)
	v_pk_fma_f16 v40, v42, v33, v40 op_sel:[0,1,0]
	v_pk_fma_f16 v42, v43, v33, v65 op_sel_hi:[1,0,1]
	;; [unrolled: 3-line block ×20, first 2 shown]
	ds_load_2addr_b64 v[20:23], v77 offset1:20
	v_pk_fma_f16 v8, v17, v10, v8 op_sel:[0,1,0]
	v_pk_fma_f16 v9, v18, v11, v9 op_sel_hi:[1,0,1]
	v_pk_fma_f16 v10, v18, v11, v16 op_sel:[0,1,0]
	v_pk_fma_f16 v16, v19, v11, v24 op_sel_hi:[1,0,1]
	s_delay_alu instid0(VALU_DEP_4) | instskip(NEXT) | instid1(VALU_DEP_4)
	v_pk_fma_f16 v17, v19, v11, v8 op_sel:[0,1,0]
	v_pk_fma_f16 v24, v12, v0, v9 op_sel_hi:[1,0,1]
	s_delay_alu instid0(VALU_DEP_4)
	v_pk_fma_f16 v12, v12, v0, v10 op_sel:[0,1,0]
	ds_load_b128 v[8:11], v73 offset:64
	v_pk_fma_f16 v25, v13, v0, v16 op_sel_hi:[1,0,1]
	v_pk_fma_f16 v0, v13, v0, v17 op_sel:[0,1,0]
	ds_load_b128 v[16:19], v73 offset:80
	v_pk_fma_f16 v24, v14, v1, v24 op_sel_hi:[1,0,1]
	v_pk_fma_f16 v26, v14, v1, v12 op_sel:[0,1,0]
	v_pk_fma_f16 v25, v15, v1, v25 op_sel_hi:[1,0,1]
	v_pk_fma_f16 v0, v15, v1, v0 op_sel:[0,1,0]
	ds_load_2addr_b64 v[12:15], v77 offset0:40 offset1:60
	v_pk_fma_f16 v1, v4, v2, v24 op_sel_hi:[1,0,1]
	v_pk_fma_f16 v4, v4, v2, v26 op_sel:[0,1,0]
	v_pk_fma_f16 v32, v5, v2, v25 op_sel_hi:[1,0,1]
	v_pk_fma_f16 v0, v5, v2, v0 op_sel:[0,1,0]
	ds_load_b128 v[24:27], v73 offset:96
	ds_load_b128 v[28:31], v73 offset:112
	v_pk_fma_f16 v5, v6, v3, v1 op_sel_hi:[1,0,1]
	v_pk_fma_f16 v4, v6, v3, v4 op_sel:[0,1,0]
	v_pk_fma_f16 v6, v7, v3, v32 op_sel_hi:[1,0,1]
	v_pk_fma_f16 v7, v7, v3, v0 op_sel:[0,1,0]
	ds_load_2addr_b64 v[0:3], v77 offset0:80 offset1:100
	s_waitcnt lgkmcnt(5)
	v_pk_fma_f16 v32, v20, v8, v5 op_sel_hi:[1,0,1]
	v_pk_fma_f16 v20, v20, v8, v4 op_sel:[0,1,0]
	v_pk_fma_f16 v33, v21, v8, v6 op_sel_hi:[1,0,1]
	v_pk_fma_f16 v8, v21, v8, v7 op_sel:[0,1,0]
	ds_load_2addr_b64 v[4:7], v77 offset0:120 offset1:140
	v_pk_fma_f16 v32, v22, v9, v32 op_sel_hi:[1,0,1]
	v_pk_fma_f16 v34, v22, v9, v20 op_sel:[0,1,0]
	v_pk_fma_f16 v33, v23, v9, v33 op_sel_hi:[1,0,1]
	v_pk_fma_f16 v8, v23, v9, v8 op_sel:[0,1,0]
	ds_load_2addr_b64 v[20:23], v77 offset0:160 offset1:180
	s_waitcnt lgkmcnt(5)
	v_pk_fma_f16 v9, v12, v10, v32 op_sel_hi:[1,0,1]
	v_pk_fma_f16 v12, v12, v10, v34 op_sel:[0,1,0]
	v_pk_fma_f16 v36, v13, v10, v33 op_sel_hi:[1,0,1]
	v_pk_fma_f16 v8, v13, v10, v8 op_sel:[0,1,0]
	ds_load_2addr_b64 v[32:35], v77 offset0:200 offset1:220
	;; [unrolled: 11-line block ×3, first 2 shown]
	v_pk_fma_f16 v16, v2, v17, v36 op_sel_hi:[1,0,1]
	v_pk_fma_f16 v0, v2, v17, v0 op_sel:[0,1,0]
	v_pk_fma_f16 v2, v3, v17, v37 op_sel_hi:[1,0,1]
	v_pk_fma_f16 v1, v3, v17, v1 op_sel:[0,1,0]
	s_waitcnt lgkmcnt(0)
	v_pk_fma_f16 v3, v4, v18, v16 op_sel_hi:[1,0,1]
	v_pk_fma_f16 v0, v4, v18, v0 op_sel:[0,1,0]
	v_pk_fma_f16 v2, v5, v18, v2 op_sel_hi:[1,0,1]
	v_pk_fma_f16 v1, v5, v18, v1 op_sel:[0,1,0]
	s_barrier
	v_pk_fma_f16 v3, v6, v19, v3 op_sel_hi:[1,0,1]
	v_pk_fma_f16 v0, v6, v19, v0 op_sel:[0,1,0]
	v_pk_fma_f16 v2, v7, v19, v2 op_sel_hi:[1,0,1]
	v_pk_fma_f16 v1, v7, v19, v1 op_sel:[0,1,0]
	buffer_gl0_inv
	v_pk_fma_f16 v3, v20, v24, v3 op_sel_hi:[1,0,1]
	v_pk_fma_f16 v0, v20, v24, v0 op_sel:[0,1,0]
	v_pk_fma_f16 v2, v21, v24, v2 op_sel_hi:[1,0,1]
	v_pk_fma_f16 v1, v21, v24, v1 op_sel:[0,1,0]
	s_load_b32 s6, s[12:13], 0x4
	v_pk_fma_f16 v3, v22, v25, v3 op_sel_hi:[1,0,1]
	v_pk_fma_f16 v0, v22, v25, v0 op_sel:[0,1,0]
	v_pk_fma_f16 v2, v23, v25, v2 op_sel_hi:[1,0,1]
	v_pk_fma_f16 v1, v23, v25, v1 op_sel:[0,1,0]
	s_delay_alu instid0(VALU_DEP_4) | instskip(NEXT) | instid1(VALU_DEP_4)
	v_pk_fma_f16 v3, v32, v26, v3 op_sel_hi:[1,0,1]
	v_pk_fma_f16 v0, v32, v26, v0 op_sel:[0,1,0]
	s_delay_alu instid0(VALU_DEP_4) | instskip(NEXT) | instid1(VALU_DEP_4)
	;; [unrolled: 3-line block ×6, first 2 shown]
	v_pk_fma_f16 v2, v9, v28, v2 op_sel_hi:[1,0,1]
	v_pk_fma_f16 v1, v9, v28, v1 op_sel:[0,1,0]
	s_waitcnt lgkmcnt(0)
	s_lshl_b32 s6, s6, 5
	v_pk_fma_f16 v3, v10, v29, v3 op_sel_hi:[1,0,1]
	v_pk_fma_f16 v0, v10, v29, v0 op_sel:[0,1,0]
	v_pk_fma_f16 v2, v11, v29, v2 op_sel_hi:[1,0,1]
	v_pk_fma_f16 v1, v11, v29, v1 op_sel:[0,1,0]
	s_add_i32 s16, s6, s16
	v_pk_fma_f16 v3, v12, v30, v3 op_sel_hi:[1,0,1]
	v_pk_fma_f16 v0, v12, v30, v0 op_sel:[0,1,0]
	v_pk_fma_f16 v2, v13, v30, v2 op_sel_hi:[1,0,1]
	v_pk_fma_f16 v1, v13, v30, v1 op_sel:[0,1,0]
	s_cmp_ge_i32 s16, s34
	v_pk_fma_f16 v67, v14, v31, v3 op_sel_hi:[1,0,1]
	v_pk_fma_f16 v65, v14, v31, v0 op_sel:[0,1,0]
	v_pk_fma_f16 v68, v15, v31, v2 op_sel_hi:[1,0,1]
	v_pk_fma_f16 v64, v15, v31, v1 op_sel:[0,1,0]
	s_cbranch_scc1 .LBB9_29
; %bb.28:                               ;   in Loop: Header=BB9_11 Depth=1
	v_dual_mov_b32 v0, v60 :: v_dual_mov_b32 v1, v61
	v_dual_mov_b32 v82, v89 :: v_dual_mov_b32 v81, v88
	s_branch .LBB9_11
.LBB9_29:
	v_mov_b32_e32 v3, v63
.LBB9_30:
	v_cmp_lt_i32_e32 vcc_lo, v83, v66
	s_cmp_lg_u64 s[24:25], 0
	s_cselect_b32 s3, -1, 0
	s_cmp_eq_u32 s14, 0
	v_cndmask_b32_e32 v0, v3, v83, vcc_lo
	v_cmp_lt_i32_e32 vcc_lo, v84, v66
	s_cselect_b32 s4, -1, 0
	s_delay_alu instid0(SALU_CYCLE_1)
	s_and_b32 s3, s4, s3
	v_cndmask_b32_e32 v2, v3, v84, vcc_lo
	v_cmp_lt_i32_e32 vcc_lo, v85, v66
	v_dual_cndmask_b32 v5, v3, v85 :: v_dual_lshlrev_b32 v0, 2, v0
	ds_bpermute_b32 v1, v0, v89
	ds_bpermute_b32 v0, v0, v88
	v_cmp_lt_i32_e32 vcc_lo, v86, v66
	v_lshlrev_b32_e32 v5, 2, v5
	s_waitcnt lgkmcnt(1)
	v_dual_add_f32 v1, v89, v1 :: v_dual_lshlrev_b32 v2, 2, v2
	s_waitcnt lgkmcnt(0)
	v_add_f32_e32 v0, v88, v0
	ds_bpermute_b32 v4, v2, v1
	s_waitcnt lgkmcnt(0)
	v_add_f32_e32 v1, v1, v4
	ds_bpermute_b32 v2, v2, v0
	;; [unrolled: 3-line block ×3, first 2 shown]
	ds_bpermute_b32 v4, v5, v0
	v_cndmask_b32_e32 v5, v3, v86, vcc_lo
	v_cmp_lt_i32_e32 vcc_lo, v87, v66
	s_delay_alu instid0(VALU_DEP_2)
	v_lshlrev_b32_e32 v5, 2, v5
	s_waitcnt lgkmcnt(0)
	v_dual_add_f32 v1, v1, v2 :: v_dual_add_f32 v0, v0, v4
	ds_bpermute_b32 v2, v5, v1
	ds_bpermute_b32 v4, v5, v0
	v_cndmask_b32_e32 v3, v3, v87, vcc_lo
	s_and_b32 vcc_lo, exec_lo, s3
	s_waitcnt lgkmcnt(0)
	v_dual_add_f32 v1, v1, v2 :: v_dual_add_f32 v2, v0, v4
	s_delay_alu instid0(VALU_DEP_2)
	v_lshlrev_b32_e32 v3, 2, v3
	ds_bpermute_b32 v0, v3, v1
	s_waitcnt lgkmcnt(0)
	v_add_f32_e32 v0, v1, v0
	ds_bpermute_b32 v3, v3, v2
	s_waitcnt lgkmcnt(0)
	v_add_f32_e32 v1, v2, v3
	s_cbranch_vccz .LBB9_33
; %bb.31:
	v_add_nc_u32_e32 v2, s15, v62
	s_delay_alu instid0(VALU_DEP_1) | instskip(NEXT) | instid1(VALU_DEP_1)
	v_ashrrev_i32_e32 v3, 31, v2
	v_lshlrev_b64 v[2:3], 2, v[2:3]
	s_delay_alu instid0(VALU_DEP_1) | instskip(NEXT) | instid1(VALU_DEP_2)
	v_add_co_u32 v2, vcc_lo, s24, v2
	v_add_co_ci_u32_e32 v3, vcc_lo, s25, v3, vcc_lo
	global_load_b64 v[2:3], v[2:3], off
	s_waitcnt vmcnt(0)
	v_dual_max_f32 v4, v60, v60 :: v_dual_max_f32 v5, v2, v2
	s_delay_alu instid0(VALU_DEP_1) | instskip(NEXT) | instid1(VALU_DEP_1)
	v_dual_max_f32 v7, v3, v3 :: v_dual_max_f32 v4, v4, v5
	v_sub_f32_e32 v2, v2, v4
	s_delay_alu instid0(VALU_DEP_1) | instskip(NEXT) | instid1(VALU_DEP_1)
	v_dual_max_f32 v6, v61, v61 :: v_dual_mul_f32 v9, 0x3fb8aa3b, v2
	v_dual_max_f32 v5, v6, v7 :: v_dual_sub_f32 v6, v60, v4
	s_delay_alu instid0(VALU_DEP_2) | instskip(NEXT) | instid1(VALU_DEP_2)
	v_rndne_f32_e32 v15, v9
	v_sub_f32_e32 v7, v61, v5
	s_delay_alu instid0(VALU_DEP_3) | instskip(SKIP_3) | instid1(VALU_DEP_4)
	v_dual_sub_f32 v3, v3, v5 :: v_dual_mul_f32 v8, 0x3fb8aa3b, v6
	v_fma_f32 v14, 0x3fb8aa3b, v2, -v9
	v_cmp_ngt_f32_e32 vcc_lo, 0xc2ce8ed0, v6
	v_sub_f32_e32 v9, v9, v15
	v_mul_f32_e32 v11, 0x3fb8aa3b, v3
	v_fma_f32 v12, 0x3fb8aa3b, v6, -v8
	v_rndne_f32_e32 v13, v8
	v_dual_mov_b32 v61, v5 :: v_dual_mov_b32 v60, v4
	s_delay_alu instid0(VALU_DEP_4) | instskip(NEXT) | instid1(VALU_DEP_4)
	v_rndne_f32_e32 v19, v11
	v_fmac_f32_e32 v12, 0x32a5705f, v6
	s_delay_alu instid0(VALU_DEP_4) | instskip(SKIP_1) | instid1(VALU_DEP_2)
	v_sub_f32_e32 v8, v8, v13
	v_fma_f32 v18, 0x3fb8aa3b, v3, -v11
	v_dual_sub_f32 v11, v11, v19 :: v_dual_add_f32 v8, v8, v12
	v_cvt_i32_f32_e32 v12, v13
	s_delay_alu instid0(VALU_DEP_3) | instskip(SKIP_3) | instid1(VALU_DEP_3)
	v_fmac_f32_e32 v18, 0x32a5705f, v3
	v_cvt_i32_f32_e32 v13, v15
	v_cvt_i32_f32_e32 v15, v19
	v_exp_f32_e32 v8, v8
	v_add_f32_e32 v11, v11, v18
	s_delay_alu instid0(VALU_DEP_1) | instskip(SKIP_2) | instid1(VALU_DEP_1)
	v_exp_f32_e32 v11, v11
	s_waitcnt_depctr 0xfff
	v_ldexp_f32 v8, v8, v12
	v_cndmask_b32_e32 v8, 0, v8, vcc_lo
	v_cmp_ngt_f32_e32 vcc_lo, 0xc2ce8ed0, v2
	v_fmac_f32_e32 v14, 0x32a5705f, v2
	v_mul_f32_e32 v10, 0x3fb8aa3b, v7
	v_ldexp_f32 v11, v11, v15
	s_delay_alu instid0(VALU_DEP_3) | instskip(NEXT) | instid1(VALU_DEP_3)
	v_add_f32_e32 v9, v9, v14
	v_fma_f32 v16, 0x3fb8aa3b, v7, -v10
	v_rndne_f32_e32 v17, v10
	s_delay_alu instid0(VALU_DEP_3) | instskip(NEXT) | instid1(VALU_DEP_2)
	v_exp_f32_e32 v9, v9
	v_fmac_f32_e32 v16, 0x32a5705f, v7
	s_delay_alu instid0(VALU_DEP_2) | instskip(SKIP_1) | instid1(VALU_DEP_2)
	v_sub_f32_e32 v10, v10, v17
	v_cvt_i32_f32_e32 v14, v17
	v_add_f32_e32 v10, v10, v16
	s_waitcnt_depctr 0xfff
	v_ldexp_f32 v9, v9, v13
	v_exp_f32_e32 v10, v10
	s_delay_alu instid0(VALU_DEP_1) | instskip(SKIP_3) | instid1(VALU_DEP_1)
	v_cndmask_b32_e32 v9, 0, v9, vcc_lo
	v_cmp_ngt_f32_e32 vcc_lo, 0xc2ce8ed0, v7
	s_waitcnt_depctr 0xfff
	v_ldexp_f32 v10, v10, v14
	v_cndmask_b32_e32 v10, 0, v10, vcc_lo
	v_cmp_ngt_f32_e32 vcc_lo, 0xc2ce8ed0, v3
	v_cndmask_b32_e32 v11, 0, v11, vcc_lo
	v_cmp_nlt_f32_e32 vcc_lo, 0x42b17218, v6
	v_cndmask_b32_e32 v6, 0x7f800000, v8, vcc_lo
	v_cmp_nlt_f32_e32 vcc_lo, 0x42b17218, v2
	s_delay_alu instid0(VALU_DEP_2) | instskip(SKIP_2) | instid1(VALU_DEP_3)
	v_cvt_f16_f32_e32 v8, v6
	v_cndmask_b32_e32 v2, 0x7f800000, v9, vcc_lo
	v_cmp_nlt_f32_e32 vcc_lo, 0x42b17218, v7
	v_pk_mul_f16 v67, v8, v67 op_sel_hi:[0,1]
	s_delay_alu instid0(VALU_DEP_3) | instskip(SKIP_3) | instid1(VALU_DEP_4)
	v_fmac_f32_e32 v2, v0, v6
	v_cndmask_b32_e32 v7, 0x7f800000, v10, vcc_lo
	v_cmp_nlt_f32_e32 vcc_lo, 0x42b17218, v3
	v_pk_mul_f16 v68, v8, v68 op_sel_hi:[0,1]
	v_mov_b32_e32 v0, v2
	s_delay_alu instid0(VALU_DEP_4) | instskip(SKIP_1) | instid1(VALU_DEP_2)
	v_cvt_f16_f32_e32 v4, v7
	v_cndmask_b32_e32 v3, 0x7f800000, v11, vcc_lo
	v_pk_mul_f16 v65, v4, v65 op_sel_hi:[0,1]
	s_delay_alu instid0(VALU_DEP_2) | instskip(SKIP_1) | instid1(VALU_DEP_2)
	v_fmac_f32_e32 v3, v1, v7
	v_pk_mul_f16 v64, v4, v64 op_sel_hi:[0,1]
	v_mov_b32_e32 v1, v3
	s_mov_b32 s3, exec_lo
	v_cmpx_gt_i32_e64 s38, v50
	s_cbranch_execnz .LBB9_34
.LBB9_32:
	s_nop 0
	s_sendmsg sendmsg(MSG_DEALLOC_VGPRS)
	s_endpgm
.LBB9_33:
	s_delay_alu instid0(VALU_DEP_1)
	v_dual_mov_b32 v3, v1 :: v_dual_mov_b32 v2, v0
	s_mov_b32 s3, exec_lo
	v_cmpx_gt_i32_e64 s38, v50
	s_cbranch_execz .LBB9_32
.LBB9_34:
	s_load_b32 s0, s[0:1], 0xd4
	v_mov_b32_e32 v5, 1.0
	s_waitcnt lgkmcnt(0)
	s_cmp_lg_u32 s0, 1
	s_cselect_b32 s3, -1, 0
	s_cmp_eq_u32 s0, 1
	s_cselect_b32 s1, -1, 0
	s_and_b32 vcc_lo, exec_lo, s3
	s_cbranch_vccnz .LBB9_36
; %bb.35:
	v_div_scale_f32 v4, null, v0, v0, 1.0
	s_delay_alu instid0(VALU_DEP_1) | instskip(SKIP_2) | instid1(VALU_DEP_1)
	v_rcp_f32_e32 v5, v4
	s_waitcnt_depctr 0xfff
	v_fma_f32 v6, -v4, v5, 1.0
	v_fmac_f32_e32 v5, v6, v5
	v_div_scale_f32 v6, vcc_lo, 1.0, v0, 1.0
	s_delay_alu instid0(VALU_DEP_1) | instskip(NEXT) | instid1(VALU_DEP_1)
	v_mul_f32_e32 v7, v6, v5
	v_fma_f32 v8, -v4, v7, v6
	s_delay_alu instid0(VALU_DEP_1) | instskip(NEXT) | instid1(VALU_DEP_1)
	v_fmac_f32_e32 v7, v8, v5
	v_fma_f32 v4, -v4, v7, v6
	s_delay_alu instid0(VALU_DEP_1) | instskip(NEXT) | instid1(VALU_DEP_1)
	v_div_fmas_f32 v4, v4, v5, v7
	v_div_fixup_f32 v5, v4, v0, 1.0
.LBB9_36:
	v_mad_u64_u32 v[6:7], null, s11, s38, v[50:51]
	s_delay_alu instid0(VALU_DEP_1) | instskip(NEXT) | instid1(VALU_DEP_1)
	v_mul_lo_u32 v0, v6, s39
	v_add3_u32 v0, s15, v62, v0
	s_delay_alu instid0(VALU_DEP_1) | instskip(NEXT) | instid1(VALU_DEP_1)
	v_mul_lo_u32 v0, s0, v0
	v_add_nc_u32_e32 v4, s14, v0
	s_and_saveexec_b32 s4, s2
	s_cbranch_execz .LBB9_38
; %bb.37:
	v_lshrrev_b32_e32 v8, 16, v68
	s_delay_alu instid0(VALU_DEP_2) | instskip(SKIP_2) | instid1(VALU_DEP_4)
	v_mad_u64_u32 v[6:7], null, 0x50, v4, v[48:49]
	v_lshrrev_b32_e32 v9, 16, v67
	v_cvt_f32_f16_e32 v11, v68
	v_cvt_f32_f16_e32 v8, v8
	v_mov_b32_e32 v7, 0
	v_cvt_f32_f16_e32 v13, v67
	v_cvt_f32_f16_e32 v12, v9
	s_delay_alu instid0(VALU_DEP_4) | instskip(NEXT) | instid1(VALU_DEP_4)
	v_mul_f32_e32 v8, v5, v8
	v_lshlrev_b64 v[9:10], 2, v[6:7]
	v_mul_f32_e32 v7, v5, v11
	s_delay_alu instid0(VALU_DEP_4) | instskip(SKIP_1) | instid1(VALU_DEP_4)
	v_mul_f32_e32 v6, v5, v12
	v_mul_f32_e32 v5, v5, v13
	v_add_co_u32 v9, vcc_lo, s28, v9
	v_add_co_ci_u32_e32 v10, vcc_lo, s29, v10, vcc_lo
	global_store_b128 v[9:10], v[5:8], off
.LBB9_38:
	s_or_b32 exec_lo, exec_lo, s4
	v_cmp_eq_u32_e32 vcc_lo, 0, v49
	s_and_b32 s3, vcc_lo, s3
	s_delay_alu instid0(SALU_CYCLE_1)
	s_and_saveexec_b32 s4, s3
	s_cbranch_execnz .LBB9_42
; %bb.39:
	s_or_b32 exec_lo, exec_lo, s4
	v_mov_b32_e32 v2, 1.0
	s_and_not1_b32 vcc_lo, exec_lo, s1
	s_cbranch_vccz .LBB9_43
.LBB9_40:
	v_add3_u32 v0, s14, s0, v0
	s_and_saveexec_b32 s0, s2
	s_cbranch_execnz .LBB9_44
.LBB9_41:
	s_or_b32 exec_lo, exec_lo, s0
	s_delay_alu instid0(SALU_CYCLE_1)
	s_and_b32 exec_lo, exec_lo, s3
	s_cbranch_execz .LBB9_32
	s_branch .LBB9_45
.LBB9_42:
	v_ashrrev_i32_e32 v5, 31, v4
	v_dual_mov_b32 v6, v60 :: v_dual_mov_b32 v7, v2
	s_delay_alu instid0(VALU_DEP_2) | instskip(NEXT) | instid1(VALU_DEP_1)
	v_lshlrev_b64 v[4:5], 3, v[4:5]
	v_add_co_u32 v4, vcc_lo, s30, v4
	s_delay_alu instid0(VALU_DEP_2)
	v_add_co_ci_u32_e32 v5, vcc_lo, s31, v5, vcc_lo
	global_store_b64 v[4:5], v[6:7], off
	s_or_b32 exec_lo, exec_lo, s4
	v_mov_b32_e32 v2, 1.0
	s_and_not1_b32 vcc_lo, exec_lo, s1
	s_cbranch_vccnz .LBB9_40
.LBB9_43:
	v_div_scale_f32 v2, null, v1, v1, 1.0
	s_delay_alu instid0(VALU_DEP_1) | instskip(SKIP_2) | instid1(VALU_DEP_1)
	v_rcp_f32_e32 v4, v2
	s_waitcnt_depctr 0xfff
	v_fma_f32 v5, -v2, v4, 1.0
	v_fmac_f32_e32 v4, v5, v4
	v_div_scale_f32 v5, vcc_lo, 1.0, v1, 1.0
	s_delay_alu instid0(VALU_DEP_1) | instskip(NEXT) | instid1(VALU_DEP_1)
	v_mul_f32_e32 v6, v5, v4
	v_fma_f32 v7, -v2, v6, v5
	s_delay_alu instid0(VALU_DEP_1) | instskip(NEXT) | instid1(VALU_DEP_1)
	v_fmac_f32_e32 v6, v7, v4
	v_fma_f32 v2, -v2, v6, v5
	s_delay_alu instid0(VALU_DEP_1) | instskip(NEXT) | instid1(VALU_DEP_1)
	v_div_fmas_f32 v2, v2, v4, v6
	v_div_fixup_f32 v2, v2, v1, 1.0
	v_add3_u32 v0, s14, s0, v0
	s_and_saveexec_b32 s0, s2
	s_cbranch_execz .LBB9_41
.LBB9_44:
	s_delay_alu instid0(VALU_DEP_1)
	v_mad_u64_u32 v[4:5], null, 0x50, v0, v[48:49]
	v_lshrrev_b32_e32 v6, 16, v65
	v_cvt_f32_f16_e32 v10, v64
	v_mov_b32_e32 v5, 0
	v_lshrrev_b32_e32 v1, 16, v64
	v_cvt_f32_f16_e32 v12, v65
	v_cvt_f32_f16_e32 v11, v6
	v_mul_f32_e32 v6, v2, v10
	v_lshlrev_b64 v[8:9], 2, v[4:5]
	v_cvt_f32_f16_e32 v1, v1
	v_mul_f32_e32 v4, v2, v12
	v_mul_f32_e32 v5, v2, v11
	s_delay_alu instid0(VALU_DEP_3) | instskip(SKIP_4) | instid1(SALU_CYCLE_1)
	v_mul_f32_e32 v7, v2, v1
	v_add_co_u32 v1, vcc_lo, s28, v8
	v_add_co_ci_u32_e32 v2, vcc_lo, s29, v9, vcc_lo
	global_store_b128 v[1:2], v[4:7], off
	s_or_b32 exec_lo, exec_lo, s0
	s_and_b32 exec_lo, exec_lo, s3
	s_cbranch_execz .LBB9_32
.LBB9_45:
	v_ashrrev_i32_e32 v1, 31, v0
	v_mov_b32_e32 v2, v61
	s_delay_alu instid0(VALU_DEP_2) | instskip(NEXT) | instid1(VALU_DEP_1)
	v_lshlrev_b64 v[0:1], 3, v[0:1]
	v_add_co_u32 v0, vcc_lo, s30, v0
	s_delay_alu instid0(VALU_DEP_2)
	v_add_co_ci_u32_e32 v1, vcc_lo, s31, v1, vcc_lo
	global_store_b64 v[0:1], v[2:3], off
	s_nop 0
	s_sendmsg sendmsg(MSG_DEALLOC_VGPRS)
	s_endpgm
	.section	.rodata,"a",@progbits
	.p2align	6, 0x0
	.amdhsa_kernel _ZL15flash_attn_tileILi80ELi80ELi2ELi8ELb0EEvPKcS1_S1_S1_S1_PKiPfP15HIP_vector_typeIfLj2EEffffjfiS5_IjLj3EEiiiiiiiiiiiliiliiiiil
		.amdhsa_group_segment_fixed_size 6848
		.amdhsa_private_segment_fixed_size 0
		.amdhsa_kernarg_size 464
		.amdhsa_user_sgpr_count 13
		.amdhsa_user_sgpr_dispatch_ptr 0
		.amdhsa_user_sgpr_queue_ptr 0
		.amdhsa_user_sgpr_kernarg_segment_ptr 1
		.amdhsa_user_sgpr_dispatch_id 0
		.amdhsa_user_sgpr_private_segment_size 0
		.amdhsa_wavefront_size32 1
		.amdhsa_uses_dynamic_stack 0
		.amdhsa_enable_private_segment 0
		.amdhsa_system_sgpr_workgroup_id_x 1
		.amdhsa_system_sgpr_workgroup_id_y 1
		.amdhsa_system_sgpr_workgroup_id_z 1
		.amdhsa_system_sgpr_workgroup_info 0
		.amdhsa_system_vgpr_workitem_id 1
		.amdhsa_next_free_vgpr 100
		.amdhsa_next_free_sgpr 42
		.amdhsa_reserve_vcc 1
		.amdhsa_float_round_mode_32 0
		.amdhsa_float_round_mode_16_64 0
		.amdhsa_float_denorm_mode_32 3
		.amdhsa_float_denorm_mode_16_64 3
		.amdhsa_dx10_clamp 1
		.amdhsa_ieee_mode 1
		.amdhsa_fp16_overflow 0
		.amdhsa_workgroup_processor_mode 1
		.amdhsa_memory_ordered 1
		.amdhsa_forward_progress 0
		.amdhsa_shared_vgpr_count 0
		.amdhsa_exception_fp_ieee_invalid_op 0
		.amdhsa_exception_fp_denorm_src 0
		.amdhsa_exception_fp_ieee_div_zero 0
		.amdhsa_exception_fp_ieee_overflow 0
		.amdhsa_exception_fp_ieee_underflow 0
		.amdhsa_exception_fp_ieee_inexact 0
		.amdhsa_exception_int_div_zero 0
	.end_amdhsa_kernel
	.section	.text._ZL15flash_attn_tileILi80ELi80ELi2ELi8ELb0EEvPKcS1_S1_S1_S1_PKiPfP15HIP_vector_typeIfLj2EEffffjfiS5_IjLj3EEiiiiiiiiiiiliiliiiiil,"axG",@progbits,_ZL15flash_attn_tileILi80ELi80ELi2ELi8ELb0EEvPKcS1_S1_S1_S1_PKiPfP15HIP_vector_typeIfLj2EEffffjfiS5_IjLj3EEiiiiiiiiiiiliiliiiiil,comdat
.Lfunc_end9:
	.size	_ZL15flash_attn_tileILi80ELi80ELi2ELi8ELb0EEvPKcS1_S1_S1_S1_PKiPfP15HIP_vector_typeIfLj2EEffffjfiS5_IjLj3EEiiiiiiiiiiiliiliiiiil, .Lfunc_end9-_ZL15flash_attn_tileILi80ELi80ELi2ELi8ELb0EEvPKcS1_S1_S1_S1_PKiPfP15HIP_vector_typeIfLj2EEffffjfiS5_IjLj3EEiiiiiiiiiiiliiliiiiil
                                        ; -- End function
	.section	.AMDGPU.csdata,"",@progbits
; Kernel info:
; codeLenInByte = 8480
; NumSgprs: 44
; NumVgprs: 100
; ScratchSize: 0
; MemoryBound: 0
; FloatMode: 240
; IeeeMode: 1
; LDSByteSize: 6848 bytes/workgroup (compile time only)
; SGPRBlocks: 5
; VGPRBlocks: 12
; NumSGPRsForWavesPerEU: 44
; NumVGPRsForWavesPerEU: 100
; Occupancy: 12
; WaveLimiterHint : 1
; COMPUTE_PGM_RSRC2:SCRATCH_EN: 0
; COMPUTE_PGM_RSRC2:USER_SGPR: 13
; COMPUTE_PGM_RSRC2:TRAP_HANDLER: 0
; COMPUTE_PGM_RSRC2:TGID_X_EN: 1
; COMPUTE_PGM_RSRC2:TGID_Y_EN: 1
; COMPUTE_PGM_RSRC2:TGID_Z_EN: 1
; COMPUTE_PGM_RSRC2:TIDIG_COMP_CNT: 1
	.section	.text._ZL25flash_attn_mask_to_KV_maxILi2EEvPK7__half2Piiii,"axG",@progbits,_ZL25flash_attn_mask_to_KV_maxILi2EEvPK7__half2Piiii,comdat
	.globl	_ZL25flash_attn_mask_to_KV_maxILi2EEvPK7__half2Piiii ; -- Begin function _ZL25flash_attn_mask_to_KV_maxILi2EEvPK7__half2Piiii
	.p2align	8
	.type	_ZL25flash_attn_mask_to_KV_maxILi2EEvPK7__half2Piiii,@function
_ZL25flash_attn_mask_to_KV_maxILi2EEvPK7__half2Piiii: ; @_ZL25flash_attn_mask_to_KV_maxILi2EEvPK7__half2Piiii
; %bb.0:
	s_load_b128 s[4:7], s[0:1], 0x0
	s_mov_b32 s2, exec_lo
	v_cmpx_gt_u32_e32 32, v0
	s_cbranch_execz .LBB10_2
; %bb.1:
	v_dual_mov_b32 v2, 1 :: v_dual_lshlrev_b32 v1, 2, v0
	ds_store_b32 v1, v2
.LBB10_2:
	s_or_b32 exec_lo, exec_lo, s2
	s_clause 0x1
	s_load_b128 s[8:11], s[0:1], 0x10
	s_load_b32 s1, s[0:1], 0x20
	v_dual_mov_b32 v2, 0 :: v_dual_and_b32 v1, 31, v0
	v_lshrrev_b32_e32 v3, 3, v0
	s_waitcnt lgkmcnt(0)
	s_barrier
	s_delay_alu instid0(VALU_DEP_2) | instskip(SKIP_4) | instid1(SALU_CYCLE_1)
	v_lshlrev_b32_e32 v4, 2, v1
	buffer_gl0_inv
	s_mul_i32 s0, s14, s9
	s_mul_i32 s2, s15, s10
	s_lshl_b32 s0, s0, 1
	s_add_i32 s2, s2, s0
	v_cmp_eq_u32_e64 s0, 0, v1
	s_ashr_i32 s3, s2, 31
	s_delay_alu instid0(SALU_CYCLE_1) | instskip(NEXT) | instid1(SALU_CYCLE_1)
	s_lshl_b64 s[10:11], s[2:3], 2
	s_add_u32 s3, s4, s10
	s_addc_u32 s4, s5, s11
	s_lshl_b32 s5, s8, 8
	s_branch .LBB10_4
.LBB10_3:                               ;   in Loop: Header=BB10_4 Depth=1
	s_or_b32 exec_lo, exec_lo, s10
	s_waitcnt lgkmcnt(0)
	s_barrier
	buffer_gl0_inv
	ds_load_b32 v1, v4
	s_waitcnt lgkmcnt(0)
	s_barrier
	buffer_gl0_inv
	;;#ASMSTART
	;;#ASMEND
	v_cmp_ne_u32_e32 vcc_lo, 0, v1
	s_cmp_lg_u32 vcc_lo, exec_lo
	s_cselect_b32 s8, -1, 0
	s_delay_alu instid0(SALU_CYCLE_1)
	s_and_b32 vcc_lo, exec_lo, s8
	s_cbranch_vccnz .LBB10_12
.LBB10_4:                               ; =>This Inner Loop Header: Depth=1
	s_mov_b32 s2, s5
	s_addk_i32 s5, 0xff00
	s_delay_alu instid0(SALU_CYCLE_1)
	s_cmp_lt_i32 s5, 0
	s_cbranch_scc1 .LBB10_11
; %bb.5:                                ;   in Loop: Header=BB10_4 Depth=1
	s_lshr_b32 s8, s5, 1
	s_mov_b32 s10, 0
	v_add_nc_u32_e32 v1, s8, v0
	s_delay_alu instid0(VALU_DEP_1) | instskip(NEXT) | instid1(VALU_DEP_1)
	v_lshlrev_b64 v[5:6], 2, v[1:2]
	v_add_co_u32 v5, vcc_lo, s3, v5
	s_delay_alu instid0(VALU_DEP_2) | instskip(SKIP_4) | instid1(VALU_DEP_2)
	v_add_co_ci_u32_e32 v6, vcc_lo, s4, v6, vcc_lo
	global_load_b32 v5, v[5:6], off
	s_waitcnt vmcnt(0)
	v_lshrrev_b32_e32 v6, 16, v5
	v_cmp_class_f16_e64 s8, v5, 0x204
	v_and_b32_e32 v6, 0x7fff, v6
	s_delay_alu instid0(VALU_DEP_1) | instskip(NEXT) | instid1(VALU_DEP_3)
	v_cmp_eq_f16_e32 vcc_lo, 0x7c00, v6
	s_and_b32 s11, s8, vcc_lo
	s_delay_alu instid0(SALU_CYCLE_1)
	s_and_saveexec_b32 s8, s11
	s_cbranch_execz .LBB10_9
; %bb.6:                                ;   in Loop: Header=BB10_4 Depth=1
	v_add_nc_u32_e32 v5, s9, v1
	s_delay_alu instid0(VALU_DEP_1) | instskip(NEXT) | instid1(VALU_DEP_1)
	v_ashrrev_i32_e32 v6, 31, v5
	v_lshlrev_b64 v[5:6], 2, v[5:6]
	s_delay_alu instid0(VALU_DEP_1) | instskip(NEXT) | instid1(VALU_DEP_2)
	v_add_co_u32 v5, vcc_lo, s3, v5
	v_add_co_ci_u32_e32 v6, vcc_lo, s4, v6, vcc_lo
	global_load_b32 v1, v[5:6], off
	s_waitcnt vmcnt(0)
	v_cmp_class_f16_e64 s12, v1, 0x204
	s_delay_alu instid0(VALU_DEP_1)
	s_and_saveexec_b32 s11, s12
; %bb.7:                                ;   in Loop: Header=BB10_4 Depth=1
	v_lshrrev_b32_e32 v1, 16, v1
	s_delay_alu instid0(VALU_DEP_1) | instskip(NEXT) | instid1(VALU_DEP_1)
	v_cmp_class_f16_e64 s10, v1, 0x204
	s_and_b32 s10, s10, exec_lo
; %bb.8:                                ;   in Loop: Header=BB10_4 Depth=1
	s_or_b32 exec_lo, exec_lo, s11
	s_delay_alu instid0(SALU_CYCLE_1)
	s_and_b32 s10, s10, exec_lo
.LBB10_9:                               ;   in Loop: Header=BB10_4 Depth=1
	s_or_b32 exec_lo, exec_lo, s8
	v_cndmask_b32_e64 v1, 0, 1, s10
	;;#ASMSTART
	;;#ASMEND
	s_delay_alu instid0(VALU_DEP_1)
	v_cmp_ne_u32_e32 vcc_lo, 0, v1
	s_mov_b32 s8, exec_lo
	s_and_saveexec_b32 s10, s0
	s_cbranch_execz .LBB10_3
; %bb.10:                               ;   in Loop: Header=BB10_4 Depth=1
	s_cmp_eq_u32 vcc_lo, s8
	s_cselect_b32 s8, -1, 0
	s_delay_alu instid0(SALU_CYCLE_1)
	v_cndmask_b32_e64 v1, 0, 1, s8
	ds_store_b32 v3, v1
	s_branch .LBB10_3
.LBB10_11:                              ;   in Loop: Header=BB10_4 Depth=1
                                        ; implicit-def: $sgpr5
	s_cbranch_execz .LBB10_4
.LBB10_12:
	s_mov_b32 s0, exec_lo
	v_cmpx_eq_u32_e32 0, v0
	s_cbranch_execz .LBB10_14
; %bb.13:
	s_mul_i32 s0, s1, s15
	v_dual_mov_b32 v0, 0 :: v_dual_mov_b32 v1, s2
	s_add_i32 s0, s0, s14
	s_delay_alu instid0(SALU_CYCLE_1) | instskip(NEXT) | instid1(SALU_CYCLE_1)
	s_ashr_i32 s1, s0, 31
	s_lshl_b64 s[0:1], s[0:1], 2
	s_delay_alu instid0(SALU_CYCLE_1)
	s_add_u32 s0, s6, s0
	s_addc_u32 s1, s7, s1
	global_store_b32 v0, v1, s[0:1]
.LBB10_14:
	s_nop 0
	s_sendmsg sendmsg(MSG_DEALLOC_VGPRS)
	s_endpgm
	.section	.rodata,"a",@progbits
	.p2align	6, 0x0
	.amdhsa_kernel _ZL25flash_attn_mask_to_KV_maxILi2EEvPK7__half2Piiii
		.amdhsa_group_segment_fixed_size 128
		.amdhsa_private_segment_fixed_size 0
		.amdhsa_kernarg_size 288
		.amdhsa_user_sgpr_count 14
		.amdhsa_user_sgpr_dispatch_ptr 0
		.amdhsa_user_sgpr_queue_ptr 0
		.amdhsa_user_sgpr_kernarg_segment_ptr 1
		.amdhsa_user_sgpr_dispatch_id 0
		.amdhsa_user_sgpr_private_segment_size 0
		.amdhsa_wavefront_size32 1
		.amdhsa_uses_dynamic_stack 0
		.amdhsa_enable_private_segment 0
		.amdhsa_system_sgpr_workgroup_id_x 1
		.amdhsa_system_sgpr_workgroup_id_y 1
		.amdhsa_system_sgpr_workgroup_id_z 0
		.amdhsa_system_sgpr_workgroup_info 0
		.amdhsa_system_vgpr_workitem_id 0
		.amdhsa_next_free_vgpr 7
		.amdhsa_next_free_sgpr 16
		.amdhsa_reserve_vcc 1
		.amdhsa_float_round_mode_32 0
		.amdhsa_float_round_mode_16_64 0
		.amdhsa_float_denorm_mode_32 3
		.amdhsa_float_denorm_mode_16_64 3
		.amdhsa_dx10_clamp 1
		.amdhsa_ieee_mode 1
		.amdhsa_fp16_overflow 0
		.amdhsa_workgroup_processor_mode 1
		.amdhsa_memory_ordered 1
		.amdhsa_forward_progress 0
		.amdhsa_shared_vgpr_count 0
		.amdhsa_exception_fp_ieee_invalid_op 0
		.amdhsa_exception_fp_denorm_src 0
		.amdhsa_exception_fp_ieee_div_zero 0
		.amdhsa_exception_fp_ieee_overflow 0
		.amdhsa_exception_fp_ieee_underflow 0
		.amdhsa_exception_fp_ieee_inexact 0
		.amdhsa_exception_int_div_zero 0
	.end_amdhsa_kernel
	.section	.text._ZL25flash_attn_mask_to_KV_maxILi2EEvPK7__half2Piiii,"axG",@progbits,_ZL25flash_attn_mask_to_KV_maxILi2EEvPK7__half2Piiii,comdat
.Lfunc_end10:
	.size	_ZL25flash_attn_mask_to_KV_maxILi2EEvPK7__half2Piiii, .Lfunc_end10-_ZL25flash_attn_mask_to_KV_maxILi2EEvPK7__half2Piiii
                                        ; -- End function
	.section	.AMDGPU.csdata,"",@progbits
; Kernel info:
; codeLenInByte = 584
; NumSgprs: 18
; NumVgprs: 7
; ScratchSize: 0
; MemoryBound: 0
; FloatMode: 240
; IeeeMode: 1
; LDSByteSize: 128 bytes/workgroup (compile time only)
; SGPRBlocks: 2
; VGPRBlocks: 0
; NumSGPRsForWavesPerEU: 18
; NumVGPRsForWavesPerEU: 7
; Occupancy: 16
; WaveLimiterHint : 0
; COMPUTE_PGM_RSRC2:SCRATCH_EN: 0
; COMPUTE_PGM_RSRC2:USER_SGPR: 14
; COMPUTE_PGM_RSRC2:TRAP_HANDLER: 0
; COMPUTE_PGM_RSRC2:TGID_X_EN: 1
; COMPUTE_PGM_RSRC2:TGID_Y_EN: 1
; COMPUTE_PGM_RSRC2:TGID_Z_EN: 0
; COMPUTE_PGM_RSRC2:TIDIG_COMP_CNT: 0
	.section	.text._ZL33flash_attn_stream_k_fixup_uniformILi80ELi2ELi8EEvPfPK15HIP_vector_typeIfLj2EEiiiiiiS1_IjLj3EES5_S5_,"axG",@progbits,_ZL33flash_attn_stream_k_fixup_uniformILi80ELi2ELi8EEvPfPK15HIP_vector_typeIfLj2EEiiiiiiS1_IjLj3EES5_S5_,comdat
	.globl	_ZL33flash_attn_stream_k_fixup_uniformILi80ELi2ELi8EEvPfPK15HIP_vector_typeIfLj2EEiiiiiiS1_IjLj3EES5_S5_ ; -- Begin function _ZL33flash_attn_stream_k_fixup_uniformILi80ELi2ELi8EEvPfPK15HIP_vector_typeIfLj2EEiiiiiiS1_IjLj3EES5_S5_
	.p2align	8
	.type	_ZL33flash_attn_stream_k_fixup_uniformILi80ELi2ELi8EEvPfPK15HIP_vector_typeIfLj2EEiiiiiiS1_IjLj3EES5_S5_,@function
_ZL33flash_attn_stream_k_fixup_uniformILi80ELi2ELi8EEvPfPK15HIP_vector_typeIfLj2EEiiiiiiS1_IjLj3EES5_S5_: ; @_ZL33flash_attn_stream_k_fixup_uniformILi80ELi2ELi8EEvPfPK15HIP_vector_typeIfLj2EEiiiiiiS1_IjLj3EES5_S5_
; %bb.0:
	s_clause 0x1
	s_load_b256 s[4:11], s[0:1], 0x1c
	s_load_b128 s[16:19], s[0:1], 0x3c
	s_waitcnt lgkmcnt(0)
	s_mul_hi_u32 s2, s7, s13
	s_delay_alu instid0(SALU_CYCLE_1) | instskip(NEXT) | instid1(SALU_CYCLE_1)
	s_add_i32 s2, s13, s2
	s_lshr_b32 s2, s2, s8
	s_delay_alu instid0(SALU_CYCLE_1) | instskip(SKIP_2) | instid1(SALU_CYCLE_1)
	s_mul_i32 s3, s2, s9
	s_load_b64 s[8:9], s[0:1], 0x10
	s_sub_i32 s3, s13, s3
	s_mul_hi_u32 s7, s3, s10
	s_delay_alu instid0(SALU_CYCLE_1) | instskip(NEXT) | instid1(SALU_CYCLE_1)
	s_add_i32 s7, s3, s7
	s_lshr_b32 s7, s7, s11
	s_delay_alu instid0(SALU_CYCLE_1) | instskip(NEXT) | instid1(SALU_CYCLE_1)
	s_mul_i32 s10, s7, s16
	s_sub_i32 s3, s3, s10
	s_delay_alu instid0(SALU_CYCLE_1) | instskip(NEXT) | instid1(SALU_CYCLE_1)
	s_mul_hi_u32 s10, s3, s17
	s_add_i32 s10, s3, s10
	s_delay_alu instid0(SALU_CYCLE_1) | instskip(NEXT) | instid1(SALU_CYCLE_1)
	s_lshr_b32 s11, s10, s18
	s_mul_i32 s10, s11, s19
	s_lshl_b32 s11, s11, 3
	s_sub_i32 s10, s3, s10
	s_delay_alu instid0(SALU_CYCLE_1) | instskip(NEXT) | instid1(SALU_CYCLE_1)
	s_lshl_b32 s3, s10, 1
	s_add_i32 s3, s3, s14
	s_waitcnt lgkmcnt(0)
	s_cmp_lt_i32 s3, s8
	s_cselect_b32 s3, -1, 0
	s_add_i32 s11, s11, s15
	s_delay_alu instid0(SALU_CYCLE_1) | instskip(SKIP_1) | instid1(SALU_CYCLE_1)
	s_cmp_lt_i32 s11, s5
	s_cselect_b32 s12, -1, 0
	s_and_b32 s3, s3, s12
	s_delay_alu instid0(SALU_CYCLE_1)
	s_and_not1_b32 vcc_lo, exec_lo, s3
	s_cbranch_vccnz .LBB11_6
; %bb.1:
	s_mul_i32 s8, s2, s8
	s_mul_i32 s7, s7, s5
	s_add_i32 s8, s8, s14
	s_add_i32 s5, s11, s7
	s_mul_i32 s8, s8, s9
	s_load_b128 s[0:3], s[0:1], 0x0
	s_mul_i32 s7, s9, s10
	s_add_i32 s5, s5, s8
	s_mulk_i32 s7, 0xa0
	s_mulk_i32 s5, 0x50
	s_lshl_b32 s9, s14, 3
	v_add3_u32 v1, s5, s7, v0
	s_mul_i32 s5, s13, s6
	s_delay_alu instid0(SALU_CYCLE_1) | instskip(NEXT) | instid1(VALU_DEP_1)
	s_add_i32 s10, s5, s6
	v_ashrrev_i32_e32 v2, 31, v1
	s_delay_alu instid0(VALU_DEP_1) | instskip(SKIP_1) | instid1(VALU_DEP_1)
	v_lshlrev_b64 v[1:2], 2, v[1:2]
	s_waitcnt lgkmcnt(0)
	v_add_co_u32 v1, vcc_lo, s0, v1
	s_delay_alu instid0(VALU_DEP_2) | instskip(SKIP_4) | instid1(SALU_CYCLE_1)
	v_add_co_ci_u32_e32 v2, vcc_lo, s1, v2, vcc_lo
	s_add_i32 s0, s9, s15
	s_lshl_b32 s1, s10, 4
	global_load_b32 v5, v[1:2], off
	s_add_i32 s0, s0, s1
	s_add_i32 s0, s0, -16
	s_delay_alu instid0(SALU_CYCLE_1) | instskip(NEXT) | instid1(SALU_CYCLE_1)
	s_ashr_i32 s1, s0, 31
	s_lshl_b64 s[0:1], s[0:1], 3
	s_delay_alu instid0(SALU_CYCLE_1)
	s_add_u32 s0, s2, s0
	s_addc_u32 s1, s3, s1
	s_add_i32 s7, s10, -2
	s_load_b32 s11, s[0:1], 0x4
	s_cmp_lt_i32 s7, s5
	s_cbranch_scc1 .LBB11_4
; %bb.2:
	s_load_b32 s12, s[0:1], 0x0
	s_lshl_b32 s16, s4, 6
	s_mulk_i32 s14, 0x280
	s_ashr_i32 s17, s16, 31
	s_waitcnt lgkmcnt(0)
	v_mov_b32_e32 v6, s11
	s_lshl_b64 s[0:1], s[16:17], 2
	s_delay_alu instid0(SALU_CYCLE_1)
	s_add_u32 s7, s2, s0
	s_addc_u32 s8, s3, s1
	s_add_i32 s13, s13, 1
	s_lshl_b32 s4, s4, 4
	s_mul_i32 s0, s6, s13
	s_mul_i32 s6, s15, 0x50
	s_lshl_b32 s1, s0, 4
	s_mulk_i32 s0, 0x500
	s_add_i32 s6, s6, s14
	s_add_i32 s1, s15, s1
	;; [unrolled: 1-line block ×4, first 2 shown]
	v_add3_u32 v3, s6, v0, 0xfffff600
	v_mov_b32_e32 v0, s12
	s_add_i32 s0, s0, s9
	s_add_i32 s4, s10, -1
	s_sub_i32 s0, s0, 32
.LBB11_3:                               ; =>This Inner Loop Header: Depth=1
	s_delay_alu instid0(VALU_DEP_2) | instskip(SKIP_1) | instid1(SALU_CYCLE_1)
	v_ashrrev_i32_e32 v4, 31, v3
	s_ashr_i32 s1, s0, 31
	s_lshl_b64 s[10:11], s[0:1], 3
	s_delay_alu instid0(SALU_CYCLE_1) | instskip(NEXT) | instid1(VALU_DEP_1)
	s_add_u32 s10, s2, s10
	v_lshlrev_b64 v[7:8], 2, v[3:4]
	s_addc_u32 s11, s3, s11
	s_add_i32 s4, s4, -1
	s_add_i32 s0, s0, -16
	s_cmp_le_i32 s4, s5
	s_load_b64 s[10:11], s[10:11], 0x0
	v_add_co_u32 v7, vcc_lo, s7, v7
	v_add_co_ci_u32_e32 v8, vcc_lo, s8, v8, vcc_lo
	global_load_b32 v4, v[7:8], off
	v_max_f32_e32 v7, v0, v0
	s_waitcnt lgkmcnt(0)
	v_max_f32_e64 v8, s10, s10
	s_delay_alu instid0(VALU_DEP_1) | instskip(NEXT) | instid1(VALU_DEP_1)
	v_max_f32_e32 v7, v7, v8
	v_sub_f32_e32 v8, s10, v7
	s_delay_alu instid0(VALU_DEP_1) | instskip(NEXT) | instid1(VALU_DEP_1)
	v_dual_sub_f32 v0, v0, v7 :: v_dual_mul_f32 v9, 0x3fb8aa3b, v8
	v_fma_f32 v10, 0x3fb8aa3b, v8, -v9
	v_rndne_f32_e32 v11, v9
	s_delay_alu instid0(VALU_DEP_3) | instskip(NEXT) | instid1(VALU_DEP_2)
	v_mul_f32_e32 v12, 0x3fb8aa3b, v0
	v_dual_fmac_f32 v10, 0x32a5705f, v8 :: v_dual_sub_f32 v9, v9, v11
	v_cvt_i32_f32_e32 v11, v11
	s_delay_alu instid0(VALU_DEP_3) | instskip(SKIP_1) | instid1(VALU_DEP_4)
	v_fma_f32 v13, 0x3fb8aa3b, v0, -v12
	v_rndne_f32_e32 v14, v12
	v_add_f32_e32 v9, v9, v10
	v_cmp_ngt_f32_e32 vcc_lo, 0xc2ce8ed0, v8
	s_delay_alu instid0(VALU_DEP_3) | instskip(NEXT) | instid1(VALU_DEP_3)
	v_sub_f32_e32 v10, v12, v14
	v_exp_f32_e32 v9, v9
	s_waitcnt_depctr 0xfff
	v_ldexp_f32 v9, v9, v11
	v_cvt_i32_f32_e32 v11, v14
	s_delay_alu instid0(VALU_DEP_2) | instskip(SKIP_1) | instid1(VALU_DEP_2)
	v_cndmask_b32_e32 v9, 0, v9, vcc_lo
	v_cmp_nlt_f32_e32 vcc_lo, 0x42b17218, v8
	v_cndmask_b32_e32 v9, 0x7f800000, v9, vcc_lo
	v_cmp_ngt_f32_e32 vcc_lo, 0xc2ce8ed0, v0
	v_fmac_f32_e32 v13, 0x32a5705f, v0
	s_delay_alu instid0(VALU_DEP_1) | instskip(NEXT) | instid1(VALU_DEP_1)
	v_add_f32_e32 v10, v10, v13
	v_exp_f32_e32 v10, v10
	s_waitcnt_depctr 0xfff
	v_ldexp_f32 v10, v10, v11
	s_delay_alu instid0(VALU_DEP_1)
	v_dual_mov_b32 v11, v6 :: v_dual_cndmask_b32 v10, 0, v10
	v_cmp_le_f32_e32 vcc_lo, 0xc1a00000, v8
	s_waitcnt vmcnt(1)
	v_dual_cndmask_b32 v8, 0, v9 :: v_dual_mov_b32 v9, v5
	v_cmp_nlt_f32_e32 vcc_lo, 0x42b17218, v0
	v_cndmask_b32_e32 v5, 0x7f800000, v10, vcc_lo
	s_delay_alu instid0(VALU_DEP_3) | instskip(SKIP_2) | instid1(VALU_DEP_3)
	v_mul_f32_e32 v10, s11, v8
	v_cmp_le_f32_e32 vcc_lo, 0xc1a00000, v0
	v_mov_b32_e32 v0, v7
	v_mov_b32_e32 v6, v10
	s_waitcnt vmcnt(0)
	v_dual_cndmask_b32 v12, 0, v5 :: v_dual_mul_f32 v5, v4, v8
	s_delay_alu instid0(VALU_DEP_1) | instskip(NEXT) | instid1(VALU_DEP_2)
	v_dual_fmac_f32 v6, v11, v12 :: v_dual_add_nc_u32 v3, 0xfffffb00, v3
	v_fmac_f32_e32 v5, v9, v12
	s_cbranch_scc0 .LBB11_3
	s_branch .LBB11_5
.LBB11_4:
	s_waitcnt lgkmcnt(0)
	v_mov_b32_e32 v6, s11
.LBB11_5:
	s_waitcnt vmcnt(0)
	s_delay_alu instid0(VALU_DEP_1) | instskip(NEXT) | instid1(VALU_DEP_1)
	v_div_scale_f32 v0, null, v6, v6, v5
	v_rcp_f32_e32 v3, v0
	s_waitcnt_depctr 0xfff
	v_fma_f32 v4, -v0, v3, 1.0
	s_delay_alu instid0(VALU_DEP_1) | instskip(SKIP_1) | instid1(VALU_DEP_1)
	v_fmac_f32_e32 v3, v4, v3
	v_div_scale_f32 v4, vcc_lo, v5, v6, v5
	v_mul_f32_e32 v7, v4, v3
	s_delay_alu instid0(VALU_DEP_1) | instskip(NEXT) | instid1(VALU_DEP_1)
	v_fma_f32 v8, -v0, v7, v4
	v_fmac_f32_e32 v7, v8, v3
	s_delay_alu instid0(VALU_DEP_1) | instskip(NEXT) | instid1(VALU_DEP_1)
	v_fma_f32 v0, -v0, v7, v4
	v_div_fmas_f32 v0, v0, v3, v7
	s_delay_alu instid0(VALU_DEP_1)
	v_div_fixup_f32 v0, v0, v6, v5
	global_store_b32 v[1:2], v0, off
.LBB11_6:
	s_nop 0
	s_sendmsg sendmsg(MSG_DEALLOC_VGPRS)
	s_endpgm
	.section	.rodata,"a",@progbits
	.p2align	6, 0x0
	.amdhsa_kernel _ZL33flash_attn_stream_k_fixup_uniformILi80ELi2ELi8EEvPfPK15HIP_vector_typeIfLj2EEiiiiiiS1_IjLj3EES5_S5_
		.amdhsa_group_segment_fixed_size 0
		.amdhsa_private_segment_fixed_size 0
		.amdhsa_kernarg_size 76
		.amdhsa_user_sgpr_count 13
		.amdhsa_user_sgpr_dispatch_ptr 0
		.amdhsa_user_sgpr_queue_ptr 0
		.amdhsa_user_sgpr_kernarg_segment_ptr 1
		.amdhsa_user_sgpr_dispatch_id 0
		.amdhsa_user_sgpr_private_segment_size 0
		.amdhsa_wavefront_size32 1
		.amdhsa_uses_dynamic_stack 0
		.amdhsa_enable_private_segment 0
		.amdhsa_system_sgpr_workgroup_id_x 1
		.amdhsa_system_sgpr_workgroup_id_y 1
		.amdhsa_system_sgpr_workgroup_id_z 1
		.amdhsa_system_sgpr_workgroup_info 0
		.amdhsa_system_vgpr_workitem_id 0
		.amdhsa_next_free_vgpr 15
		.amdhsa_next_free_sgpr 20
		.amdhsa_reserve_vcc 1
		.amdhsa_float_round_mode_32 0
		.amdhsa_float_round_mode_16_64 0
		.amdhsa_float_denorm_mode_32 3
		.amdhsa_float_denorm_mode_16_64 3
		.amdhsa_dx10_clamp 1
		.amdhsa_ieee_mode 1
		.amdhsa_fp16_overflow 0
		.amdhsa_workgroup_processor_mode 1
		.amdhsa_memory_ordered 1
		.amdhsa_forward_progress 0
		.amdhsa_shared_vgpr_count 0
		.amdhsa_exception_fp_ieee_invalid_op 0
		.amdhsa_exception_fp_denorm_src 0
		.amdhsa_exception_fp_ieee_div_zero 0
		.amdhsa_exception_fp_ieee_overflow 0
		.amdhsa_exception_fp_ieee_underflow 0
		.amdhsa_exception_fp_ieee_inexact 0
		.amdhsa_exception_int_div_zero 0
	.end_amdhsa_kernel
	.section	.text._ZL33flash_attn_stream_k_fixup_uniformILi80ELi2ELi8EEvPfPK15HIP_vector_typeIfLj2EEiiiiiiS1_IjLj3EES5_S5_,"axG",@progbits,_ZL33flash_attn_stream_k_fixup_uniformILi80ELi2ELi8EEvPfPK15HIP_vector_typeIfLj2EEiiiiiiS1_IjLj3EES5_S5_,comdat
.Lfunc_end11:
	.size	_ZL33flash_attn_stream_k_fixup_uniformILi80ELi2ELi8EEvPfPK15HIP_vector_typeIfLj2EEiiiiiiS1_IjLj3EES5_S5_, .Lfunc_end11-_ZL33flash_attn_stream_k_fixup_uniformILi80ELi2ELi8EEvPfPK15HIP_vector_typeIfLj2EEiiiiiiS1_IjLj3EES5_S5_
                                        ; -- End function
	.section	.AMDGPU.csdata,"",@progbits
; Kernel info:
; codeLenInByte = 992
; NumSgprs: 22
; NumVgprs: 15
; ScratchSize: 0
; MemoryBound: 0
; FloatMode: 240
; IeeeMode: 1
; LDSByteSize: 0 bytes/workgroup (compile time only)
; SGPRBlocks: 2
; VGPRBlocks: 1
; NumSGPRsForWavesPerEU: 22
; NumVGPRsForWavesPerEU: 15
; Occupancy: 16
; WaveLimiterHint : 0
; COMPUTE_PGM_RSRC2:SCRATCH_EN: 0
; COMPUTE_PGM_RSRC2:USER_SGPR: 13
; COMPUTE_PGM_RSRC2:TRAP_HANDLER: 0
; COMPUTE_PGM_RSRC2:TGID_X_EN: 1
; COMPUTE_PGM_RSRC2:TGID_Y_EN: 1
; COMPUTE_PGM_RSRC2:TGID_Z_EN: 1
; COMPUTE_PGM_RSRC2:TIDIG_COMP_CNT: 0
	.section	.text._ZL33flash_attn_stream_k_fixup_generalILi80ELi2ELi8EEvPfPK15HIP_vector_typeIfLj2EEiiiiS1_IjLj3EES5_S5_S5_,"axG",@progbits,_ZL33flash_attn_stream_k_fixup_generalILi80ELi2ELi8EEvPfPK15HIP_vector_typeIfLj2EEiiiiS1_IjLj3EES5_S5_S5_,comdat
	.globl	_ZL33flash_attn_stream_k_fixup_generalILi80ELi2ELi8EEvPfPK15HIP_vector_typeIfLj2EEiiiiS1_IjLj3EES5_S5_S5_ ; -- Begin function _ZL33flash_attn_stream_k_fixup_generalILi80ELi2ELi8EEvPfPK15HIP_vector_typeIfLj2EEiiiiS1_IjLj3EES5_S5_S5_
	.p2align	8
	.type	_ZL33flash_attn_stream_k_fixup_generalILi80ELi2ELi8EEvPfPK15HIP_vector_typeIfLj2EEiiiiS1_IjLj3EES5_S5_S5_,@function
_ZL33flash_attn_stream_k_fixup_generalILi80ELi2ELi8EEvPfPK15HIP_vector_typeIfLj2EEiiiiS1_IjLj3EES5_S5_S5_: ; @_ZL33flash_attn_stream_k_fixup_generalILi80ELi2ELi8EEvPfPK15HIP_vector_typeIfLj2EEiiiiS1_IjLj3EES5_S5_S5_
; %bb.0:
	s_clause 0x1
	s_load_b128 s[4:7], s[0:1], 0x10
	s_load_b32 s20, s[0:1], 0x50
	s_mov_b32 s2, 0
	s_waitcnt lgkmcnt(0)
	s_mul_hi_i32 s3, s7, s13
	s_mul_i32 s12, s7, s13
	s_cmp_lg_u64 s[2:3], 0
	s_cbranch_scc0 .LBB12_21
; %bb.1:
	v_cvt_f32_ubyte0_e32 v1, 0
	v_cvt_f32_u32_e32 v2, s20
	s_sub_u32 s10, 0, s20
	s_subb_u32 s11, 0, 0
	s_delay_alu instid0(VALU_DEP_1) | instskip(NEXT) | instid1(VALU_DEP_1)
	v_fmamk_f32 v1, v1, 0x4f800000, v2
	v_rcp_f32_e32 v1, v1
	s_waitcnt_depctr 0xfff
	v_mul_f32_e32 v1, 0x5f7ffffc, v1
	s_delay_alu instid0(VALU_DEP_1) | instskip(NEXT) | instid1(VALU_DEP_1)
	v_mul_f32_e32 v2, 0x2f800000, v1
	v_trunc_f32_e32 v2, v2
	s_delay_alu instid0(VALU_DEP_1) | instskip(SKIP_1) | instid1(VALU_DEP_2)
	v_fmamk_f32 v1, v2, 0xcf800000, v1
	v_cvt_u32_f32_e32 v2, v2
	v_cvt_u32_f32_e32 v1, v1
	s_delay_alu instid0(VALU_DEP_2) | instskip(NEXT) | instid1(VALU_DEP_2)
	v_readfirstlane_b32 s8, v2
	v_readfirstlane_b32 s9, v1
	s_delay_alu instid0(VALU_DEP_2) | instskip(NEXT) | instid1(VALU_DEP_1)
	s_mul_i32 s16, s10, s8
	s_mul_hi_u32 s18, s10, s9
	s_mul_i32 s17, s11, s9
	s_add_i32 s16, s18, s16
	s_mul_i32 s19, s10, s9
	s_add_i32 s16, s16, s17
	s_mul_hi_u32 s18, s9, s19
	s_mul_hi_u32 s21, s8, s19
	s_mul_i32 s17, s8, s19
	s_mul_hi_u32 s19, s9, s16
	s_mul_i32 s9, s9, s16
	s_mul_hi_u32 s22, s8, s16
	s_add_u32 s9, s18, s9
	s_addc_u32 s18, 0, s19
	s_add_u32 s9, s9, s17
	s_mul_i32 s16, s8, s16
	s_addc_u32 s9, s18, s21
	s_addc_u32 s17, s22, 0
	s_add_u32 s9, s9, s16
	s_addc_u32 s16, 0, s17
	v_add_co_u32 v1, s9, v1, s9
	s_delay_alu instid0(VALU_DEP_1) | instskip(SKIP_1) | instid1(VALU_DEP_1)
	s_cmp_lg_u32 s9, 0
	s_addc_u32 s8, s8, s16
	v_readfirstlane_b32 s9, v1
	s_mul_i32 s16, s10, s8
	s_delay_alu instid0(VALU_DEP_1)
	s_mul_hi_u32 s17, s10, s9
	s_mul_i32 s11, s11, s9
	s_add_i32 s16, s17, s16
	s_mul_i32 s10, s10, s9
	s_add_i32 s16, s16, s11
	s_mul_hi_u32 s17, s8, s10
	s_mul_i32 s18, s8, s10
	s_mul_hi_u32 s10, s9, s10
	s_mul_hi_u32 s19, s9, s16
	s_mul_i32 s9, s9, s16
	s_mul_hi_u32 s11, s8, s16
	s_add_u32 s9, s10, s9
	s_addc_u32 s10, 0, s19
	s_add_u32 s9, s9, s18
	s_mul_i32 s16, s8, s16
	s_addc_u32 s9, s10, s17
	s_addc_u32 s10, s11, 0
	s_add_u32 s9, s9, s16
	s_addc_u32 s10, 0, s10
	v_add_co_u32 v1, s9, v1, s9
	s_delay_alu instid0(VALU_DEP_1) | instskip(SKIP_2) | instid1(SALU_CYCLE_1)
	s_cmp_lg_u32 s9, 0
	s_addc_u32 s16, s8, s10
	s_ashr_i32 s8, s3, 31
	s_add_u32 s10, s12, s8
	s_addc_u32 s11, s3, s8
	v_readfirstlane_b32 s3, v1
	s_mov_b32 s9, s8
	s_delay_alu instid0(SALU_CYCLE_1) | instskip(NEXT) | instid1(SALU_CYCLE_1)
	s_xor_b64 s[10:11], s[10:11], s[8:9]
	s_mul_i32 s18, s10, s16
	s_delay_alu instid0(VALU_DEP_1)
	s_mul_hi_u32 s19, s10, s3
	s_mul_hi_u32 s17, s10, s16
	;; [unrolled: 1-line block ×3, first 2 shown]
	s_mul_i32 s3, s11, s3
	s_add_u32 s18, s19, s18
	s_addc_u32 s17, 0, s17
	s_mul_hi_u32 s21, s11, s16
	s_add_u32 s3, s18, s3
	s_mul_i32 s16, s11, s16
	s_addc_u32 s3, s17, s22
	s_addc_u32 s17, s21, 0
	s_add_u32 s3, s3, s16
	s_addc_u32 s16, 0, s17
	s_mul_i32 s18, s20, s3
	s_add_u32 s17, s3, 1
	v_sub_co_u32 v1, s10, s10, s18
	s_mul_hi_u32 s18, s20, s3
	s_addc_u32 s19, s16, 0
	s_mul_i32 s21, s20, s16
	s_delay_alu instid0(VALU_DEP_1)
	v_sub_co_u32 v2, s22, v1, s20
	s_add_u32 s23, s3, 2
	s_addc_u32 s24, s16, 0
	s_add_i32 s18, s18, s21
	s_cmp_lg_u32 s10, 0
	v_readfirstlane_b32 s10, v2
	s_subb_u32 s11, s11, s18
	s_cmp_lg_u32 s22, 0
	s_subb_u32 s18, s11, 0
	s_delay_alu instid0(VALU_DEP_1) | instskip(SKIP_4) | instid1(SALU_CYCLE_1)
	s_cmp_ge_u32 s10, s20
	s_cselect_b32 s10, -1, 0
	s_cmp_eq_u32 s18, 0
	v_readfirstlane_b32 s18, v1
	s_cselect_b32 s10, s10, -1
	s_cmp_lg_u32 s10, 0
	s_cselect_b32 s10, s23, s17
	s_cselect_b32 s17, s24, s19
	s_cmp_ge_u32 s18, s20
	s_cselect_b32 s18, -1, 0
	s_cmp_eq_u32 s11, 0
	s_cselect_b32 s11, s18, -1
	s_delay_alu instid0(SALU_CYCLE_1) | instskip(SKIP_2) | instid1(SALU_CYCLE_1)
	s_cmp_lg_u32 s11, 0
	s_cselect_b32 s11, s17, s16
	s_cselect_b32 s10, s10, s3
	s_xor_b64 s[10:11], s[10:11], s[8:9]
	s_delay_alu instid0(SALU_CYCLE_1)
	s_sub_u32 s16, s10, s8
	s_load_b128 s[8:11], s[0:1], 0x44
	s_and_not1_b32 vcc_lo, exec_lo, s2
	s_cbranch_vccnz .LBB12_3
.LBB12_2:
	v_cvt_f32_u32_e32 v1, s20
	s_sub_i32 s3, 0, s20
	s_delay_alu instid0(VALU_DEP_1) | instskip(SKIP_2) | instid1(VALU_DEP_1)
	v_rcp_iflag_f32_e32 v1, v1
	s_waitcnt_depctr 0xfff
	v_mul_f32_e32 v1, 0x4f7ffffe, v1
	v_cvt_u32_f32_e32 v1, v1
	s_delay_alu instid0(VALU_DEP_1) | instskip(NEXT) | instid1(VALU_DEP_1)
	v_readfirstlane_b32 s2, v1
	s_mul_i32 s3, s3, s2
	s_delay_alu instid0(SALU_CYCLE_1) | instskip(NEXT) | instid1(SALU_CYCLE_1)
	s_mul_hi_u32 s3, s2, s3
	s_add_i32 s2, s2, s3
	s_delay_alu instid0(SALU_CYCLE_1) | instskip(NEXT) | instid1(SALU_CYCLE_1)
	s_mul_hi_u32 s2, s12, s2
	s_mul_i32 s3, s2, s20
	s_waitcnt lgkmcnt(0)
	s_add_i32 s11, s2, 1
	s_sub_i32 s3, s12, s3
	s_delay_alu instid0(SALU_CYCLE_1)
	s_sub_i32 s12, s3, s20
	s_cmp_ge_u32 s3, s20
	s_cselect_b32 s2, s11, s2
	s_cselect_b32 s3, s12, s3
	s_add_i32 s11, s2, 1
	s_cmp_ge_u32 s3, s20
	s_cselect_b32 s16, s11, s2
.LBB12_3:
	s_waitcnt lgkmcnt(0)
	s_add_i32 s11, s13, 1
	s_mov_b32 s2, 0
	s_mul_hi_i32 s3, s7, s11
	s_mul_i32 s11, s7, s11
	s_cmp_lg_u64 s[2:3], 0
	s_cbranch_scc0 .LBB12_22
; %bb.4:
	v_cvt_f32_ubyte0_e32 v1, 0
	v_cvt_f32_u32_e32 v2, s20
	s_sub_u32 s18, 0, s20
	s_subb_u32 s19, 0, 0
	s_delay_alu instid0(VALU_DEP_1) | instskip(NEXT) | instid1(VALU_DEP_1)
	v_fmamk_f32 v1, v1, 0x4f800000, v2
	v_rcp_f32_e32 v1, v1
	s_waitcnt_depctr 0xfff
	v_mul_f32_e32 v1, 0x5f7ffffc, v1
	s_delay_alu instid0(VALU_DEP_1) | instskip(NEXT) | instid1(VALU_DEP_1)
	v_mul_f32_e32 v2, 0x2f800000, v1
	v_trunc_f32_e32 v2, v2
	s_delay_alu instid0(VALU_DEP_1) | instskip(SKIP_1) | instid1(VALU_DEP_2)
	v_fmamk_f32 v1, v2, 0xcf800000, v1
	v_cvt_u32_f32_e32 v2, v2
	v_cvt_u32_f32_e32 v1, v1
	s_delay_alu instid0(VALU_DEP_2) | instskip(NEXT) | instid1(VALU_DEP_2)
	v_readfirstlane_b32 s12, v2
	v_readfirstlane_b32 s17, v1
	s_delay_alu instid0(VALU_DEP_2) | instskip(NEXT) | instid1(VALU_DEP_1)
	s_mul_i32 s21, s18, s12
	s_mul_hi_u32 s23, s18, s17
	s_mul_i32 s22, s19, s17
	s_add_i32 s21, s23, s21
	s_mul_i32 s24, s18, s17
	s_add_i32 s21, s21, s22
	s_mul_hi_u32 s23, s17, s24
	s_mul_hi_u32 s25, s12, s24
	s_mul_i32 s22, s12, s24
	s_mul_hi_u32 s24, s17, s21
	s_mul_i32 s17, s17, s21
	s_mul_hi_u32 s26, s12, s21
	s_add_u32 s17, s23, s17
	s_addc_u32 s23, 0, s24
	s_add_u32 s17, s17, s22
	s_mul_i32 s21, s12, s21
	s_addc_u32 s17, s23, s25
	s_addc_u32 s22, s26, 0
	s_add_u32 s17, s17, s21
	s_addc_u32 s21, 0, s22
	v_add_co_u32 v1, s17, v1, s17
	s_delay_alu instid0(VALU_DEP_1) | instskip(SKIP_1) | instid1(VALU_DEP_1)
	s_cmp_lg_u32 s17, 0
	s_addc_u32 s12, s12, s21
	v_readfirstlane_b32 s17, v1
	s_mul_i32 s21, s18, s12
	s_delay_alu instid0(VALU_DEP_1)
	s_mul_hi_u32 s22, s18, s17
	s_mul_i32 s19, s19, s17
	s_add_i32 s21, s22, s21
	s_mul_i32 s18, s18, s17
	s_add_i32 s21, s21, s19
	s_mul_hi_u32 s22, s12, s18
	s_mul_i32 s23, s12, s18
	s_mul_hi_u32 s18, s17, s18
	s_mul_hi_u32 s24, s17, s21
	s_mul_i32 s17, s17, s21
	s_mul_hi_u32 s19, s12, s21
	s_add_u32 s17, s18, s17
	s_addc_u32 s18, 0, s24
	s_add_u32 s17, s17, s23
	s_mul_i32 s21, s12, s21
	s_addc_u32 s17, s18, s22
	s_addc_u32 s18, s19, 0
	s_add_u32 s17, s17, s21
	s_addc_u32 s18, 0, s18
	v_add_co_u32 v1, s17, v1, s17
	s_delay_alu instid0(VALU_DEP_1) | instskip(SKIP_2) | instid1(SALU_CYCLE_1)
	s_cmp_lg_u32 s17, 0
	s_addc_u32 s12, s12, s18
	s_ashr_i32 s18, s3, 31
	s_add_u32 s22, s11, s18
	s_addc_u32 s23, s3, s18
	v_readfirstlane_b32 s3, v1
	s_mov_b32 s19, s18
	s_delay_alu instid0(SALU_CYCLE_1) | instskip(NEXT) | instid1(SALU_CYCLE_1)
	s_xor_b64 s[22:23], s[22:23], s[18:19]
	s_mul_i32 s21, s22, s12
	s_delay_alu instid0(VALU_DEP_1)
	s_mul_hi_u32 s24, s22, s3
	s_mul_hi_u32 s17, s22, s12
	;; [unrolled: 1-line block ×3, first 2 shown]
	s_mul_i32 s3, s23, s3
	s_add_u32 s21, s24, s21
	s_addc_u32 s17, 0, s17
	s_mul_hi_u32 s25, s23, s12
	s_add_u32 s3, s21, s3
	s_mul_i32 s12, s23, s12
	s_addc_u32 s3, s17, s26
	s_addc_u32 s17, s25, 0
	s_add_u32 s3, s3, s12
	s_addc_u32 s12, 0, s17
	s_mul_i32 s21, s20, s3
	s_add_u32 s17, s3, 1
	v_sub_co_u32 v1, s21, s22, s21
	s_mul_hi_u32 s22, s20, s3
	s_addc_u32 s24, s12, 0
	s_mul_i32 s25, s20, s12
	s_delay_alu instid0(VALU_DEP_1)
	v_sub_co_u32 v2, s26, v1, s20
	s_add_u32 s27, s3, 2
	s_addc_u32 s28, s12, 0
	s_add_i32 s22, s22, s25
	s_cmp_lg_u32 s21, 0
	v_readfirstlane_b32 s21, v2
	s_subb_u32 s22, s23, s22
	s_cmp_lg_u32 s26, 0
	s_subb_u32 s23, s22, 0
	s_delay_alu instid0(VALU_DEP_1) | instskip(SKIP_4) | instid1(SALU_CYCLE_1)
	s_cmp_ge_u32 s21, s20
	s_cselect_b32 s21, -1, 0
	s_cmp_eq_u32 s23, 0
	v_readfirstlane_b32 s23, v1
	s_cselect_b32 s21, s21, -1
	s_cmp_lg_u32 s21, 0
	s_cselect_b32 s17, s27, s17
	s_cselect_b32 s21, s28, s24
	s_cmp_ge_u32 s23, s20
	s_cselect_b32 s23, -1, 0
	s_cmp_eq_u32 s22, 0
	s_cselect_b32 s22, s23, -1
	s_delay_alu instid0(SALU_CYCLE_1) | instskip(SKIP_2) | instid1(SALU_CYCLE_1)
	s_cmp_lg_u32 s22, 0
	s_cselect_b32 s23, s21, s12
	s_cselect_b32 s22, s17, s3
	s_xor_b64 s[22:23], s[22:23], s[18:19]
	s_delay_alu instid0(SALU_CYCLE_1)
	s_sub_u32 s18, s22, s18
	s_and_not1_b32 vcc_lo, exec_lo, s2
	s_cbranch_vccnz .LBB12_6
.LBB12_5:
	v_cvt_f32_u32_e32 v1, s20
	s_sub_i32 s3, 0, s20
	s_delay_alu instid0(VALU_DEP_1) | instskip(SKIP_2) | instid1(VALU_DEP_1)
	v_rcp_iflag_f32_e32 v1, v1
	s_waitcnt_depctr 0xfff
	v_mul_f32_e32 v1, 0x4f7ffffe, v1
	v_cvt_u32_f32_e32 v1, v1
	s_delay_alu instid0(VALU_DEP_1) | instskip(NEXT) | instid1(VALU_DEP_1)
	v_readfirstlane_b32 s2, v1
	s_mul_i32 s3, s3, s2
	s_delay_alu instid0(SALU_CYCLE_1) | instskip(NEXT) | instid1(SALU_CYCLE_1)
	s_mul_hi_u32 s3, s2, s3
	s_add_i32 s2, s2, s3
	s_delay_alu instid0(SALU_CYCLE_1) | instskip(NEXT) | instid1(SALU_CYCLE_1)
	s_mul_hi_u32 s2, s11, s2
	s_mul_i32 s3, s2, s20
	s_delay_alu instid0(SALU_CYCLE_1)
	s_sub_i32 s3, s11, s3
	s_add_i32 s11, s2, 1
	s_sub_i32 s12, s3, s20
	s_cmp_ge_u32 s3, s20
	s_cselect_b32 s2, s11, s2
	s_cselect_b32 s3, s12, s3
	s_add_i32 s11, s2, 1
	s_cmp_ge_u32 s3, s20
	s_cselect_b32 s18, s11, s2
.LBB12_6:
	s_delay_alu instid0(SALU_CYCLE_1) | instskip(SKIP_3) | instid1(SALU_CYCLE_1)
	s_cmp_eq_u32 s16, s18
	s_mul_hi_u32 s2, s16, s8
	s_cselect_b32 s3, -1, 0
	s_add_i32 s2, s2, s16
	s_lshr_b32 s11, s2, s9
	s_delay_alu instid0(SALU_CYCLE_1) | instskip(NEXT) | instid1(SALU_CYCLE_1)
	s_mul_i32 s2, s11, s10
	s_cmp_eq_u32 s2, s16
	s_mul_hi_u32 s2, s18, s8
	s_cselect_b32 s12, -1, 0
	s_add_i32 s2, s2, s18
	s_delay_alu instid0(SALU_CYCLE_1) | instskip(NEXT) | instid1(SALU_CYCLE_1)
	s_lshr_b32 s2, s2, s9
	s_cmp_eq_u32 s11, s2
	s_mul_i32 s2, s2, s10
	s_cselect_b32 s17, -1, 0
	s_cmp_lg_u32 s2, s18
	s_cselect_b32 s2, -1, 0
	s_or_b32 s3, s3, s12
	s_and_b32 s2, s17, s2
	s_delay_alu instid0(SALU_CYCLE_1) | instskip(NEXT) | instid1(SALU_CYCLE_1)
	s_or_b32 s2, s3, s2
	s_and_b32 vcc_lo, exec_lo, s2
	s_cbranch_vccnz .LBB12_24
; %bb.7:
	s_load_b256 s[24:31], s[0:1], 0x20
	s_waitcnt lgkmcnt(0)
	s_mul_hi_u32 s2, s16, s24
	s_delay_alu instid0(SALU_CYCLE_1) | instskip(NEXT) | instid1(SALU_CYCLE_1)
	s_add_i32 s2, s2, s16
	s_lshr_b32 s17, s2, s25
	s_load_b32 s2, s[0:1], 0x40
	s_mul_i32 s3, s17, s26
	s_delay_alu instid0(SALU_CYCLE_1) | instskip(NEXT) | instid1(SALU_CYCLE_1)
	s_sub_i32 s3, s16, s3
	s_mul_hi_u32 s12, s3, s27
	s_delay_alu instid0(SALU_CYCLE_1) | instskip(NEXT) | instid1(SALU_CYCLE_1)
	s_add_i32 s12, s3, s12
	s_lshr_b32 s19, s12, s28
	s_delay_alu instid0(SALU_CYCLE_1) | instskip(NEXT) | instid1(SALU_CYCLE_1)
	s_mul_i32 s12, s19, s29
	s_sub_i32 s3, s3, s12
	s_delay_alu instid0(SALU_CYCLE_1) | instskip(NEXT) | instid1(SALU_CYCLE_1)
	s_mul_hi_u32 s12, s3, s30
	s_add_i32 s12, s3, s12
	s_delay_alu instid0(SALU_CYCLE_1)
	s_lshr_b32 s12, s12, s31
	s_waitcnt lgkmcnt(0)
	s_mul_i32 s2, s12, s2
	s_lshl_b32 s21, s12, 3
	s_sub_i32 s2, s3, s2
	s_mov_b32 s12, 0
	s_mul_hi_u32 s3, s2, s8
	s_delay_alu instid0(SALU_CYCLE_1) | instskip(NEXT) | instid1(SALU_CYCLE_1)
	s_add_i32 s2, s2, s3
	s_lshr_b32 s18, s2, s9
	s_delay_alu instid0(SALU_CYCLE_1) | instskip(NEXT) | instid1(SALU_CYCLE_1)
	s_lshl_b32 s2, s18, 1
	s_add_i32 s2, s2, s14
	s_delay_alu instid0(SALU_CYCLE_1) | instskip(SKIP_2) | instid1(SALU_CYCLE_1)
	s_cmp_lt_i32 s2, s4
	s_cselect_b32 s2, -1, 0
	s_add_i32 s21, s21, s15
	s_cmp_lt_i32 s21, s6
	s_cselect_b32 s3, -1, 0
	s_delay_alu instid0(SALU_CYCLE_1) | instskip(NEXT) | instid1(SALU_CYCLE_1)
	s_and_b32 s2, s2, s3
	s_and_not1_b32 vcc_lo, exec_lo, s2
	s_cbranch_vccnz .LBB12_24
; %bb.8:
	s_load_b128 s[0:3], s[0:1], 0x0
	s_lshl_b32 s22, s20, 6
	s_mov_b32 s23, s12
	s_lshl_b32 s24, s14, 3
	s_lshl_b64 s[22:23], s[22:23], 2
	s_mul_i32 s19, s19, s6
	s_mul_i32 s4, s17, s4
	s_add_i32 s6, s24, s15
	v_cvt_f32_ubyte0_e32 v3, 0
	v_cvt_f32_u32_e32 v4, s20
	s_waitcnt lgkmcnt(0)
	s_add_u32 s15, s2, s22
	s_addc_u32 s17, s3, s23
	s_add_i32 s4, s4, s14
	s_add_i32 s14, s21, s19
	s_mul_i32 s4, s4, s5
	s_mul_i32 s5, s5, s18
	s_add_i32 s4, s14, s4
	s_mulk_i32 s5, 0xa0
	s_mulk_i32 s4, 0x50
	s_delay_alu instid0(SALU_CYCLE_1) | instskip(NEXT) | instid1(VALU_DEP_1)
	v_add3_u32 v1, s5, s4, v0
	v_ashrrev_i32_e32 v2, 31, v1
	s_delay_alu instid0(VALU_DEP_1) | instskip(NEXT) | instid1(VALU_DEP_1)
	v_lshlrev_b64 v[1:2], 2, v[1:2]
	v_add_co_u32 v1, vcc_lo, s0, v1
	s_delay_alu instid0(VALU_DEP_2) | instskip(SKIP_1) | instid1(SALU_CYCLE_1)
	v_add_co_ci_u32_e32 v2, vcc_lo, s1, v2, vcc_lo
	s_lshl_b32 s0, s13, 4
	s_add_i32 s0, s6, s0
	global_load_b32 v5, v[1:2], off
	s_ashr_i32 s1, s0, 31
	s_delay_alu instid0(SALU_CYCLE_1) | instskip(NEXT) | instid1(SALU_CYCLE_1)
	s_lshl_b64 s[0:1], s[0:1], 3
	s_add_u32 s0, s2, s0
	s_addc_u32 s1, s3, s1
	s_add_i32 s18, s13, -1
	s_load_b64 s[0:1], s[0:1], 0x0
	v_fmac_f32_e32 v4, 0x4f800000, v3
	s_sub_i32 s14, 0, s20
	s_delay_alu instid0(VALU_DEP_1)
	v_rcp_f32_e32 v3, v4
	s_waitcnt_depctr 0xfff
	v_mul_f32_e32 v6, 0x5f7ffffc, v3
	v_cvt_f32_u32_e32 v3, s20
	s_waitcnt lgkmcnt(0)
	v_mov_b32_e32 v8, s0
	s_delay_alu instid0(VALU_DEP_3) | instskip(NEXT) | instid1(VALU_DEP_3)
	v_mul_f32_e32 v4, 0x2f800000, v6
	v_rcp_iflag_f32_e32 v7, v3
	s_delay_alu instid0(VALU_DEP_1) | instskip(SKIP_1) | instid1(VALU_DEP_2)
	v_trunc_f32_e32 v9, v4
	v_mad_u64_u32 v[3:4], null, 0x50, s6, v[0:1]
	v_fmac_f32_e32 v6, 0xcf800000, v9
	s_waitcnt_depctr 0xfff
	v_dual_mul_f32 v10, 0x4f7ffffe, v7 :: v_dual_mov_b32 v7, s1
	v_cvt_u32_f32_e32 v4, v9
	v_cvt_u32_f32_e32 v0, v6
	s_delay_alu instid0(VALU_DEP_3)
	v_cvt_u32_f32_e32 v6, v10
.LBB12_9:                               ; =>This Inner Loop Header: Depth=1
	s_mul_hi_i32 s13, s18, s7
	s_mul_i32 s4, s18, s7
	s_cmp_lg_u64 s[12:13], 0
	s_mov_b32 s5, -1
                                        ; implicit-def: $sgpr0_sgpr1
	s_cbranch_scc0 .LBB12_11
; %bb.10:                               ;   in Loop: Header=BB12_9 Depth=1
	v_readfirstlane_b32 s0, v0
	v_readfirstlane_b32 s1, v4
	s_sub_u32 s5, 0, s20
	s_subb_u32 s19, 0, 0
	s_delay_alu instid0(VALU_DEP_2) | instskip(NEXT) | instid1(VALU_DEP_1)
	s_mul_hi_u32 s21, s5, s0
	s_mul_i32 s22, s5, s1
	s_mul_i32 s23, s19, s0
	s_add_i32 s21, s21, s22
	s_mul_i32 s22, s5, s0
	s_add_i32 s21, s21, s23
	s_mul_hi_u32 s23, s0, s22
	s_mul_i32 s24, s0, s21
	s_mul_hi_u32 s0, s0, s21
	s_add_u32 s23, s23, s24
	s_mul_i32 s25, s1, s22
	s_addc_u32 s0, 0, s0
	s_mul_hi_u32 s22, s1, s22
	s_mul_hi_u32 s24, s1, s21
	s_add_u32 s23, s23, s25
	s_addc_u32 s0, s0, s22
	s_mul_i32 s21, s1, s21
	s_addc_u32 s22, s24, 0
	s_add_u32 s0, s0, s21
	s_addc_u32 s21, 0, s22
	v_add_co_u32 v9, s0, v0, s0
	s_delay_alu instid0(VALU_DEP_1) | instskip(SKIP_1) | instid1(VALU_DEP_1)
	s_cmp_lg_u32 s0, 0
	s_addc_u32 s1, s1, s21
	v_readfirstlane_b32 s0, v9
	s_mul_i32 s21, s5, s1
	s_delay_alu instid0(VALU_DEP_1)
	s_mul_hi_u32 s22, s5, s0
	s_mul_i32 s19, s19, s0
	s_add_i32 s21, s22, s21
	s_mul_i32 s5, s5, s0
	s_add_i32 s21, s21, s19
	s_mul_hi_u32 s19, s1, s5
	s_mul_i32 s23, s1, s5
	s_mul_i32 s24, s0, s21
	s_mul_hi_u32 s5, s0, s5
	s_mul_hi_u32 s0, s0, s21
	s_add_u32 s5, s5, s24
	s_addc_u32 s0, 0, s0
	s_mul_hi_u32 s22, s1, s21
	s_add_u32 s5, s5, s23
	s_addc_u32 s0, s0, s19
	s_mul_i32 s5, s1, s21
	s_addc_u32 s19, s22, 0
	s_add_u32 s0, s0, s5
	s_addc_u32 s5, 0, s19
	v_add_co_u32 v9, s0, v9, s0
	s_delay_alu instid0(VALU_DEP_1) | instskip(SKIP_2) | instid1(SALU_CYCLE_1)
	s_cmp_lg_u32 s0, 0
	s_addc_u32 s5, s1, s5
	s_ashr_i32 s0, s13, 31
	s_add_u32 s22, s4, s0
	s_addc_u32 s23, s13, s0
	v_readfirstlane_b32 s13, v9
	s_mov_b32 s1, s0
	s_delay_alu instid0(SALU_CYCLE_1) | instskip(NEXT) | instid1(SALU_CYCLE_1)
	s_xor_b64 s[22:23], s[22:23], s[0:1]
	s_mul_i32 s19, s22, s5
	s_delay_alu instid0(VALU_DEP_1)
	s_mul_hi_u32 s21, s22, s13
	s_mul_hi_u32 s24, s22, s5
	s_add_u32 s19, s21, s19
	s_mul_i32 s25, s23, s13
	s_addc_u32 s21, 0, s24
	s_mul_hi_u32 s13, s23, s13
	s_mul_hi_u32 s24, s23, s5
	s_add_u32 s19, s19, s25
	s_addc_u32 s13, s21, s13
	s_mul_i32 s5, s23, s5
	s_addc_u32 s19, s24, 0
	s_add_u32 s5, s13, s5
	s_addc_u32 s13, 0, s19
	s_mul_i32 s21, s20, s5
	s_add_u32 s19, s5, 1
	v_sub_co_u32 v9, s21, s22, s21
	s_addc_u32 s22, s13, 0
	s_mul_i32 s25, s20, s13
	s_mul_hi_u32 s27, s20, s5
	s_delay_alu instid0(VALU_DEP_1)
	v_sub_co_u32 v10, s26, v9, s20
	s_add_u32 s24, s5, 2
	s_addc_u32 s28, s13, 0
	s_add_i32 s27, s27, s25
	s_cmp_lg_u32 s21, 0
	v_readfirstlane_b32 s21, v10
	s_subb_u32 s23, s23, s27
	s_cmp_lg_u32 s26, 0
	s_subb_u32 s25, s23, 0
	s_delay_alu instid0(VALU_DEP_1) | instskip(SKIP_4) | instid1(SALU_CYCLE_1)
	s_cmp_ge_u32 s21, s20
	s_cselect_b32 s21, -1, 0
	s_cmp_eq_u32 s25, 0
	v_readfirstlane_b32 s25, v9
	s_cselect_b32 s21, s21, -1
	s_cmp_lg_u32 s21, 0
	s_cselect_b32 s19, s24, s19
	s_cselect_b32 s21, s28, s22
	s_cmp_ge_u32 s25, s20
	s_cselect_b32 s22, -1, 0
	s_cmp_eq_u32 s23, 0
	s_cselect_b32 s22, s22, -1
	s_delay_alu instid0(SALU_CYCLE_1) | instskip(SKIP_4) | instid1(SALU_CYCLE_1)
	s_cmp_lg_u32 s22, 0
	s_cselect_b32 s23, s21, s13
	s_cselect_b32 s22, s19, s5
	s_mov_b32 s5, 0
	s_xor_b64 s[22:23], s[22:23], s[0:1]
	s_sub_u32 s0, s22, s0
.LBB12_11:                              ;   in Loop: Header=BB12_9 Depth=1
	s_and_not1_b32 vcc_lo, exec_lo, s5
	s_cbranch_vccnz .LBB12_13
; %bb.12:                               ;   in Loop: Header=BB12_9 Depth=1
	v_readfirstlane_b32 s0, v6
	s_delay_alu instid0(VALU_DEP_1) | instskip(NEXT) | instid1(SALU_CYCLE_1)
	s_mul_i32 s1, s14, s0
	s_mul_hi_u32 s1, s0, s1
	s_delay_alu instid0(SALU_CYCLE_1) | instskip(NEXT) | instid1(SALU_CYCLE_1)
	s_add_i32 s0, s0, s1
	s_mul_hi_u32 s0, s4, s0
	s_delay_alu instid0(SALU_CYCLE_1) | instskip(NEXT) | instid1(SALU_CYCLE_1)
	s_mul_i32 s1, s0, s20
	s_sub_i32 s1, s4, s1
	s_add_i32 s4, s0, 1
	s_sub_i32 s5, s1, s20
	s_cmp_ge_u32 s1, s20
	s_cselect_b32 s0, s4, s0
	s_cselect_b32 s1, s5, s1
	s_add_i32 s4, s0, 1
	s_cmp_ge_u32 s1, s20
	s_cselect_b32 s0, s4, s0
.LBB12_13:                              ;   in Loop: Header=BB12_9 Depth=1
	s_delay_alu instid0(SALU_CYCLE_1)
	s_cmp_lg_u32 s16, s0
	s_cbranch_scc0 .LBB12_17
; %bb.14:                               ;   in Loop: Header=BB12_9 Depth=1
	s_add_i32 s1, s18, s20
	s_mov_b32 s5, s12
	s_lshl_b32 s1, s1, 4
	s_mov_b32 s19, s16
	s_add_i32 s4, s1, s6
	s_mul_hi_u32 s1, s0, s8
	s_lshl_b64 s[4:5], s[4:5], 3
	s_delay_alu instid0(SALU_CYCLE_1) | instskip(SKIP_2) | instid1(SALU_CYCLE_1)
	s_add_u32 s4, s2, s4
	s_addc_u32 s5, s3, s5
	s_add_i32 s1, s1, s0
	s_lshr_b32 s1, s1, s9
	s_delay_alu instid0(SALU_CYCLE_1) | instskip(NEXT) | instid1(SALU_CYCLE_1)
	s_mul_i32 s13, s1, s10
	s_cmp_eq_u32 s13, s0
	s_cselect_b32 s13, -1, 0
	s_cmp_lt_u32 s1, s11
	s_cselect_b32 s1, -1, 0
	s_delay_alu instid0(SALU_CYCLE_1)
	s_or_b32 s1, s1, s13
	s_mov_b32 s13, -1
	s_and_b32 vcc_lo, exec_lo, s1
	s_mov_b32 s1, s18
	s_cbranch_vccnz .LBB12_16
; %bb.15:                               ;   in Loop: Header=BB12_9 Depth=1
	s_add_i32 s1, s18, -1
	s_mov_b32 s13, 0
	s_mov_b32 s19, s0
.LBB12_16:                              ;   in Loop: Header=BB12_9 Depth=1
	v_mad_u64_u32 v[9:10], null, 0x500, s18, v[3:4]
	s_load_b64 s[4:5], s[4:5], 0x0
	s_delay_alu instid0(VALU_DEP_1) | instskip(NEXT) | instid1(VALU_DEP_1)
	v_ashrrev_i32_e32 v10, 31, v9
	v_lshlrev_b64 v[9:10], 2, v[9:10]
	s_delay_alu instid0(VALU_DEP_1) | instskip(NEXT) | instid1(VALU_DEP_2)
	v_add_co_u32 v9, vcc_lo, s15, v9
	v_add_co_ci_u32_e32 v10, vcc_lo, s17, v10, vcc_lo
	s_waitcnt lgkmcnt(0)
	v_max_f32_e64 v11, s4, s4
	global_load_b32 v10, v[9:10], off
	v_max_f32_e32 v9, v8, v8
	s_delay_alu instid0(VALU_DEP_1) | instskip(NEXT) | instid1(VALU_DEP_1)
	v_max_f32_e32 v9, v9, v11
	v_sub_f32_e32 v12, v8, v9
	s_delay_alu instid0(VALU_DEP_1) | instskip(NEXT) | instid1(VALU_DEP_1)
	v_dual_mul_f32 v14, 0x3fb8aa3b, v12 :: v_dual_sub_f32 v11, s4, v9
	v_rndne_f32_e32 v18, v14
	s_delay_alu instid0(VALU_DEP_2) | instskip(SKIP_2) | instid1(VALU_DEP_4)
	v_mul_f32_e32 v13, 0x3fb8aa3b, v11
	v_fma_f32 v17, 0x3fb8aa3b, v12, -v14
	v_cmp_ngt_f32_e32 vcc_lo, 0xc2ce8ed0, v11
	v_sub_f32_e32 v14, v14, v18
	s_delay_alu instid0(VALU_DEP_4) | instskip(SKIP_2) | instid1(VALU_DEP_3)
	v_fma_f32 v15, 0x3fb8aa3b, v11, -v13
	v_rndne_f32_e32 v16, v13
	v_fmac_f32_e32 v17, 0x32a5705f, v12
	v_fmac_f32_e32 v15, 0x32a5705f, v11
	s_delay_alu instid0(VALU_DEP_2) | instskip(NEXT) | instid1(VALU_DEP_1)
	v_dual_sub_f32 v13, v13, v16 :: v_dual_add_f32 v14, v14, v17
	v_add_f32_e32 v13, v13, v15
	s_delay_alu instid0(VALU_DEP_2) | instskip(SKIP_2) | instid1(VALU_DEP_3)
	v_exp_f32_e32 v14, v14
	v_cvt_i32_f32_e32 v15, v16
	v_cvt_i32_f32_e32 v16, v18
	v_exp_f32_e32 v13, v13
	s_waitcnt_depctr 0xfff
	v_ldexp_f32 v14, v14, v16
	v_ldexp_f32 v13, v13, v15
	s_delay_alu instid0(VALU_DEP_1) | instskip(SKIP_1) | instid1(VALU_DEP_4)
	v_cndmask_b32_e32 v13, 0, v13, vcc_lo
	v_cmp_ngt_f32_e32 vcc_lo, 0xc2ce8ed0, v12
	v_cndmask_b32_e32 v14, 0, v14, vcc_lo
	v_cmp_nlt_f32_e32 vcc_lo, 0x42b17218, v11
	s_delay_alu instid0(VALU_DEP_4) | instskip(SKIP_1) | instid1(VALU_DEP_4)
	v_cndmask_b32_e32 v13, 0x7f800000, v13, vcc_lo
	v_cmp_nlt_f32_e32 vcc_lo, 0x42b17218, v12
	v_cndmask_b32_e32 v14, 0x7f800000, v14, vcc_lo
	v_cmp_le_f32_e32 vcc_lo, 0xc1a00000, v11
	s_delay_alu instid0(VALU_DEP_4) | instskip(SKIP_1) | instid1(VALU_DEP_4)
	v_cndmask_b32_e32 v11, 0, v13, vcc_lo
	v_cmp_le_f32_e32 vcc_lo, 0xc1a00000, v12
	v_cndmask_b32_e32 v12, 0, v14, vcc_lo
	s_waitcnt vmcnt(0)
	s_delay_alu instid0(VALU_DEP_3) | instskip(NEXT) | instid1(VALU_DEP_1)
	v_mul_f32_e32 v10, v10, v11
	v_dual_mul_f32 v11, s5, v11 :: v_dual_fmac_f32 v10, v5, v12
	s_delay_alu instid0(VALU_DEP_1)
	v_fmac_f32_e32 v11, v7, v12
	s_cbranch_execz .LBB12_18
	s_branch .LBB12_19
.LBB12_17:                              ;   in Loop: Header=BB12_9 Depth=1
                                        ; implicit-def: $sgpr13
                                        ; implicit-def: $vgpr10
                                        ; implicit-def: $vgpr9
                                        ; implicit-def: $vgpr11
                                        ; implicit-def: $sgpr1
                                        ; implicit-def: $sgpr19
.LBB12_18:                              ;   in Loop: Header=BB12_9 Depth=1
	s_waitcnt vmcnt(0)
	v_dual_mov_b32 v11, v7 :: v_dual_mov_b32 v10, v5
	v_mov_b32_e32 v9, v8
	s_add_i32 s1, s18, -1
	s_mov_b32 s13, 0
	s_mov_b32 s19, s16
.LBB12_19:                              ;   in Loop: Header=BB12_9 Depth=1
	s_and_not1_b32 vcc_lo, exec_lo, s13
	s_cbranch_vccz .LBB12_23
; %bb.20:                               ;   in Loop: Header=BB12_9 Depth=1
	v_dual_mov_b32 v7, v11 :: v_dual_mov_b32 v8, v9
	s_waitcnt vmcnt(0)
	v_mov_b32_e32 v5, v10
	s_mov_b32 s16, s19
	s_mov_b32 s18, s1
	s_branch .LBB12_9
.LBB12_21:
                                        ; implicit-def: $sgpr16_sgpr17
	s_load_b128 s[8:11], s[0:1], 0x44
	s_branch .LBB12_2
.LBB12_22:
                                        ; implicit-def: $sgpr18_sgpr19
	s_branch .LBB12_5
.LBB12_23:
	v_div_scale_f32 v0, null, v11, v11, v10
	s_delay_alu instid0(VALU_DEP_1) | instskip(SKIP_2) | instid1(VALU_DEP_1)
	v_rcp_f32_e32 v3, v0
	s_waitcnt_depctr 0xfff
	v_fma_f32 v4, -v0, v3, 1.0
	v_fmac_f32_e32 v3, v4, v3
	v_div_scale_f32 v4, vcc_lo, v10, v11, v10
	s_waitcnt vmcnt(0)
	s_delay_alu instid0(VALU_DEP_1) | instskip(NEXT) | instid1(VALU_DEP_1)
	v_mul_f32_e32 v5, v4, v3
	v_fma_f32 v6, -v0, v5, v4
	s_delay_alu instid0(VALU_DEP_1) | instskip(NEXT) | instid1(VALU_DEP_1)
	v_fmac_f32_e32 v5, v6, v3
	v_fma_f32 v0, -v0, v5, v4
	s_delay_alu instid0(VALU_DEP_1) | instskip(NEXT) | instid1(VALU_DEP_1)
	v_div_fmas_f32 v0, v0, v3, v5
	v_div_fixup_f32 v0, v0, v11, v10
	global_store_b32 v[1:2], v0, off
.LBB12_24:
	s_nop 0
	s_sendmsg sendmsg(MSG_DEALLOC_VGPRS)
	s_endpgm
	.section	.rodata,"a",@progbits
	.p2align	6, 0x0
	.amdhsa_kernel _ZL33flash_attn_stream_k_fixup_generalILi80ELi2ELi8EEvPfPK15HIP_vector_typeIfLj2EEiiiiS1_IjLj3EES5_S5_S5_
		.amdhsa_group_segment_fixed_size 0
		.amdhsa_private_segment_fixed_size 0
		.amdhsa_kernarg_size 336
		.amdhsa_user_sgpr_count 13
		.amdhsa_user_sgpr_dispatch_ptr 0
		.amdhsa_user_sgpr_queue_ptr 0
		.amdhsa_user_sgpr_kernarg_segment_ptr 1
		.amdhsa_user_sgpr_dispatch_id 0
		.amdhsa_user_sgpr_private_segment_size 0
		.amdhsa_wavefront_size32 1
		.amdhsa_uses_dynamic_stack 0
		.amdhsa_enable_private_segment 0
		.amdhsa_system_sgpr_workgroup_id_x 1
		.amdhsa_system_sgpr_workgroup_id_y 1
		.amdhsa_system_sgpr_workgroup_id_z 1
		.amdhsa_system_sgpr_workgroup_info 0
		.amdhsa_system_vgpr_workitem_id 0
		.amdhsa_next_free_vgpr 19
		.amdhsa_next_free_sgpr 32
		.amdhsa_reserve_vcc 1
		.amdhsa_float_round_mode_32 0
		.amdhsa_float_round_mode_16_64 0
		.amdhsa_float_denorm_mode_32 3
		.amdhsa_float_denorm_mode_16_64 3
		.amdhsa_dx10_clamp 1
		.amdhsa_ieee_mode 1
		.amdhsa_fp16_overflow 0
		.amdhsa_workgroup_processor_mode 1
		.amdhsa_memory_ordered 1
		.amdhsa_forward_progress 0
		.amdhsa_shared_vgpr_count 0
		.amdhsa_exception_fp_ieee_invalid_op 0
		.amdhsa_exception_fp_denorm_src 0
		.amdhsa_exception_fp_ieee_div_zero 0
		.amdhsa_exception_fp_ieee_overflow 0
		.amdhsa_exception_fp_ieee_underflow 0
		.amdhsa_exception_fp_ieee_inexact 0
		.amdhsa_exception_int_div_zero 0
	.end_amdhsa_kernel
	.section	.text._ZL33flash_attn_stream_k_fixup_generalILi80ELi2ELi8EEvPfPK15HIP_vector_typeIfLj2EEiiiiS1_IjLj3EES5_S5_S5_,"axG",@progbits,_ZL33flash_attn_stream_k_fixup_generalILi80ELi2ELi8EEvPfPK15HIP_vector_typeIfLj2EEiiiiS1_IjLj3EES5_S5_S5_,comdat
.Lfunc_end12:
	.size	_ZL33flash_attn_stream_k_fixup_generalILi80ELi2ELi8EEvPfPK15HIP_vector_typeIfLj2EEiiiiS1_IjLj3EES5_S5_S5_, .Lfunc_end12-_ZL33flash_attn_stream_k_fixup_generalILi80ELi2ELi8EEvPfPK15HIP_vector_typeIfLj2EEiiiiS1_IjLj3EES5_S5_S5_
                                        ; -- End function
	.section	.AMDGPU.csdata,"",@progbits
; Kernel info:
; codeLenInByte = 3224
; NumSgprs: 34
; NumVgprs: 19
; ScratchSize: 0
; MemoryBound: 0
; FloatMode: 240
; IeeeMode: 1
; LDSByteSize: 0 bytes/workgroup (compile time only)
; SGPRBlocks: 4
; VGPRBlocks: 2
; NumSGPRsForWavesPerEU: 34
; NumVGPRsForWavesPerEU: 19
; Occupancy: 16
; WaveLimiterHint : 0
; COMPUTE_PGM_RSRC2:SCRATCH_EN: 0
; COMPUTE_PGM_RSRC2:USER_SGPR: 13
; COMPUTE_PGM_RSRC2:TRAP_HANDLER: 0
; COMPUTE_PGM_RSRC2:TGID_X_EN: 1
; COMPUTE_PGM_RSRC2:TGID_Y_EN: 1
; COMPUTE_PGM_RSRC2:TGID_Z_EN: 1
; COMPUTE_PGM_RSRC2:TIDIG_COMP_CNT: 0
	.section	.text._ZL15flash_attn_tileILi80ELi80ELi1ELi8ELb0EEvPKcS1_S1_S1_S1_PKiPfP15HIP_vector_typeIfLj2EEffffjfiS5_IjLj3EEiiiiiiiiiiiliiliiiiil,"axG",@progbits,_ZL15flash_attn_tileILi80ELi80ELi1ELi8ELb0EEvPKcS1_S1_S1_S1_PKiPfP15HIP_vector_typeIfLj2EEffffjfiS5_IjLj3EEiiiiiiiiiiiliiliiiiil,comdat
	.globl	_ZL15flash_attn_tileILi80ELi80ELi1ELi8ELb0EEvPKcS1_S1_S1_S1_PKiPfP15HIP_vector_typeIfLj2EEffffjfiS5_IjLj3EEiiiiiiiiiiiliiliiiiil ; -- Begin function _ZL15flash_attn_tileILi80ELi80ELi1ELi8ELb0EEvPKcS1_S1_S1_S1_PKiPfP15HIP_vector_typeIfLj2EEffffjfiS5_IjLj3EEiiiiiiiiiiiliiliiiiil
	.p2align	8
	.type	_ZL15flash_attn_tileILi80ELi80ELi1ELi8ELb0EEvPKcS1_S1_S1_S1_PKiPfP15HIP_vector_typeIfLj2EEffffjfiS5_IjLj3EEiiiiiiiiiiiliiliiiiil,@function
_ZL15flash_attn_tileILi80ELi80ELi1ELi8ELb0EEvPKcS1_S1_S1_S1_PKiPfP15HIP_vector_typeIfLj2EEffffjfiS5_IjLj3EEiiiiiiiiiiiliiliiiiil: ; @_ZL15flash_attn_tileILi80ELi80ELi1ELi8ELb0EEvPKcS1_S1_S1_S1_PKiPfP15HIP_vector_typeIfLj2EEffffjfiS5_IjLj3EEiiiiiiiiiiiliiliiiiil
; %bb.0:
	s_clause 0x1
	s_load_b128 s[8:11], s[0:1], 0x5c
	s_load_b64 s[34:35], s[0:1], 0x80
	s_mov_b64 s[36:37], 0
	s_waitcnt lgkmcnt(0)
	s_ashr_i32 s2, s11, 31
	s_delay_alu instid0(SALU_CYCLE_1) | instskip(NEXT) | instid1(SALU_CYCLE_1)
	s_lshr_b32 s2, s2, 29
	s_add_i32 s2, s11, s2
	s_delay_alu instid0(SALU_CYCLE_1) | instskip(NEXT) | instid1(SALU_CYCLE_1)
	s_ashr_i32 s2, s2, 3
	v_cvt_f32_u32_e32 v1, s2
	s_sub_i32 s4, 0, s2
	s_delay_alu instid0(VALU_DEP_1) | instskip(SKIP_2) | instid1(VALU_DEP_1)
	v_rcp_iflag_f32_e32 v1, v1
	s_waitcnt_depctr 0xfff
	v_mul_f32_e32 v1, 0x4f7ffffe, v1
	v_cvt_u32_f32_e32 v1, v1
	s_delay_alu instid0(VALU_DEP_1) | instskip(NEXT) | instid1(VALU_DEP_1)
	v_readfirstlane_b32 s3, v1
	s_mul_i32 s4, s4, s3
	s_delay_alu instid0(SALU_CYCLE_1) | instskip(NEXT) | instid1(SALU_CYCLE_1)
	s_mul_hi_u32 s4, s3, s4
	s_add_i32 s3, s3, s4
	s_delay_alu instid0(SALU_CYCLE_1) | instskip(NEXT) | instid1(SALU_CYCLE_1)
	s_mul_hi_u32 s3, s15, s3
	s_mul_i32 s4, s3, s2
	s_add_i32 s5, s3, 1
	s_sub_i32 s4, s15, s4
	s_delay_alu instid0(SALU_CYCLE_1)
	s_sub_i32 s6, s4, s2
	s_cmp_ge_u32 s4, s2
	s_cselect_b32 s3, s5, s3
	s_cselect_b32 s4, s6, s4
	s_add_i32 s5, s3, 1
	s_cmp_ge_u32 s4, s2
	s_cselect_b32 s12, s5, s3
	s_abs_i32 s2, s35
	s_abs_i32 s5, s11
	v_cvt_f32_u32_e32 v1, s2
	s_sub_i32 s4, 0, s2
	s_xor_b32 s6, s11, s35
	s_delay_alu instid0(SALU_CYCLE_1) | instskip(NEXT) | instid1(VALU_DEP_1)
	s_ashr_i32 s6, s6, 31
	v_rcp_iflag_f32_e32 v1, v1
	s_waitcnt_depctr 0xfff
	v_mul_f32_e32 v1, 0x4f7ffffe, v1
	s_delay_alu instid0(VALU_DEP_1) | instskip(NEXT) | instid1(VALU_DEP_1)
	v_cvt_u32_f32_e32 v1, v1
	v_readfirstlane_b32 s3, v1
	s_delay_alu instid0(VALU_DEP_1) | instskip(NEXT) | instid1(SALU_CYCLE_1)
	s_mul_i32 s4, s4, s3
	s_mul_hi_u32 s4, s3, s4
	s_delay_alu instid0(SALU_CYCLE_1) | instskip(SKIP_2) | instid1(SALU_CYCLE_1)
	s_add_i32 s3, s3, s4
	s_lshl_b32 s4, s15, 3
	s_mul_hi_u32 s3, s5, s3
	s_mul_i32 s7, s3, s2
	s_delay_alu instid0(SALU_CYCLE_1)
	s_sub_i32 s5, s5, s7
	s_add_i32 s7, s3, 1
	s_sub_i32 s15, s5, s2
	s_cmp_ge_u32 s5, s2
	s_cselect_b32 s3, s7, s3
	s_cselect_b32 s5, s15, s5
	s_add_i32 s7, s3, 1
	s_cmp_ge_u32 s5, s2
	s_mul_i32 s5, s12, s11
	s_cselect_b32 s2, s7, s3
	s_delay_alu instid0(SALU_CYCLE_1) | instskip(NEXT) | instid1(SALU_CYCLE_1)
	s_xor_b32 s2, s2, s6
	s_sub_i32 s35, s2, s6
	s_clause 0x1
	s_load_b512 s[16:31], s[0:1], 0x0
	s_load_b64 s[2:3], s[0:1], 0xb8
	s_abs_i32 s33, s35
	s_delay_alu instid0(SALU_CYCLE_1) | instskip(NEXT) | instid1(VALU_DEP_1)
	v_cvt_f32_u32_e32 v1, s33
	v_rcp_iflag_f32_e32 v1, v1
	s_waitcnt_depctr 0xfff
	v_mul_f32_e32 v1, 0x4f7ffffe, v1
	s_waitcnt lgkmcnt(0)
	s_cmp_eq_u64 s[22:23], 0
	s_delay_alu instid0(VALU_DEP_1) | instskip(NEXT) | instid1(VALU_DEP_1)
	v_cvt_u32_f32_e32 v1, v1
	v_readfirstlane_b32 s38, v1
	s_cbranch_scc1 .LBB13_2
; %bb.1:
	s_abs_i32 s2, s2
	s_abs_i32 s15, s12
	v_cvt_f32_u32_e32 v1, s2
	s_sub_i32 s7, 0, s2
	s_delay_alu instid0(VALU_DEP_1) | instskip(SKIP_2) | instid1(VALU_DEP_1)
	v_rcp_iflag_f32_e32 v1, v1
	s_waitcnt_depctr 0xfff
	v_mul_f32_e32 v1, 0x4f7ffffe, v1
	v_cvt_u32_f32_e32 v1, v1
	s_delay_alu instid0(VALU_DEP_1) | instskip(NEXT) | instid1(VALU_DEP_1)
	v_readfirstlane_b32 s6, v1
	s_mul_i32 s7, s7, s6
	s_delay_alu instid0(SALU_CYCLE_1) | instskip(NEXT) | instid1(SALU_CYCLE_1)
	s_mul_hi_u32 s7, s6, s7
	s_add_i32 s36, s6, s7
	s_load_b64 s[6:7], s[0:1], 0xc8
	s_mul_hi_u32 s36, s15, s36
	s_delay_alu instid0(SALU_CYCLE_1) | instskip(NEXT) | instid1(SALU_CYCLE_1)
	s_mul_i32 s36, s36, s2
	s_sub_i32 s15, s15, s36
	s_ashr_i32 s36, s12, 31
	s_sub_i32 s37, s15, s2
	s_cmp_ge_u32 s15, s2
	s_cselect_b32 s15, s37, s15
	s_delay_alu instid0(SALU_CYCLE_1) | instskip(SKIP_2) | instid1(SALU_CYCLE_1)
	s_sub_i32 s37, s15, s2
	s_cmp_ge_u32 s15, s2
	s_cselect_b32 s2, s37, s15
	s_xor_b32 s2, s2, s36
	s_delay_alu instid0(SALU_CYCLE_1)
	s_sub_i32 s2, s2, s36
	s_waitcnt lgkmcnt(0)
	s_mul_i32 s7, s2, s7
	s_mul_hi_u32 s15, s2, s6
	s_ashr_i32 s36, s2, 31
	s_add_i32 s7, s15, s7
	s_mul_i32 s36, s36, s6
	s_mul_i32 s2, s2, s6
	s_add_i32 s7, s7, s36
	s_add_u32 s36, s22, s2
	s_addc_u32 s37, s23, s7
.LBB13_2:
	v_bfe_u32 v1, v0, 10, 10
	v_and_b32_e32 v40, 0x3ff, v0
	s_sub_i32 s15, s4, s5
	s_delay_alu instid0(VALU_DEP_2) | instskip(SKIP_1) | instid1(VALU_DEP_3)
	v_lshrrev_b32_e32 v52, 3, v1
	v_and_b32_e32 v51, 7, v1
	v_cmp_gt_u32_e64 s2, 20, v40
	s_delay_alu instid0(VALU_DEP_3) | instskip(NEXT) | instid1(VALU_DEP_1)
	v_add_nc_u32_e32 v2, s13, v52
	v_mul_hi_u32 v0, s8, v2
	s_delay_alu instid0(VALU_DEP_3)
	s_and_saveexec_b32 s4, s2
	s_cbranch_execz .LBB13_4
; %bb.3:
	s_load_b128 s[40:43], s[0:1], 0x70
	s_delay_alu instid0(VALU_DEP_1) | instskip(NEXT) | instid1(VALU_DEP_1)
	v_add_nc_u32_e32 v3, v2, v0
	v_lshrrev_b32_e32 v3, s9, v3
	s_delay_alu instid0(VALU_DEP_1) | instskip(NEXT) | instid1(VALU_DEP_1)
	v_mul_lo_u32 v3, v3, s10
	v_sub_nc_u32_e32 v10, v2, v3
	s_waitcnt lgkmcnt(0)
	s_mul_i32 s5, s12, s42
	s_mul_i32 s6, s15, s41
	s_ashr_i32 s7, s5, 31
	s_add_u32 s5, s16, s5
	s_addc_u32 s7, s17, s7
	s_ashr_i32 s8, s6, 31
	s_add_u32 s5, s5, s6
	s_addc_u32 s6, s7, s8
	s_ashr_i32 s7, s41, 31
	s_ashr_i32 s8, s40, 31
	v_alignbit_b32 v5, s7, s41, 2
	v_alignbit_b32 v7, s8, s40, 2
	s_lshr_b32 s7, s7, 2
	s_delay_alu instid0(VALU_DEP_2) | instskip(NEXT) | instid1(VALU_DEP_2)
	v_mad_u64_u32 v[3:4], null, v5, v51, 0
	v_mad_u64_u32 v[5:6], null, v7, v10, 0
	s_delay_alu instid0(VALU_DEP_1) | instskip(SKIP_1) | instid1(VALU_DEP_1)
	v_mad_u64_u32 v[7:8], null, s7, v51, v[4:5]
	s_lshr_b32 s7, s8, 2
	v_mov_b32_e32 v4, v7
	s_delay_alu instid0(VALU_DEP_3) | instskip(SKIP_2) | instid1(VALU_DEP_4)
	v_mad_u64_u32 v[8:9], null, s7, v10, v[6:7]
	v_mul_u32_u24_e32 v9, 40, v1
	v_lshlrev_b32_e32 v7, 4, v40
	v_lshlrev_b64 v[3:4], 2, v[3:4]
	v_lshlrev_b32_e32 v10, 1, v40
	v_mov_b32_e32 v6, v8
	s_delay_alu instid0(VALU_DEP_3) | instskip(NEXT) | instid1(VALU_DEP_4)
	v_add_co_u32 v3, vcc_lo, s5, v3
	v_add_co_ci_u32_e32 v4, vcc_lo, s6, v4, vcc_lo
	s_delay_alu instid0(VALU_DEP_3) | instskip(SKIP_1) | instid1(VALU_DEP_1)
	v_lshlrev_b64 v[5:6], 2, v[5:6]
	s_load_b32 s5, s[0:1], 0x40
	v_add_co_u32 v3, vcc_lo, v3, v5
	s_delay_alu instid0(VALU_DEP_2) | instskip(NEXT) | instid1(VALU_DEP_2)
	v_add_co_ci_u32_e32 v4, vcc_lo, v4, v6, vcc_lo
	v_add_co_u32 v3, vcc_lo, v3, v7
	s_delay_alu instid0(VALU_DEP_2)
	v_add_co_ci_u32_e32 v4, vcc_lo, 0, v4, vcc_lo
	global_load_b128 v[3:6], v[3:4], off
	s_waitcnt vmcnt(0) lgkmcnt(0)
	v_fma_mixlo_f16 v8, v5, s5, 0
	v_fma_mixlo_f16 v7, v3, s5, 0
	v_add_lshl_u32 v3, v9, v10, 2
	s_delay_alu instid0(VALU_DEP_3) | instskip(NEXT) | instid1(VALU_DEP_3)
	v_fma_mixhi_f16 v8, v6, s5, 0
	v_fma_mixhi_f16 v7, v4, s5, 0
	ds_store_b64 v3, v[7:8] offset:3264
.LBB13_4:
	s_or_b32 exec_lo, exec_lo, s4
	s_cmp_eq_u64 s[26:27], 0
	s_waitcnt lgkmcnt(0)
	s_barrier
	buffer_gl0_inv
	s_cbranch_scc1 .LBB13_6
; %bb.5:
	s_load_b32 s4, s[0:1], 0xd0
	s_mov_b32 s5, 0
	s_waitcnt lgkmcnt(0)
	s_mul_i32 s4, s4, s12
	s_delay_alu instid0(SALU_CYCLE_1) | instskip(NEXT) | instid1(SALU_CYCLE_1)
	s_add_i32 s4, s4, s13
	s_lshl_b64 s[4:5], s[4:5], 2
	s_delay_alu instid0(SALU_CYCLE_1)
	s_add_u32 s4, s26, s4
	s_addc_u32 s5, s27, s5
	s_load_b32 s34, s[4:5], 0x0
.LBB13_6:
	v_mbcnt_lo_u32_b32 v53, -1, 0
	s_lshl_b32 s22, s14, 5
	s_waitcnt lgkmcnt(0)
	s_cmp_lt_i32 s22, s34
	s_cbranch_scc1 .LBB13_8
; %bb.7:
	v_mbcnt_lo_u32_b32 v3, -1, 0
	v_mov_b32_e32 v55, 32
	s_mov_b32 s4, 0
	s_mov_b32 s5, 0xfeffffff
	s_delay_alu instid0(VALU_DEP_2)
	v_xor_b32_e32 v70, 16, v3
	v_xor_b32_e32 v72, 8, v3
	;; [unrolled: 1-line block ×5, first 2 shown]
	s_branch .LBB13_9
.LBB13_8:
	s_mov_b32 s4, -1
                                        ; implicit-def: $sgpr5
                                        ; implicit-def: $vgpr3
                                        ; implicit-def: $vgpr55
                                        ; implicit-def: $vgpr70
                                        ; implicit-def: $vgpr72
                                        ; implicit-def: $vgpr73
                                        ; implicit-def: $vgpr74
                                        ; implicit-def: $vgpr75
.LBB13_9:
	s_delay_alu instid0(SALU_CYCLE_1)
	v_cndmask_b32_e64 v4, 0, 1, s4
	v_mov_b32_e32 v56, s4
	v_mov_b32_e32 v50, s5
	;; [unrolled: 1-line block ×4, first 2 shown]
	v_cmp_ne_u32_e32 vcc_lo, 1, v4
	s_cbranch_vccnz .LBB13_30
; %bb.10:
	s_clause 0x1
	s_load_b128 s[4:7], s[0:1], 0x98
	s_load_b64 s[16:17], s[0:1], 0x8c
	s_sub_i32 s8, 0, s33
	s_abs_i32 s27, s15
	s_mul_i32 s8, s8, s38
	v_dual_mov_b32 v71, 0xfeffffff :: v_dual_add_nc_u32 v0, v2, v0
	s_mul_hi_u32 s8, s38, s8
	v_dual_mov_b32 v54, 0 :: v_dual_lshlrev_b32 v7, 2, v40
	s_add_i32 s38, s38, s8
	s_ashr_i32 s8, s3, 1
	s_mul_hi_u32 s3, s27, s38
	s_ashr_i32 s38, s12, 31
	s_ashr_i32 s39, s15, 31
	;; [unrolled: 1-line block ×3, first 2 shown]
	s_load_b64 s[40:41], s[0:1], 0xa8
	s_mul_i32 s42, s3, s33
	v_lshrrev_b32_e32 v3, 2, v40
	v_lshrrev_b32_e32 v0, s9, v0
	s_waitcnt lgkmcnt(0)
	s_ashr_i32 s23, s6, 2
	s_mul_i32 s5, s12, s5
	s_mul_hi_u32 s6, s12, s4
	s_ashr_i32 s26, s16, 2
	s_mul_i32 s16, s38, s4
	s_add_i32 s5, s6, s5
	s_mul_i32 s4, s12, s4
	s_add_i32 s5, s5, s16
	s_add_u32 s4, s18, s4
	s_addc_u32 s5, s19, s5
	s_sub_i32 s16, s27, s42
	v_dual_mov_b32 v56, 0 :: v_dual_and_b32 v9, 12, v7
	s_xor_b32 s6, s39, s35
	s_add_i32 s18, s3, 1
	s_sub_i32 s19, s16, s33
	s_cmp_ge_u32 s16, s33
	v_lshl_add_u32 v6, v1, 3, v3
	s_cselect_b32 s3, s18, s3
	s_cselect_b32 s16, s19, s16
	v_mul_lo_u32 v0, v0, s10
	v_dual_mov_b32 v55, 32 :: v_dual_lshlrev_b32 v8, 2, v9
	s_add_i32 s18, s3, 1
	s_cmp_ge_u32 s16, s33
	v_lshrrev_b32_e32 v10, 1, v40
	s_cselect_b32 s3, s18, s3
	v_mad_u32_u24 v60, 0x60, v6, v8
	v_lshrrev_b32_e32 v8, 3, v40
	s_xor_b32 s3, s3, s6
	v_sub_nc_u32_e32 v0, v2, v0
	s_sub_i32 s3, s3, s6
	v_lshl_add_u32 v2, v1, 4, v10
	s_mul_i32 s6, s3, s17
	v_lshl_add_u32 v4, v1, 5, v40
	v_lshl_add_u32 v8, v1, 2, v8
	s_mul_i32 s16, s12, s41
	s_mul_hi_u32 s27, s12, s40
	s_ashr_i32 s19, s6, 31
	s_add_u32 s18, s4, s6
	v_dual_mov_b32 v69, 0 :: v_dual_and_b32 v62, 4, v7
	v_mul_u32_u24_e32 v10, 0xa0, v2
	v_and_b32_e32 v64, 28, v7
	s_mul_i32 s38, s38, s40
	s_addc_u32 s19, s5, s19
	s_add_i32 s4, s27, s16
	s_mul_i32 s17, s12, s40
	v_mul_lo_u32 v3, s26, v4
	v_mul_lo_u32 v5, s26, v6
	v_mad_u64_u32 v[41:42], null, v0, s8, v[40:41]
	v_mul_lo_u32 v0, s23, v2
	v_mul_lo_u32 v7, s23, v8
	s_add_i32 s4, s4, s38
	s_add_u32 s5, s20, s17
	s_addc_u32 s6, s21, s4
	v_mul_u32_u24_e32 v58, 0xa0, v1
	v_lshl_add_u32 v61, v1, 6, 0x11c0
	v_lshl_or_b32 v1, v62, 2, v10
	v_cmp_gt_u32_e64 s4, 16, v2
	v_lshlrev_b32_e32 v2, 2, v64
	s_mul_i32 s3, s3, s7
	v_cmp_gt_u32_e32 vcc_lo, 32, v4
	s_ashr_i32 s7, s3, 31
	s_add_u32 s20, s5, s3
	v_cmp_gt_u32_e64 s3, 32, v6
	v_mad_u32_u24 v59, 0x60, v4, 64
	v_ashrrev_i32_e32 v4, 31, v3
	v_ashrrev_i32_e32 v6, 31, v5
	v_cmp_gt_u32_e64 s5, 16, v8
	v_add_nc_u32_e32 v66, 0x80, v1
	v_ashrrev_i32_e32 v1, 31, v0
	v_mad_u32_u24 v67, 0xa0, v8, v2
	v_ashrrev_i32_e32 v8, 31, v7
	v_lshlrev_b64 v[42:43], 2, v[3:4]
	v_lshlrev_b64 v[44:45], 2, v[5:6]
	;; [unrolled: 1-line block ×3, first 2 shown]
	v_mul_u32_u24_e32 v57, 0x60, v40
	v_lshlrev_b64 v[48:49], 2, v[7:8]
	v_lshl_add_u32 v63, v40, 1, v61
	v_lshlrev_b32_e32 v65, 3, v40
	v_lshlrev_b32_e32 v68, 2, v9
	s_addc_u32 s9, s6, s7
	s_add_u32 s16, s0, 0xd0
	s_addc_u32 s17, s1, 0
.LBB13_11:                              ; =>This Inner Loop Header: Depth=1
	s_mul_hi_i32 s7, s22, s26
	s_mul_i32 s6, s22, s26
	s_delay_alu instid0(SALU_CYCLE_1) | instskip(NEXT) | instid1(SALU_CYCLE_1)
	s_lshl_b64 s[38:39], s[6:7], 2
	s_add_u32 s7, s18, s38
	s_addc_u32 s8, s19, s39
	s_and_saveexec_b32 s21, vcc_lo
	s_cbranch_execz .LBB13_13
; %bb.12:                               ;   in Loop: Header=BB13_11 Depth=1
	v_add_co_u32 v0, s6, s7, v42
	s_delay_alu instid0(VALU_DEP_1)
	v_add_co_ci_u32_e64 v1, s6, s8, v43, s6
	global_load_b128 v[0:3], v[0:1], off offset:64
	s_waitcnt vmcnt(0)
	ds_store_b128 v59, v[0:3]
.LBB13_13:                              ;   in Loop: Header=BB13_11 Depth=1
	s_or_b32 exec_lo, exec_lo, s21
	s_and_saveexec_b32 s21, s3
	s_cbranch_execz .LBB13_15
; %bb.14:                               ;   in Loop: Header=BB13_11 Depth=1
	v_add_co_u32 v0, s6, s7, v44
	s_delay_alu instid0(VALU_DEP_1) | instskip(NEXT) | instid1(VALU_DEP_2)
	v_add_co_ci_u32_e64 v1, s6, s8, v45, s6
	v_add_co_u32 v0, s6, v0, v68
	s_delay_alu instid0(VALU_DEP_1)
	v_add_co_ci_u32_e64 v1, s6, 0, v1, s6
	global_load_b128 v[0:3], v[0:1], off
	s_waitcnt vmcnt(0)
	ds_store_b128 v60, v[0:3]
.LBB13_15:                              ;   in Loop: Header=BB13_11 Depth=1
	s_or_b32 exec_lo, exec_lo, s21
	s_waitcnt lgkmcnt(0)
	s_barrier
	buffer_gl0_inv
	ds_load_b128 v[1:4], v57
	ds_load_b128 v[5:8], v58 offset:3264
	v_mov_b32_e32 v0, 0
	s_waitcnt lgkmcnt(0)
	;;#ASMSTART
	v_dot2_f32_f16 v0, v1, v5, v0
	;;#ASMEND
	;;#ASMSTART
	v_dot2_f32_f16 v0, v2, v6, v0
	;;#ASMEND
	;;#ASMSTART
	v_dot2_f32_f16 v0, v3, v7, v0
	;;#ASMEND
	;;#ASMSTART
	v_dot2_f32_f16 v0, v4, v8, v0
	;;#ASMEND
	ds_load_b128 v[1:4], v57 offset:16
	ds_load_b128 v[5:8], v58 offset:3280
	s_waitcnt lgkmcnt(0)
	;;#ASMSTART
	v_dot2_f32_f16 v0, v1, v5, v0
	;;#ASMEND
	;;#ASMSTART
	v_dot2_f32_f16 v0, v2, v6, v0
	;;#ASMEND
	;;#ASMSTART
	v_dot2_f32_f16 v0, v3, v7, v0
	;;#ASMEND
	;;#ASMSTART
	v_dot2_f32_f16 v0, v4, v8, v0
	;;#ASMEND
	ds_load_b128 v[1:4], v57 offset:32
	ds_load_b128 v[5:8], v58 offset:3296
	;; [unrolled: 15-line block ×4, first 2 shown]
	s_waitcnt lgkmcnt(0)
	;;#ASMSTART
	v_dot2_f32_f16 v0, v1, v5, v0
	;;#ASMEND
	;;#ASMSTART
	v_dot2_f32_f16 v0, v2, v6, v0
	;;#ASMEND
	;; [unrolled: 3-line block ×4, first 2 shown]
	s_barrier
	buffer_gl0_inv
	s_and_saveexec_b32 s21, vcc_lo
	s_cbranch_execz .LBB13_17
; %bb.16:                               ;   in Loop: Header=BB13_11 Depth=1
	v_add_co_u32 v1, s6, s7, v42
	s_delay_alu instid0(VALU_DEP_1)
	v_add_co_ci_u32_e64 v2, s6, s8, v43, s6
	global_load_b128 v[1:4], v[1:2], off offset:144
	s_waitcnt vmcnt(0)
	ds_store_b128 v59, v[1:4]
.LBB13_17:                              ;   in Loop: Header=BB13_11 Depth=1
	s_or_b32 exec_lo, exec_lo, s21
	s_and_saveexec_b32 s21, s3
	s_cbranch_execz .LBB13_19
; %bb.18:                               ;   in Loop: Header=BB13_11 Depth=1
	v_add_co_u32 v1, s6, s7, v44
	s_delay_alu instid0(VALU_DEP_1) | instskip(NEXT) | instid1(VALU_DEP_2)
	v_add_co_ci_u32_e64 v2, s6, s8, v45, s6
	v_add_co_u32 v1, s6, v1, v68
	s_delay_alu instid0(VALU_DEP_1)
	v_add_co_ci_u32_e64 v2, s6, 0, v2, s6
	global_load_b128 v[1:4], v[1:2], off offset:80
	s_waitcnt vmcnt(0)
	ds_store_b128 v60, v[1:4]
.LBB13_19:                              ;   in Loop: Header=BB13_11 Depth=1
	s_or_b32 exec_lo, exec_lo, s21
	s_waitcnt lgkmcnt(0)
	s_barrier
	buffer_gl0_inv
	ds_load_b128 v[1:4], v57
	ds_load_b128 v[5:8], v58 offset:3344
	v_add_nc_u32_e32 v9, s22, v41
	v_xor_b32_e32 v70, 16, v53
	v_xor_b32_e32 v72, 8, v53
	;; [unrolled: 1-line block ×4, first 2 shown]
	v_ashrrev_i32_e32 v10, 31, v9
	v_xor_b32_e32 v75, 1, v53
	s_mul_hi_i32 s7, s22, s23
	v_lshlrev_b32_e32 v79, 2, v62
	s_waitcnt lgkmcnt(0)
	;;#ASMSTART
	v_dot2_f32_f16 v0, v1, v5, v0
	;;#ASMEND
	;;#ASMSTART
	v_dot2_f32_f16 v0, v2, v6, v0
	;;#ASMEND
	;; [unrolled: 3-line block ×4, first 2 shown]
	ds_load_b128 v[1:4], v57 offset:16
	ds_load_b128 v[5:8], v58 offset:3360
	v_lshlrev_b64 v[9:10], 1, v[9:10]
	s_waitcnt lgkmcnt(0)
	;;#ASMSTART
	v_dot2_f32_f16 v0, v1, v5, v0
	;;#ASMEND
	;;#ASMSTART
	v_dot2_f32_f16 v0, v2, v6, v0
	;;#ASMEND
	;;#ASMSTART
	v_dot2_f32_f16 v0, v3, v7, v0
	;;#ASMEND
	;;#ASMSTART
	v_dot2_f32_f16 v0, v4, v8, v0
	;;#ASMEND
	ds_load_b128 v[1:4], v57 offset:32
	ds_load_b128 v[5:8], v58 offset:3376
	v_add_co_u32 v9, s6, s36, v9
	s_delay_alu instid0(VALU_DEP_1)
	v_add_co_ci_u32_e64 v10, s6, s37, v10, s6
	v_cmp_gt_i32_e64 s6, 32, v70
	s_waitcnt lgkmcnt(0)
	;;#ASMSTART
	v_dot2_f32_f16 v0, v1, v5, v0
	;;#ASMEND
	;;#ASMSTART
	v_dot2_f32_f16 v0, v2, v6, v0
	;;#ASMEND
	;; [unrolled: 3-line block ×4, first 2 shown]
	ds_load_b128 v[1:4], v57 offset:48
	ds_load_b128 v[5:8], v58 offset:3392
	s_waitcnt lgkmcnt(0)
	;;#ASMSTART
	v_dot2_f32_f16 v0, v1, v5, v0
	;;#ASMEND
	;;#ASMSTART
	v_dot2_f32_f16 v0, v2, v6, v0
	;;#ASMEND
	;; [unrolled: 3-line block ×4, first 2 shown]
	ds_load_b128 v[1:4], v57 offset:64
	ds_load_b128 v[5:8], v58 offset:3408
	s_waitcnt lgkmcnt(0)
	;;#ASMSTART
	v_dot2_f32_f16 v0, v1, v5, v0
	;;#ASMEND
	;;#ASMSTART
	v_dot2_f32_f16 v0, v2, v6, v0
	;;#ASMEND
	;;#ASMSTART
	v_dot2_f32_f16 v0, v3, v7, v0
	;;#ASMEND
	;;#ASMSTART
	v_dot2_f32_f16 v0, v4, v8, v0
	;;#ASMEND
	flat_load_u16 v1, v[9:10]
	v_cndmask_b32_e64 v2, v53, v70, s6
	v_cmp_gt_i32_e64 s6, 32, v72
	s_waitcnt vmcnt(0) lgkmcnt(0)
	s_barrier
	buffer_gl0_inv
	v_lshlrev_b32_e32 v2, 2, v2
	v_cvt_f32_f16_e32 v1, v1
	s_delay_alu instid0(VALU_DEP_1) | instskip(NEXT) | instid1(VALU_DEP_1)
	v_dual_add_f32 v0, v0, v1 :: v_dual_max_f32 v1, v71, v71
	v_add_f32_e32 v3, 0x40051340, v0
	s_delay_alu instid0(VALU_DEP_1)
	v_max_f32_e32 v1, v1, v3
	v_cndmask_b32_e64 v3, v53, v72, s6
	v_cmp_gt_i32_e64 s6, 32, v73
	ds_bpermute_b32 v2, v2, v1
	s_waitcnt lgkmcnt(0)
	v_dual_max_f32 v2, v2, v2 :: v_dual_lshlrev_b32 v3, 2, v3
	s_delay_alu instid0(VALU_DEP_1) | instskip(SKIP_4) | instid1(VALU_DEP_2)
	v_max_f32_e32 v1, v1, v2
	ds_bpermute_b32 v2, v3, v1
	v_cndmask_b32_e64 v3, v53, v73, s6
	v_cmp_gt_i32_e64 s6, 32, v74
	s_waitcnt lgkmcnt(0)
	v_dual_max_f32 v2, v2, v2 :: v_dual_lshlrev_b32 v3, 2, v3
	s_delay_alu instid0(VALU_DEP_1) | instskip(SKIP_4) | instid1(VALU_DEP_2)
	v_max_f32_e32 v1, v1, v2
	ds_bpermute_b32 v2, v3, v1
	v_cndmask_b32_e64 v3, v53, v74, s6
	v_cmp_gt_i32_e64 s6, 32, v75
	s_waitcnt lgkmcnt(0)
	v_dual_max_f32 v2, v2, v2 :: v_dual_lshlrev_b32 v3, 2, v3
	s_delay_alu instid0(VALU_DEP_1) | instskip(SKIP_4) | instid1(VALU_DEP_1)
	v_max_f32_e32 v1, v1, v2
	ds_bpermute_b32 v2, v3, v1
	v_cndmask_b32_e64 v3, v53, v75, s6
	s_waitcnt lgkmcnt(0)
	v_max_f32_e32 v2, v2, v2
	v_max_f32_e32 v1, v1, v2
	s_delay_alu instid0(VALU_DEP_3) | instskip(SKIP_3) | instid1(VALU_DEP_1)
	v_lshlrev_b32_e32 v3, 2, v3
	ds_bpermute_b32 v2, v3, v1
	s_waitcnt lgkmcnt(0)
	v_max_f32_e32 v2, v2, v2
	v_max_f32_e32 v50, v1, v2
	s_delay_alu instid0(VALU_DEP_1) | instskip(NEXT) | instid1(VALU_DEP_1)
	v_sub_f32_e32 v0, v0, v50
	v_mul_f32_e32 v1, 0x3fb8aa3b, v0
	s_delay_alu instid0(VALU_DEP_1) | instskip(SKIP_1) | instid1(VALU_DEP_1)
	v_fma_f32 v2, 0x3fb8aa3b, v0, -v1
	v_rndne_f32_e32 v3, v1
	v_dual_sub_f32 v1, v1, v3 :: v_dual_fmac_f32 v2, 0x32a5705f, v0
	v_cmp_ngt_f32_e64 s6, 0xc2ce8ed0, v0
	s_delay_alu instid0(VALU_DEP_2) | instskip(SKIP_1) | instid1(VALU_DEP_2)
	v_add_f32_e32 v1, v1, v2
	v_cvt_i32_f32_e32 v2, v3
	v_exp_f32_e32 v1, v1
	s_waitcnt_depctr 0xfff
	v_ldexp_f32 v1, v1, v2
	s_delay_alu instid0(VALU_DEP_1) | instskip(SKIP_1) | instid1(VALU_DEP_1)
	v_cndmask_b32_e64 v1, 0, v1, s6
	v_cmp_nlt_f32_e64 s6, 0x42b17218, v0
	v_cndmask_b32_e64 v76, 0x7f800000, v1, s6
	s_mul_i32 s6, s22, s23
	s_delay_alu instid0(SALU_CYCLE_1) | instskip(NEXT) | instid1(VALU_DEP_1)
	s_lshl_b64 s[38:39], s[6:7], 2
	v_cvt_f16_f32_e32 v0, v76
	s_add_u32 s7, s20, s38
	s_addc_u32 s8, s9, s39
	ds_store_b16 v63, v0
	s_and_saveexec_b32 s21, s4
	s_cbranch_execz .LBB13_21
; %bb.20:                               ;   in Loop: Header=BB13_11 Depth=1
	v_add_co_u32 v0, s6, s7, v46
	s_delay_alu instid0(VALU_DEP_1) | instskip(NEXT) | instid1(VALU_DEP_2)
	v_add_co_ci_u32_e64 v1, s6, s8, v47, s6
	v_add_co_u32 v0, s6, v0, v79
	s_delay_alu instid0(VALU_DEP_1)
	v_add_co_ci_u32_e64 v1, s6, 0, v1, s6
	global_load_b128 v[0:3], v[0:1], off offset:128
	s_waitcnt vmcnt(0)
	ds_store_b128 v66, v[0:3]
.LBB13_21:                              ;   in Loop: Header=BB13_11 Depth=1
	s_or_b32 exec_lo, exec_lo, s21
	v_lshlrev_b32_e32 v80, 2, v64
	s_and_saveexec_b32 s21, s5
	s_cbranch_execz .LBB13_23
; %bb.22:                               ;   in Loop: Header=BB13_11 Depth=1
	v_add_co_u32 v0, s6, s7, v48
	s_delay_alu instid0(VALU_DEP_1) | instskip(NEXT) | instid1(VALU_DEP_2)
	v_add_co_ci_u32_e64 v1, s6, s8, v49, s6
	v_add_co_u32 v0, s6, v0, v80
	s_delay_alu instid0(VALU_DEP_1)
	v_add_co_ci_u32_e64 v1, s6, 0, v1, s6
	global_load_b128 v[0:3], v[0:1], off
	s_waitcnt vmcnt(0)
	ds_store_b128 v67, v[0:3]
.LBB13_23:                              ;   in Loop: Header=BB13_11 Depth=1
	s_or_b32 exec_lo, exec_lo, s21
	v_dual_sub_f32 v71, v71, v50 :: v_dual_add_nc_u32 v78, 0x400, v65
	v_add_nc_u32_e32 v77, 0x800, v65
	s_waitcnt lgkmcnt(0)
	s_barrier
	buffer_gl0_inv
	ds_load_2addr_b64 v[20:23], v65 offset1:20
	ds_load_b128 v[12:15], v61
	ds_load_b128 v[0:3], v61 offset:16
	ds_load_2addr_b64 v[28:31], v65 offset0:40 offset1:60
	ds_load_2addr_b64 v[24:27], v65 offset0:80 offset1:100
	;; [unrolled: 1-line block ×7, first 2 shown]
	s_or_b32 s8, s22, 16
	v_cmp_ngt_f32_e64 s6, 0xc2ce8ed0, v71
	s_mul_hi_i32 s39, s8, s23
	s_mul_i32 s38, s8, s23
	v_cmp_nlt_f32_e64 s7, 0x42b17218, v71
	s_lshl_b64 s[38:39], s[38:39], 2
	s_waitcnt lgkmcnt(0)
	s_add_u32 s21, s20, s38
	s_addc_u32 s27, s9, s39
	s_barrier
	buffer_gl0_inv
	s_and_saveexec_b32 s33, s4
	s_cbranch_execz .LBB13_25
; %bb.24:                               ;   in Loop: Header=BB13_11 Depth=1
	v_add_co_u32 v81, s8, s21, v46
	s_delay_alu instid0(VALU_DEP_1) | instskip(NEXT) | instid1(VALU_DEP_2)
	v_add_co_ci_u32_e64 v82, s8, s27, v47, s8
	v_add_co_u32 v81, s8, v81, v79
	s_delay_alu instid0(VALU_DEP_1)
	v_add_co_ci_u32_e64 v82, s8, 0, v82, s8
	global_load_b128 v[81:84], v[81:82], off offset:128
	s_waitcnt vmcnt(0)
	ds_store_b128 v66, v[81:84]
.LBB13_25:                              ;   in Loop: Header=BB13_11 Depth=1
	s_or_b32 exec_lo, exec_lo, s33
	s_and_saveexec_b32 s33, s5
	s_cbranch_execz .LBB13_27
; %bb.26:                               ;   in Loop: Header=BB13_11 Depth=1
	v_add_co_u32 v79, s8, s21, v48
	s_delay_alu instid0(VALU_DEP_1) | instskip(NEXT) | instid1(VALU_DEP_2)
	v_add_co_ci_u32_e64 v81, s8, s27, v49, s8
	v_add_co_u32 v79, s8, v79, v80
	s_delay_alu instid0(VALU_DEP_1)
	v_add_co_ci_u32_e64 v80, s8, 0, v81, s8
	global_load_b128 v[79:82], v[79:80], off
	s_waitcnt vmcnt(0)
	ds_store_b128 v67, v[79:82]
.LBB13_27:                              ;   in Loop: Header=BB13_11 Depth=1
	s_or_b32 exec_lo, exec_lo, s33
	v_mul_f32_e32 v79, 0x3fb8aa3b, v71
	v_pk_mul_f16 v20, v20, v12 op_sel_hi:[1,0]
	v_pk_mul_f16 v21, v21, v12 op_sel_hi:[1,0]
	s_waitcnt lgkmcnt(0)
	s_barrier
	v_fma_f32 v80, 0x3fb8aa3b, v71, -v79
	v_rndne_f32_e32 v81, v79
	buffer_gl0_inv
	v_dual_fmac_f32 v80, 0x32a5705f, v71 :: v_dual_sub_f32 v71, v79, v81
	v_cvt_i32_f32_e32 v79, v81
	s_delay_alu instid0(VALU_DEP_2) | instskip(NEXT) | instid1(VALU_DEP_1)
	v_add_f32_e32 v71, v71, v80
	v_exp_f32_e32 v71, v71
	s_waitcnt_depctr 0xfff
	v_ldexp_f32 v71, v71, v79
	s_delay_alu instid0(VALU_DEP_1) | instskip(NEXT) | instid1(VALU_DEP_1)
	v_cndmask_b32_e64 v71, 0, v71, s6
	v_cndmask_b32_e64 v71, 0x7f800000, v71, s7
	s_delay_alu instid0(VALU_DEP_1) | instskip(SKIP_1) | instid1(VALU_DEP_2)
	v_cvt_f16_f32_e32 v79, v71
	v_fmac_f32_e32 v76, v69, v71
	v_pk_fma_f16 v20, v54, v79, v20 op_sel_hi:[1,0,1]
	v_pk_fma_f16 v21, v56, v79, v21 op_sel_hi:[1,0,1]
	s_delay_alu instid0(VALU_DEP_2) | instskip(NEXT) | instid1(VALU_DEP_2)
	v_pk_fma_f16 v20, v22, v12, v20 op_sel:[0,1,0]
	v_pk_fma_f16 v12, v23, v12, v21 op_sel:[0,1,0]
	s_delay_alu instid0(VALU_DEP_2) | instskip(NEXT) | instid1(VALU_DEP_2)
	v_pk_fma_f16 v20, v28, v13, v20 op_sel_hi:[1,0,1]
	v_pk_fma_f16 v12, v29, v13, v12 op_sel_hi:[1,0,1]
	s_delay_alu instid0(VALU_DEP_2) | instskip(NEXT) | instid1(VALU_DEP_2)
	v_pk_fma_f16 v20, v30, v13, v20 op_sel:[0,1,0]
	v_pk_fma_f16 v12, v31, v13, v12 op_sel:[0,1,0]
	s_delay_alu instid0(VALU_DEP_2) | instskip(NEXT) | instid1(VALU_DEP_2)
	;; [unrolled: 6-line block ×5, first 2 shown]
	v_pk_fma_f16 v12, v16, v1, v13 op_sel_hi:[1,0,1]
	v_pk_fma_f16 v0, v17, v1, v0 op_sel_hi:[1,0,1]
	s_delay_alu instid0(VALU_DEP_2) | instskip(NEXT) | instid1(VALU_DEP_2)
	v_pk_fma_f16 v16, v18, v1, v12 op_sel:[0,1,0]
	v_pk_fma_f16 v0, v19, v1, v0 op_sel:[0,1,0]
	ds_load_2addr_b64 v[12:15], v65 offset1:20
	v_pk_fma_f16 v1, v8, v2, v16 op_sel_hi:[1,0,1]
	ds_load_b128 v[16:19], v61 offset:32
	v_pk_fma_f16 v0, v9, v2, v0 op_sel_hi:[1,0,1]
	v_pk_fma_f16 v1, v10, v2, v1 op_sel:[0,1,0]
	s_delay_alu instid0(VALU_DEP_2) | instskip(SKIP_3) | instid1(VALU_DEP_2)
	v_pk_fma_f16 v0, v11, v2, v0 op_sel:[0,1,0]
	ds_load_2addr_b64 v[8:11], v65 offset0:40 offset1:60
	v_pk_fma_f16 v1, v4, v3, v1 op_sel_hi:[1,0,1]
	v_pk_fma_f16 v0, v5, v3, v0 op_sel_hi:[1,0,1]
	v_pk_fma_f16 v20, v6, v3, v1 op_sel:[0,1,0]
	s_delay_alu instid0(VALU_DEP_2)
	v_pk_fma_f16 v21, v7, v3, v0 op_sel:[0,1,0]
	ds_load_b128 v[0:3], v61 offset:48
	ds_load_2addr_b64 v[4:7], v65 offset0:80 offset1:100
	s_waitcnt lgkmcnt(3)
	v_pk_fma_f16 v12, v12, v16, v20 op_sel_hi:[1,0,1]
	v_pk_fma_f16 v13, v13, v16, v21 op_sel_hi:[1,0,1]
	s_delay_alu instid0(VALU_DEP_2) | instskip(NEXT) | instid1(VALU_DEP_2)
	v_pk_fma_f16 v20, v14, v16, v12 op_sel:[0,1,0]
	v_pk_fma_f16 v16, v15, v16, v13 op_sel:[0,1,0]
	ds_load_2addr_b64 v[12:15], v65 offset0:120 offset1:140
	s_waitcnt lgkmcnt(3)
	v_pk_fma_f16 v8, v8, v17, v20 op_sel_hi:[1,0,1]
	v_pk_fma_f16 v9, v9, v17, v16 op_sel_hi:[1,0,1]
	s_delay_alu instid0(VALU_DEP_2) | instskip(NEXT) | instid1(VALU_DEP_2)
	v_pk_fma_f16 v16, v10, v17, v8 op_sel:[0,1,0]
	v_pk_fma_f16 v17, v11, v17, v9 op_sel:[0,1,0]
	;; [unrolled: 7-line block ×5, first 2 shown]
	ds_load_2addr_b64 v[8:11], v77 offset0:24 offset1:44
	s_waitcnt lgkmcnt(0)
	s_barrier
	v_pk_fma_f16 v4, v4, v1, v16 op_sel_hi:[1,0,1]
	v_pk_fma_f16 v0, v5, v1, v0 op_sel_hi:[1,0,1]
	buffer_gl0_inv
	s_load_b32 s6, s[16:17], 0x4
	v_pk_fma_f16 v4, v6, v1, v4 op_sel:[0,1,0]
	v_pk_fma_f16 v0, v7, v1, v0 op_sel:[0,1,0]
	s_delay_alu instid0(VALU_DEP_2) | instskip(NEXT) | instid1(VALU_DEP_2)
	v_pk_fma_f16 v1, v12, v2, v4 op_sel_hi:[1,0,1]
	v_pk_fma_f16 v0, v13, v2, v0 op_sel_hi:[1,0,1]
	s_delay_alu instid0(VALU_DEP_2) | instskip(NEXT) | instid1(VALU_DEP_2)
	v_pk_fma_f16 v1, v14, v2, v1 op_sel:[0,1,0]
	v_pk_fma_f16 v0, v15, v2, v0 op_sel:[0,1,0]
	s_delay_alu instid0(VALU_DEP_2) | instskip(NEXT) | instid1(VALU_DEP_2)
	v_pk_fma_f16 v1, v8, v3, v1 op_sel_hi:[1,0,1]
	v_pk_fma_f16 v0, v9, v3, v0 op_sel_hi:[1,0,1]
	s_waitcnt lgkmcnt(0)
	s_lshl_b32 s6, s6, 5
	s_delay_alu instid0(VALU_DEP_2) | instskip(NEXT) | instid1(VALU_DEP_2)
	v_pk_fma_f16 v54, v10, v3, v1 op_sel:[0,1,0]
	v_pk_fma_f16 v56, v11, v3, v0 op_sel:[0,1,0]
	s_add_i32 s22, s6, s22
	s_delay_alu instid0(SALU_CYCLE_1)
	s_cmp_lt_i32 s22, s34
	s_cbranch_scc0 .LBB13_29
; %bb.28:                               ;   in Loop: Header=BB13_11 Depth=1
	v_mov_b32_e32 v71, v50
	v_mov_b32_e32 v69, v76
	s_branch .LBB13_11
.LBB13_29:
	v_mov_b32_e32 v3, v53
.LBB13_30:
	v_cmp_lt_i32_e32 vcc_lo, v70, v55
	s_cmp_eq_u64 s[24:25], 0
	s_cselect_b32 s3, -1, 0
	s_cmp_lg_u32 s14, 0
	v_cndmask_b32_e32 v0, v3, v70, vcc_lo
	v_cmp_lt_i32_e32 vcc_lo, v72, v55
	s_cselect_b32 s4, -1, 0
	s_delay_alu instid0(SALU_CYCLE_1) | instskip(SKIP_4) | instid1(VALU_DEP_2)
	s_or_b32 s3, s4, s3
	v_cndmask_b32_e32 v1, v3, v72, vcc_lo
	v_cmp_lt_i32_e32 vcc_lo, v73, v55
	v_cndmask_b32_e32 v2, v3, v73, vcc_lo
	v_cmp_lt_i32_e32 vcc_lo, v74, v55
	v_lshlrev_b32_e32 v2, 2, v2
	v_lshlrev_b32_e32 v1, 2, v1
	;; [unrolled: 1-line block ×3, first 2 shown]
	ds_bpermute_b32 v0, v0, v76
	s_waitcnt lgkmcnt(0)
	v_add_f32_e32 v0, v76, v0
	ds_bpermute_b32 v1, v1, v0
	s_waitcnt lgkmcnt(0)
	v_add_f32_e32 v0, v0, v1
	;; [unrolled: 3-line block ×3, first 2 shown]
	v_cndmask_b32_e32 v2, v3, v74, vcc_lo
	v_cmp_lt_i32_e32 vcc_lo, v75, v55
	s_delay_alu instid0(VALU_DEP_2) | instskip(SKIP_4) | instid1(VALU_DEP_1)
	v_lshlrev_b32_e32 v2, 2, v2
	ds_bpermute_b32 v1, v2, v0
	v_cndmask_b32_e32 v2, v3, v75, vcc_lo
	s_and_b32 vcc_lo, exec_lo, s3
	s_waitcnt lgkmcnt(0)
	v_dual_add_f32 v1, v0, v1 :: v_dual_lshlrev_b32 v2, 2, v2
	v_add_nc_u32_e32 v0, s15, v51
	ds_bpermute_b32 v2, v2, v1
	s_waitcnt lgkmcnt(0)
	v_add_f32_e32 v51, v1, v2
	s_cbranch_vccnz .LBB13_32
; %bb.31:
	v_ashrrev_i32_e32 v1, 31, v0
	s_delay_alu instid0(VALU_DEP_1) | instskip(NEXT) | instid1(VALU_DEP_1)
	v_lshlrev_b64 v[1:2], 2, v[0:1]
	v_add_co_u32 v1, vcc_lo, s24, v1
	s_delay_alu instid0(VALU_DEP_2) | instskip(SKIP_3) | instid1(VALU_DEP_1)
	v_add_co_ci_u32_e32 v2, vcc_lo, s25, v2, vcc_lo
	global_load_b32 v1, v[1:2], off
	s_waitcnt vmcnt(0)
	v_dual_max_f32 v2, v50, v50 :: v_dual_max_f32 v3, v1, v1
	v_max_f32_e32 v2, v2, v3
	s_delay_alu instid0(VALU_DEP_1) | instskip(NEXT) | instid1(VALU_DEP_1)
	v_sub_f32_e32 v1, v1, v2
	v_mul_f32_e32 v5, 0x3fb8aa3b, v1
	v_sub_f32_e32 v3, v50, v2
	v_mov_b32_e32 v50, v2
	s_delay_alu instid0(VALU_DEP_3) | instskip(NEXT) | instid1(VALU_DEP_3)
	v_rndne_f32_e32 v9, v5
	v_mul_f32_e32 v4, 0x3fb8aa3b, v3
	v_fma_f32 v8, 0x3fb8aa3b, v1, -v5
	s_delay_alu instid0(VALU_DEP_3) | instskip(NEXT) | instid1(VALU_DEP_3)
	v_sub_f32_e32 v5, v5, v9
	v_fma_f32 v6, 0x3fb8aa3b, v3, -v4
	v_rndne_f32_e32 v7, v4
	s_delay_alu instid0(VALU_DEP_4) | instskip(NEXT) | instid1(VALU_DEP_2)
	v_fmac_f32_e32 v8, 0x32a5705f, v1
	v_sub_f32_e32 v4, v4, v7
	s_delay_alu instid0(VALU_DEP_2) | instskip(SKIP_1) | instid1(VALU_DEP_2)
	v_dual_fmac_f32 v6, 0x32a5705f, v3 :: v_dual_add_f32 v5, v5, v8
	v_cmp_ngt_f32_e32 vcc_lo, 0xc2ce8ed0, v3
	v_add_f32_e32 v4, v4, v6
	s_delay_alu instid0(VALU_DEP_3) | instskip(SKIP_2) | instid1(VALU_DEP_3)
	v_exp_f32_e32 v5, v5
	v_cvt_i32_f32_e32 v6, v7
	v_cvt_i32_f32_e32 v7, v9
	v_exp_f32_e32 v4, v4
	s_waitcnt_depctr 0xfff
	v_ldexp_f32 v5, v5, v7
	v_ldexp_f32 v4, v4, v6
	s_delay_alu instid0(VALU_DEP_1) | instskip(SKIP_1) | instid1(VALU_DEP_4)
	v_cndmask_b32_e32 v4, 0, v4, vcc_lo
	v_cmp_ngt_f32_e32 vcc_lo, 0xc2ce8ed0, v1
	v_cndmask_b32_e32 v5, 0, v5, vcc_lo
	v_cmp_nlt_f32_e32 vcc_lo, 0x42b17218, v3
	s_delay_alu instid0(VALU_DEP_4) | instskip(SKIP_1) | instid1(VALU_DEP_2)
	v_cndmask_b32_e32 v3, 0x7f800000, v4, vcc_lo
	v_cmp_nlt_f32_e32 vcc_lo, 0x42b17218, v1
	v_cvt_f16_f32_e32 v4, v3
	v_cndmask_b32_e32 v1, 0x7f800000, v5, vcc_lo
	s_delay_alu instid0(VALU_DEP_2) | instskip(NEXT) | instid1(VALU_DEP_2)
	v_pk_mul_f16 v54, v4, v54 op_sel_hi:[0,1]
	v_fmac_f32_e32 v1, v51, v3
	v_pk_mul_f16 v56, v4, v56 op_sel_hi:[0,1]
	s_delay_alu instid0(VALU_DEP_2)
	v_mov_b32_e32 v51, v1
.LBB13_32:
	s_load_b32 s0, s[0:1], 0xd4
	s_mul_i32 s12, s12, s10
	s_delay_alu instid0(SALU_CYCLE_1) | instskip(NEXT) | instid1(VALU_DEP_1)
	v_add3_u32 v1, s12, s13, v52
	v_mad_u64_u32 v[2:3], null, v1, s11, v[0:1]
	s_waitcnt lgkmcnt(0)
	s_delay_alu instid0(VALU_DEP_1)
	v_mad_u64_u32 v[0:1], null, s0, v2, s[14:15]
	s_cmp_lg_u32 s0, 1
	s_cselect_b32 s0, -1, 0
	s_and_saveexec_b32 s1, s2
	s_cbranch_execz .LBB13_34
; %bb.33:
	v_div_scale_f32 v1, null, v51, v51, 1.0
	v_div_scale_f32 v4, vcc_lo, 1.0, v51, 1.0
	v_lshrrev_b32_e32 v6, 16, v54
	s_delay_alu instid0(VALU_DEP_3) | instskip(SKIP_1) | instid1(VALU_DEP_2)
	v_rcp_f32_e32 v2, v1
	v_cvt_f32_f16_e32 v9, v54
	v_cvt_f32_f16_e32 v8, v6
	s_waitcnt_depctr 0xfff
	v_fma_f32 v3, -v1, v2, 1.0
	s_delay_alu instid0(VALU_DEP_1) | instskip(NEXT) | instid1(VALU_DEP_1)
	v_fmac_f32_e32 v2, v3, v2
	v_mul_f32_e32 v3, v4, v2
	s_delay_alu instid0(VALU_DEP_1) | instskip(NEXT) | instid1(VALU_DEP_1)
	v_fma_f32 v5, -v1, v3, v4
	v_fmac_f32_e32 v3, v5, v2
	s_delay_alu instid0(VALU_DEP_1) | instskip(SKIP_1) | instid1(VALU_DEP_2)
	v_fma_f32 v1, -v1, v3, v4
	v_lshrrev_b32_e32 v4, 16, v56
	v_div_fmas_f32 v1, v1, v2, v3
	v_mul_lo_u32 v3, 0x50, v0
	v_mov_b32_e32 v2, 0
	s_delay_alu instid0(VALU_DEP_4) | instskip(NEXT) | instid1(VALU_DEP_4)
	v_cvt_f32_f16_e32 v4, v4
	v_div_fixup_f32 v5, v1, v51, 1.0
	s_delay_alu instid0(VALU_DEP_4) | instskip(NEXT) | instid1(VALU_DEP_2)
	v_lshl_add_u32 v1, v40, 2, v3
	v_cndmask_b32_e64 v7, v5, 1.0, s0
	v_cvt_f32_f16_e32 v3, v56
	s_delay_alu instid0(VALU_DEP_3) | instskip(NEXT) | instid1(VALU_DEP_3)
	v_lshlrev_b64 v[5:6], 2, v[1:2]
	v_mul_f32_e32 v4, v7, v4
	s_delay_alu instid0(VALU_DEP_3)
	v_mul_f32_e32 v3, v7, v3
	v_mul_f32_e32 v2, v7, v8
	;; [unrolled: 1-line block ×3, first 2 shown]
	v_add_co_u32 v5, vcc_lo, s28, v5
	v_add_co_ci_u32_e32 v6, vcc_lo, s29, v6, vcc_lo
	global_store_b128 v[5:6], v[1:4], off
.LBB13_34:
	s_or_b32 exec_lo, exec_lo, s1
	v_cmp_eq_u32_e32 vcc_lo, 0, v40
	s_and_b32 s0, vcc_lo, s0
	s_delay_alu instid0(SALU_CYCLE_1)
	s_and_saveexec_b32 s1, s0
	s_cbranch_execz .LBB13_36
; %bb.35:
	v_ashrrev_i32_e32 v1, 31, v0
	s_delay_alu instid0(VALU_DEP_1) | instskip(NEXT) | instid1(VALU_DEP_1)
	v_lshlrev_b64 v[0:1], 3, v[0:1]
	v_add_co_u32 v0, vcc_lo, s30, v0
	s_delay_alu instid0(VALU_DEP_2)
	v_add_co_ci_u32_e32 v1, vcc_lo, s31, v1, vcc_lo
	global_store_b64 v[0:1], v[50:51], off
.LBB13_36:
	s_nop 0
	s_sendmsg sendmsg(MSG_DEALLOC_VGPRS)
	s_endpgm
	.section	.rodata,"a",@progbits
	.p2align	6, 0x0
	.amdhsa_kernel _ZL15flash_attn_tileILi80ELi80ELi1ELi8ELb0EEvPKcS1_S1_S1_S1_PKiPfP15HIP_vector_typeIfLj2EEffffjfiS5_IjLj3EEiiiiiiiiiiiliiliiiiil
		.amdhsa_group_segment_fixed_size 5056
		.amdhsa_private_segment_fixed_size 0
		.amdhsa_kernarg_size 464
		.amdhsa_user_sgpr_count 13
		.amdhsa_user_sgpr_dispatch_ptr 0
		.amdhsa_user_sgpr_queue_ptr 0
		.amdhsa_user_sgpr_kernarg_segment_ptr 1
		.amdhsa_user_sgpr_dispatch_id 0
		.amdhsa_user_sgpr_private_segment_size 0
		.amdhsa_wavefront_size32 1
		.amdhsa_uses_dynamic_stack 0
		.amdhsa_enable_private_segment 0
		.amdhsa_system_sgpr_workgroup_id_x 1
		.amdhsa_system_sgpr_workgroup_id_y 1
		.amdhsa_system_sgpr_workgroup_id_z 1
		.amdhsa_system_sgpr_workgroup_info 0
		.amdhsa_system_vgpr_workitem_id 1
		.amdhsa_next_free_vgpr 85
		.amdhsa_next_free_sgpr 44
		.amdhsa_reserve_vcc 1
		.amdhsa_float_round_mode_32 0
		.amdhsa_float_round_mode_16_64 0
		.amdhsa_float_denorm_mode_32 3
		.amdhsa_float_denorm_mode_16_64 3
		.amdhsa_dx10_clamp 1
		.amdhsa_ieee_mode 1
		.amdhsa_fp16_overflow 0
		.amdhsa_workgroup_processor_mode 1
		.amdhsa_memory_ordered 1
		.amdhsa_forward_progress 0
		.amdhsa_shared_vgpr_count 0
		.amdhsa_exception_fp_ieee_invalid_op 0
		.amdhsa_exception_fp_denorm_src 0
		.amdhsa_exception_fp_ieee_div_zero 0
		.amdhsa_exception_fp_ieee_overflow 0
		.amdhsa_exception_fp_ieee_underflow 0
		.amdhsa_exception_fp_ieee_inexact 0
		.amdhsa_exception_int_div_zero 0
	.end_amdhsa_kernel
	.section	.text._ZL15flash_attn_tileILi80ELi80ELi1ELi8ELb0EEvPKcS1_S1_S1_S1_PKiPfP15HIP_vector_typeIfLj2EEffffjfiS5_IjLj3EEiiiiiiiiiiiliiliiiiil,"axG",@progbits,_ZL15flash_attn_tileILi80ELi80ELi1ELi8ELb0EEvPKcS1_S1_S1_S1_PKiPfP15HIP_vector_typeIfLj2EEffffjfiS5_IjLj3EEiiiiiiiiiiiliiliiiiil,comdat
.Lfunc_end13:
	.size	_ZL15flash_attn_tileILi80ELi80ELi1ELi8ELb0EEvPKcS1_S1_S1_S1_PKiPfP15HIP_vector_typeIfLj2EEffffjfiS5_IjLj3EEiiiiiiiiiiiliiliiiiil, .Lfunc_end13-_ZL15flash_attn_tileILi80ELi80ELi1ELi8ELb0EEvPKcS1_S1_S1_S1_PKiPfP15HIP_vector_typeIfLj2EEffffjfiS5_IjLj3EEiiiiiiiiiiiliiliiiiil
                                        ; -- End function
	.section	.AMDGPU.csdata,"",@progbits
; Kernel info:
; codeLenInByte = 5708
; NumSgprs: 46
; NumVgprs: 85
; ScratchSize: 0
; MemoryBound: 0
; FloatMode: 240
; IeeeMode: 1
; LDSByteSize: 5056 bytes/workgroup (compile time only)
; SGPRBlocks: 5
; VGPRBlocks: 10
; NumSGPRsForWavesPerEU: 46
; NumVGPRsForWavesPerEU: 85
; Occupancy: 16
; WaveLimiterHint : 1
; COMPUTE_PGM_RSRC2:SCRATCH_EN: 0
; COMPUTE_PGM_RSRC2:USER_SGPR: 13
; COMPUTE_PGM_RSRC2:TRAP_HANDLER: 0
; COMPUTE_PGM_RSRC2:TGID_X_EN: 1
; COMPUTE_PGM_RSRC2:TGID_Y_EN: 1
; COMPUTE_PGM_RSRC2:TGID_Z_EN: 1
; COMPUTE_PGM_RSRC2:TIDIG_COMP_CNT: 1
	.section	.text._ZL25flash_attn_mask_to_KV_maxILi1EEvPK7__half2Piiii,"axG",@progbits,_ZL25flash_attn_mask_to_KV_maxILi1EEvPK7__half2Piiii,comdat
	.globl	_ZL25flash_attn_mask_to_KV_maxILi1EEvPK7__half2Piiii ; -- Begin function _ZL25flash_attn_mask_to_KV_maxILi1EEvPK7__half2Piiii
	.p2align	8
	.type	_ZL25flash_attn_mask_to_KV_maxILi1EEvPK7__half2Piiii,@function
_ZL25flash_attn_mask_to_KV_maxILi1EEvPK7__half2Piiii: ; @_ZL25flash_attn_mask_to_KV_maxILi1EEvPK7__half2Piiii
; %bb.0:
	s_load_b128 s[4:7], s[0:1], 0x0
	s_mov_b32 s2, exec_lo
	v_cmpx_gt_u32_e32 32, v0
	s_cbranch_execz .LBB14_2
; %bb.1:
	v_dual_mov_b32 v2, 1 :: v_dual_lshlrev_b32 v1, 2, v0
	ds_store_b32 v1, v2
.LBB14_2:
	s_or_b32 exec_lo, exec_lo, s2
	s_clause 0x1
	s_load_b128 s[8:11], s[0:1], 0x10
	s_load_b32 s1, s[0:1], 0x20
	v_dual_mov_b32 v2, 0 :: v_dual_and_b32 v1, 31, v0
	v_lshrrev_b32_e32 v3, 3, v0
	s_waitcnt lgkmcnt(0)
	s_barrier
	s_delay_alu instid0(VALU_DEP_2) | instskip(SKIP_3) | instid1(SALU_CYCLE_1)
	v_lshlrev_b32_e32 v4, 2, v1
	buffer_gl0_inv
	s_mul_i32 s0, s15, s10
	s_mul_i32 s2, s14, s9
	s_add_i32 s2, s0, s2
	v_cmp_eq_u32_e64 s0, 0, v1
	s_ashr_i32 s3, s2, 31
	s_delay_alu instid0(SALU_CYCLE_1) | instskip(NEXT) | instid1(SALU_CYCLE_1)
	s_lshl_b64 s[10:11], s[2:3], 2
	s_add_u32 s3, s4, s10
	s_addc_u32 s4, s5, s11
	s_lshl_b32 s5, s8, 8
	s_branch .LBB14_4
	.p2align	6
.LBB14_3:                               ;   in Loop: Header=BB14_4 Depth=1
	s_or_b32 exec_lo, exec_lo, s9
	s_waitcnt lgkmcnt(0)
	s_barrier
	buffer_gl0_inv
	ds_load_b32 v1, v4
	s_waitcnt lgkmcnt(0)
	s_barrier
	buffer_gl0_inv
	;;#ASMSTART
	;;#ASMEND
	v_cmp_ne_u32_e32 vcc_lo, 0, v1
	s_cmp_lg_u32 vcc_lo, exec_lo
	s_cselect_b32 s8, -1, 0
	s_delay_alu instid0(SALU_CYCLE_1)
	s_and_b32 vcc_lo, exec_lo, s8
	s_cbranch_vccnz .LBB14_8
.LBB14_4:                               ; =>This Inner Loop Header: Depth=1
	s_mov_b32 s2, s5
	s_addk_i32 s5, 0xff00
	s_delay_alu instid0(SALU_CYCLE_1)
	s_cmp_lt_i32 s5, 0
	s_cbranch_scc1 .LBB14_7
; %bb.5:                                ;   in Loop: Header=BB14_4 Depth=1
	s_lshr_b32 s9, s5, 1
	s_mov_b32 s8, exec_lo
	v_add_nc_u32_e32 v1, s9, v0
	s_delay_alu instid0(VALU_DEP_1) | instskip(NEXT) | instid1(VALU_DEP_1)
	v_lshlrev_b64 v[5:6], 2, v[1:2]
	v_add_co_u32 v5, vcc_lo, s3, v5
	s_delay_alu instid0(VALU_DEP_2) | instskip(SKIP_4) | instid1(VALU_DEP_2)
	v_add_co_ci_u32_e32 v6, vcc_lo, s4, v6, vcc_lo
	global_load_b32 v1, v[5:6], off
	s_waitcnt vmcnt(0)
	v_lshrrev_b32_e32 v5, 16, v1
	v_cmp_class_f16_e64 s9, v1, 0x204
	v_and_b32_e32 v5, 0x7fff, v5
	s_delay_alu instid0(VALU_DEP_1) | instskip(NEXT) | instid1(VALU_DEP_3)
	v_cmp_eq_f16_e32 vcc_lo, 0x7c00, v5
	s_and_b32 s9, s9, vcc_lo
	s_delay_alu instid0(SALU_CYCLE_1) | instskip(SKIP_1) | instid1(VALU_DEP_1)
	v_cndmask_b32_e64 v1, 0, 1, s9
	;;#ASMSTART
	;;#ASMEND
	v_cmp_ne_u32_e32 vcc_lo, 0, v1
	s_and_saveexec_b32 s9, s0
	s_cbranch_execz .LBB14_3
; %bb.6:                                ;   in Loop: Header=BB14_4 Depth=1
	s_cmp_eq_u32 vcc_lo, s8
	s_cselect_b32 s8, -1, 0
	s_delay_alu instid0(SALU_CYCLE_1)
	v_cndmask_b32_e64 v1, 0, 1, s8
	ds_store_b32 v3, v1
	s_branch .LBB14_3
.LBB14_7:                               ;   in Loop: Header=BB14_4 Depth=1
                                        ; implicit-def: $sgpr5
	s_cbranch_execz .LBB14_4
.LBB14_8:
	s_mov_b32 s0, exec_lo
	v_cmpx_eq_u32_e32 0, v0
	s_cbranch_execz .LBB14_10
; %bb.9:
	s_mul_i32 s0, s1, s15
	v_dual_mov_b32 v0, 0 :: v_dual_mov_b32 v1, s2
	s_add_i32 s0, s0, s14
	s_delay_alu instid0(SALU_CYCLE_1) | instskip(NEXT) | instid1(SALU_CYCLE_1)
	s_ashr_i32 s1, s0, 31
	s_lshl_b64 s[0:1], s[0:1], 2
	s_delay_alu instid0(SALU_CYCLE_1)
	s_add_u32 s0, s6, s0
	s_addc_u32 s1, s7, s1
	global_store_b32 v0, v1, s[0:1]
.LBB14_10:
	s_nop 0
	s_sendmsg sendmsg(MSG_DEALLOC_VGPRS)
	s_endpgm
	.section	.rodata,"a",@progbits
	.p2align	6, 0x0
	.amdhsa_kernel _ZL25flash_attn_mask_to_KV_maxILi1EEvPK7__half2Piiii
		.amdhsa_group_segment_fixed_size 128
		.amdhsa_private_segment_fixed_size 0
		.amdhsa_kernarg_size 288
		.amdhsa_user_sgpr_count 14
		.amdhsa_user_sgpr_dispatch_ptr 0
		.amdhsa_user_sgpr_queue_ptr 0
		.amdhsa_user_sgpr_kernarg_segment_ptr 1
		.amdhsa_user_sgpr_dispatch_id 0
		.amdhsa_user_sgpr_private_segment_size 0
		.amdhsa_wavefront_size32 1
		.amdhsa_uses_dynamic_stack 0
		.amdhsa_enable_private_segment 0
		.amdhsa_system_sgpr_workgroup_id_x 1
		.amdhsa_system_sgpr_workgroup_id_y 1
		.amdhsa_system_sgpr_workgroup_id_z 0
		.amdhsa_system_sgpr_workgroup_info 0
		.amdhsa_system_vgpr_workitem_id 0
		.amdhsa_next_free_vgpr 7
		.amdhsa_next_free_sgpr 16
		.amdhsa_reserve_vcc 1
		.amdhsa_float_round_mode_32 0
		.amdhsa_float_round_mode_16_64 0
		.amdhsa_float_denorm_mode_32 3
		.amdhsa_float_denorm_mode_16_64 3
		.amdhsa_dx10_clamp 1
		.amdhsa_ieee_mode 1
		.amdhsa_fp16_overflow 0
		.amdhsa_workgroup_processor_mode 1
		.amdhsa_memory_ordered 1
		.amdhsa_forward_progress 0
		.amdhsa_shared_vgpr_count 0
		.amdhsa_exception_fp_ieee_invalid_op 0
		.amdhsa_exception_fp_denorm_src 0
		.amdhsa_exception_fp_ieee_div_zero 0
		.amdhsa_exception_fp_ieee_overflow 0
		.amdhsa_exception_fp_ieee_underflow 0
		.amdhsa_exception_fp_ieee_inexact 0
		.amdhsa_exception_int_div_zero 0
	.end_amdhsa_kernel
	.section	.text._ZL25flash_attn_mask_to_KV_maxILi1EEvPK7__half2Piiii,"axG",@progbits,_ZL25flash_attn_mask_to_KV_maxILi1EEvPK7__half2Piiii,comdat
.Lfunc_end14:
	.size	_ZL25flash_attn_mask_to_KV_maxILi1EEvPK7__half2Piiii, .Lfunc_end14-_ZL25flash_attn_mask_to_KV_maxILi1EEvPK7__half2Piiii
                                        ; -- End function
	.section	.AMDGPU.csdata,"",@progbits
; Kernel info:
; codeLenInByte = 456
; NumSgprs: 18
; NumVgprs: 7
; ScratchSize: 0
; MemoryBound: 0
; FloatMode: 240
; IeeeMode: 1
; LDSByteSize: 128 bytes/workgroup (compile time only)
; SGPRBlocks: 2
; VGPRBlocks: 0
; NumSGPRsForWavesPerEU: 18
; NumVGPRsForWavesPerEU: 7
; Occupancy: 16
; WaveLimiterHint : 0
; COMPUTE_PGM_RSRC2:SCRATCH_EN: 0
; COMPUTE_PGM_RSRC2:USER_SGPR: 14
; COMPUTE_PGM_RSRC2:TRAP_HANDLER: 0
; COMPUTE_PGM_RSRC2:TGID_X_EN: 1
; COMPUTE_PGM_RSRC2:TGID_Y_EN: 1
; COMPUTE_PGM_RSRC2:TGID_Z_EN: 0
; COMPUTE_PGM_RSRC2:TIDIG_COMP_CNT: 0
	.section	.text._ZL33flash_attn_stream_k_fixup_uniformILi80ELi1ELi8EEvPfPK15HIP_vector_typeIfLj2EEiiiiiiS1_IjLj3EES5_S5_,"axG",@progbits,_ZL33flash_attn_stream_k_fixup_uniformILi80ELi1ELi8EEvPfPK15HIP_vector_typeIfLj2EEiiiiiiS1_IjLj3EES5_S5_,comdat
	.globl	_ZL33flash_attn_stream_k_fixup_uniformILi80ELi1ELi8EEvPfPK15HIP_vector_typeIfLj2EEiiiiiiS1_IjLj3EES5_S5_ ; -- Begin function _ZL33flash_attn_stream_k_fixup_uniformILi80ELi1ELi8EEvPfPK15HIP_vector_typeIfLj2EEiiiiiiS1_IjLj3EES5_S5_
	.p2align	8
	.type	_ZL33flash_attn_stream_k_fixup_uniformILi80ELi1ELi8EEvPfPK15HIP_vector_typeIfLj2EEiiiiiiS1_IjLj3EES5_S5_,@function
_ZL33flash_attn_stream_k_fixup_uniformILi80ELi1ELi8EEvPfPK15HIP_vector_typeIfLj2EEiiiiiiS1_IjLj3EES5_S5_: ; @_ZL33flash_attn_stream_k_fixup_uniformILi80ELi1ELi8EEvPfPK15HIP_vector_typeIfLj2EEiiiiiiS1_IjLj3EES5_S5_
; %bb.0:
	s_clause 0x1
	s_load_b256 s[4:11], s[0:1], 0x1c
	s_load_b128 s[16:19], s[0:1], 0x3c
	s_waitcnt lgkmcnt(0)
	s_mul_hi_u32 s2, s7, s13
	s_delay_alu instid0(SALU_CYCLE_1) | instskip(NEXT) | instid1(SALU_CYCLE_1)
	s_add_i32 s2, s13, s2
	s_lshr_b32 s7, s2, s8
	s_delay_alu instid0(SALU_CYCLE_1) | instskip(NEXT) | instid1(SALU_CYCLE_1)
	s_mul_i32 s2, s7, s9
	s_sub_i32 s9, s13, s2
	s_load_b64 s[2:3], s[0:1], 0x10
	s_mul_hi_u32 s8, s9, s10
	s_delay_alu instid0(SALU_CYCLE_1) | instskip(NEXT) | instid1(SALU_CYCLE_1)
	s_add_i32 s8, s9, s8
	s_lshr_b32 s8, s8, s11
	s_delay_alu instid0(SALU_CYCLE_1) | instskip(NEXT) | instid1(SALU_CYCLE_1)
	s_mul_i32 s10, s8, s16
	s_sub_i32 s9, s9, s10
	s_delay_alu instid0(SALU_CYCLE_1) | instskip(NEXT) | instid1(SALU_CYCLE_1)
	s_mul_hi_u32 s10, s9, s17
	s_add_i32 s10, s9, s10
	s_delay_alu instid0(SALU_CYCLE_1) | instskip(NEXT) | instid1(SALU_CYCLE_1)
	s_lshr_b32 s10, s10, s18
	s_mul_i32 s11, s10, s19
	s_lshl_b32 s10, s10, 3
	s_sub_i32 s9, s9, s11
	s_delay_alu instid0(SALU_CYCLE_1) | instskip(SKIP_4) | instid1(SALU_CYCLE_1)
	s_add_i32 s9, s9, s14
	s_waitcnt lgkmcnt(0)
	s_cmp_lt_i32 s9, s2
	s_cselect_b32 s11, -1, 0
	s_add_i32 s10, s10, s15
	s_cmp_lt_i32 s10, s5
	s_cselect_b32 s12, -1, 0
	s_delay_alu instid0(SALU_CYCLE_1) | instskip(NEXT) | instid1(SALU_CYCLE_1)
	s_and_b32 s11, s11, s12
	s_and_not1_b32 vcc_lo, exec_lo, s11
	s_cbranch_vccnz .LBB15_6
; %bb.1:
	s_mul_i32 s7, s7, s2
	s_mul_i32 s8, s8, s5
	s_add_i32 s2, s9, s7
	s_add_i32 s5, s10, s8
	s_mul_i32 s7, s2, s3
	s_load_b128 s[0:3], s[0:1], 0x0
	s_add_i32 s5, s5, s7
	s_delay_alu instid0(SALU_CYCLE_1) | instskip(SKIP_1) | instid1(SALU_CYCLE_1)
	v_mad_u64_u32 v[1:2], null, 0x50, s5, v[0:1]
	s_mul_i32 s5, s13, s6
	s_add_i32 s9, s5, s6
	s_delay_alu instid0(VALU_DEP_1) | instskip(NEXT) | instid1(VALU_DEP_1)
	v_ashrrev_i32_e32 v2, 31, v1
	v_lshlrev_b64 v[1:2], 2, v[1:2]
	s_waitcnt lgkmcnt(0)
	s_delay_alu instid0(VALU_DEP_1) | instskip(NEXT) | instid1(VALU_DEP_2)
	v_add_co_u32 v1, vcc_lo, s0, v1
	v_add_co_ci_u32_e32 v2, vcc_lo, s1, v2, vcc_lo
	s_add_i32 s0, s14, s9
	s_delay_alu instid0(SALU_CYCLE_1) | instskip(SKIP_2) | instid1(SALU_CYCLE_1)
	s_lshl_b32 s0, s0, 3
	global_load_b32 v5, v[1:2], off
	s_add_i32 s0, s0, s15
	s_add_i32 s0, s0, -8
	s_delay_alu instid0(SALU_CYCLE_1) | instskip(NEXT) | instid1(SALU_CYCLE_1)
	s_ashr_i32 s1, s0, 31
	s_lshl_b64 s[0:1], s[0:1], 3
	s_delay_alu instid0(SALU_CYCLE_1)
	s_add_u32 s0, s2, s0
	s_addc_u32 s1, s3, s1
	s_add_i32 s7, s9, -2
	s_load_b32 s10, s[0:1], 0x4
	s_cmp_lt_i32 s7, s5
	s_cbranch_scc1 .LBB15_4
; %bb.2:
	s_load_b32 s11, s[0:1], 0x0
	s_lshl_b32 s16, s4, 5
	s_waitcnt lgkmcnt(0)
	v_mov_b32_e32 v6, s10
	s_ashr_i32 s17, s16, 31
	s_delay_alu instid0(SALU_CYCLE_1) | instskip(NEXT) | instid1(SALU_CYCLE_1)
	s_lshl_b64 s[0:1], s[16:17], 2
	s_add_u32 s7, s2, s0
	s_addc_u32 s8, s3, s1
	s_add_i32 s13, s13, 1
	s_mul_i32 s1, s14, 0x280
	s_mul_i32 s0, s6, s13
	;; [unrolled: 1-line block ×3, first 2 shown]
	s_add_i32 s4, s14, s4
	s_mulk_i32 s0, 0x280
	s_add_i32 s1, s6, s1
	s_add_i32 s4, s4, s9
	;; [unrolled: 1-line block ×3, first 2 shown]
	s_lshl_b32 s0, s4, 3
	v_add3_u32 v3, s1, v0, 0xfffffb00
	v_mov_b32_e32 v0, s11
	s_add_i32 s0, s15, s0
	s_add_i32 s4, s9, -1
	s_add_i32 s0, s0, -16
.LBB15_3:                               ; =>This Inner Loop Header: Depth=1
	s_delay_alu instid0(VALU_DEP_2) | instskip(SKIP_1) | instid1(SALU_CYCLE_1)
	v_ashrrev_i32_e32 v4, 31, v3
	s_ashr_i32 s1, s0, 31
	s_lshl_b64 s[10:11], s[0:1], 3
	s_delay_alu instid0(SALU_CYCLE_1) | instskip(NEXT) | instid1(VALU_DEP_1)
	s_add_u32 s10, s2, s10
	v_lshlrev_b64 v[7:8], 2, v[3:4]
	s_addc_u32 s11, s3, s11
	s_add_i32 s4, s4, -1
	s_add_i32 s0, s0, -8
	s_cmp_le_i32 s4, s5
	s_load_b64 s[10:11], s[10:11], 0x0
	v_add_co_u32 v7, vcc_lo, s7, v7
	v_add_co_ci_u32_e32 v8, vcc_lo, s8, v8, vcc_lo
	global_load_b32 v4, v[7:8], off
	v_max_f32_e32 v7, v0, v0
	s_waitcnt lgkmcnt(0)
	v_max_f32_e64 v8, s10, s10
	s_delay_alu instid0(VALU_DEP_1) | instskip(NEXT) | instid1(VALU_DEP_1)
	v_max_f32_e32 v7, v7, v8
	v_sub_f32_e32 v8, s10, v7
	s_delay_alu instid0(VALU_DEP_1) | instskip(NEXT) | instid1(VALU_DEP_1)
	v_dual_sub_f32 v0, v0, v7 :: v_dual_mul_f32 v9, 0x3fb8aa3b, v8
	v_fma_f32 v10, 0x3fb8aa3b, v8, -v9
	v_rndne_f32_e32 v11, v9
	s_delay_alu instid0(VALU_DEP_3) | instskip(NEXT) | instid1(VALU_DEP_2)
	v_mul_f32_e32 v12, 0x3fb8aa3b, v0
	v_dual_fmac_f32 v10, 0x32a5705f, v8 :: v_dual_sub_f32 v9, v9, v11
	v_cvt_i32_f32_e32 v11, v11
	s_delay_alu instid0(VALU_DEP_3) | instskip(SKIP_1) | instid1(VALU_DEP_4)
	v_fma_f32 v13, 0x3fb8aa3b, v0, -v12
	v_rndne_f32_e32 v14, v12
	v_add_f32_e32 v9, v9, v10
	v_cmp_ngt_f32_e32 vcc_lo, 0xc2ce8ed0, v8
	s_delay_alu instid0(VALU_DEP_3) | instskip(NEXT) | instid1(VALU_DEP_3)
	v_sub_f32_e32 v10, v12, v14
	v_exp_f32_e32 v9, v9
	s_waitcnt_depctr 0xfff
	v_ldexp_f32 v9, v9, v11
	v_cvt_i32_f32_e32 v11, v14
	s_delay_alu instid0(VALU_DEP_2) | instskip(SKIP_1) | instid1(VALU_DEP_2)
	v_cndmask_b32_e32 v9, 0, v9, vcc_lo
	v_cmp_nlt_f32_e32 vcc_lo, 0x42b17218, v8
	v_cndmask_b32_e32 v9, 0x7f800000, v9, vcc_lo
	v_cmp_ngt_f32_e32 vcc_lo, 0xc2ce8ed0, v0
	v_fmac_f32_e32 v13, 0x32a5705f, v0
	s_delay_alu instid0(VALU_DEP_1) | instskip(NEXT) | instid1(VALU_DEP_1)
	v_add_f32_e32 v10, v10, v13
	v_exp_f32_e32 v10, v10
	s_waitcnt_depctr 0xfff
	v_ldexp_f32 v10, v10, v11
	s_delay_alu instid0(VALU_DEP_1)
	v_dual_mov_b32 v11, v6 :: v_dual_cndmask_b32 v10, 0, v10
	v_cmp_le_f32_e32 vcc_lo, 0xc1a00000, v8
	s_waitcnt vmcnt(1)
	v_dual_cndmask_b32 v8, 0, v9 :: v_dual_mov_b32 v9, v5
	v_cmp_nlt_f32_e32 vcc_lo, 0x42b17218, v0
	v_cndmask_b32_e32 v5, 0x7f800000, v10, vcc_lo
	s_delay_alu instid0(VALU_DEP_3) | instskip(SKIP_2) | instid1(VALU_DEP_3)
	v_mul_f32_e32 v10, s11, v8
	v_cmp_le_f32_e32 vcc_lo, 0xc1a00000, v0
	v_mov_b32_e32 v0, v7
	v_mov_b32_e32 v6, v10
	s_waitcnt vmcnt(0)
	v_dual_cndmask_b32 v12, 0, v5 :: v_dual_mul_f32 v5, v4, v8
	s_delay_alu instid0(VALU_DEP_1) | instskip(NEXT) | instid1(VALU_DEP_2)
	v_dual_fmac_f32 v6, v11, v12 :: v_dual_add_nc_u32 v3, 0xfffffd80, v3
	v_fmac_f32_e32 v5, v9, v12
	s_cbranch_scc0 .LBB15_3
	s_branch .LBB15_5
.LBB15_4:
	s_waitcnt lgkmcnt(0)
	v_mov_b32_e32 v6, s10
.LBB15_5:
	s_waitcnt vmcnt(0)
	s_delay_alu instid0(VALU_DEP_1) | instskip(NEXT) | instid1(VALU_DEP_1)
	v_div_scale_f32 v0, null, v6, v6, v5
	v_rcp_f32_e32 v3, v0
	s_waitcnt_depctr 0xfff
	v_fma_f32 v4, -v0, v3, 1.0
	s_delay_alu instid0(VALU_DEP_1) | instskip(SKIP_1) | instid1(VALU_DEP_1)
	v_fmac_f32_e32 v3, v4, v3
	v_div_scale_f32 v4, vcc_lo, v5, v6, v5
	v_mul_f32_e32 v7, v4, v3
	s_delay_alu instid0(VALU_DEP_1) | instskip(NEXT) | instid1(VALU_DEP_1)
	v_fma_f32 v8, -v0, v7, v4
	v_fmac_f32_e32 v7, v8, v3
	s_delay_alu instid0(VALU_DEP_1) | instskip(NEXT) | instid1(VALU_DEP_1)
	v_fma_f32 v0, -v0, v7, v4
	v_div_fmas_f32 v0, v0, v3, v7
	s_delay_alu instid0(VALU_DEP_1)
	v_div_fixup_f32 v0, v0, v6, v5
	global_store_b32 v[1:2], v0, off
.LBB15_6:
	s_nop 0
	s_sendmsg sendmsg(MSG_DEALLOC_VGPRS)
	s_endpgm
	.section	.rodata,"a",@progbits
	.p2align	6, 0x0
	.amdhsa_kernel _ZL33flash_attn_stream_k_fixup_uniformILi80ELi1ELi8EEvPfPK15HIP_vector_typeIfLj2EEiiiiiiS1_IjLj3EES5_S5_
		.amdhsa_group_segment_fixed_size 0
		.amdhsa_private_segment_fixed_size 0
		.amdhsa_kernarg_size 76
		.amdhsa_user_sgpr_count 13
		.amdhsa_user_sgpr_dispatch_ptr 0
		.amdhsa_user_sgpr_queue_ptr 0
		.amdhsa_user_sgpr_kernarg_segment_ptr 1
		.amdhsa_user_sgpr_dispatch_id 0
		.amdhsa_user_sgpr_private_segment_size 0
		.amdhsa_wavefront_size32 1
		.amdhsa_uses_dynamic_stack 0
		.amdhsa_enable_private_segment 0
		.amdhsa_system_sgpr_workgroup_id_x 1
		.amdhsa_system_sgpr_workgroup_id_y 1
		.amdhsa_system_sgpr_workgroup_id_z 1
		.amdhsa_system_sgpr_workgroup_info 0
		.amdhsa_system_vgpr_workitem_id 0
		.amdhsa_next_free_vgpr 15
		.amdhsa_next_free_sgpr 20
		.amdhsa_reserve_vcc 1
		.amdhsa_float_round_mode_32 0
		.amdhsa_float_round_mode_16_64 0
		.amdhsa_float_denorm_mode_32 3
		.amdhsa_float_denorm_mode_16_64 3
		.amdhsa_dx10_clamp 1
		.amdhsa_ieee_mode 1
		.amdhsa_fp16_overflow 0
		.amdhsa_workgroup_processor_mode 1
		.amdhsa_memory_ordered 1
		.amdhsa_forward_progress 0
		.amdhsa_shared_vgpr_count 0
		.amdhsa_exception_fp_ieee_invalid_op 0
		.amdhsa_exception_fp_denorm_src 0
		.amdhsa_exception_fp_ieee_div_zero 0
		.amdhsa_exception_fp_ieee_overflow 0
		.amdhsa_exception_fp_ieee_underflow 0
		.amdhsa_exception_fp_ieee_inexact 0
		.amdhsa_exception_int_div_zero 0
	.end_amdhsa_kernel
	.section	.text._ZL33flash_attn_stream_k_fixup_uniformILi80ELi1ELi8EEvPfPK15HIP_vector_typeIfLj2EEiiiiiiS1_IjLj3EES5_S5_,"axG",@progbits,_ZL33flash_attn_stream_k_fixup_uniformILi80ELi1ELi8EEvPfPK15HIP_vector_typeIfLj2EEiiiiiiS1_IjLj3EES5_S5_,comdat
.Lfunc_end15:
	.size	_ZL33flash_attn_stream_k_fixup_uniformILi80ELi1ELi8EEvPfPK15HIP_vector_typeIfLj2EEiiiiiiS1_IjLj3EES5_S5_, .Lfunc_end15-_ZL33flash_attn_stream_k_fixup_uniformILi80ELi1ELi8EEvPfPK15HIP_vector_typeIfLj2EEiiiiiiS1_IjLj3EES5_S5_
                                        ; -- End function
	.section	.AMDGPU.csdata,"",@progbits
; Kernel info:
; codeLenInByte = 976
; NumSgprs: 22
; NumVgprs: 15
; ScratchSize: 0
; MemoryBound: 0
; FloatMode: 240
; IeeeMode: 1
; LDSByteSize: 0 bytes/workgroup (compile time only)
; SGPRBlocks: 2
; VGPRBlocks: 1
; NumSGPRsForWavesPerEU: 22
; NumVGPRsForWavesPerEU: 15
; Occupancy: 16
; WaveLimiterHint : 0
; COMPUTE_PGM_RSRC2:SCRATCH_EN: 0
; COMPUTE_PGM_RSRC2:USER_SGPR: 13
; COMPUTE_PGM_RSRC2:TRAP_HANDLER: 0
; COMPUTE_PGM_RSRC2:TGID_X_EN: 1
; COMPUTE_PGM_RSRC2:TGID_Y_EN: 1
; COMPUTE_PGM_RSRC2:TGID_Z_EN: 1
; COMPUTE_PGM_RSRC2:TIDIG_COMP_CNT: 0
	.section	.text._ZL33flash_attn_stream_k_fixup_generalILi80ELi1ELi8EEvPfPK15HIP_vector_typeIfLj2EEiiiiS1_IjLj3EES5_S5_S5_,"axG",@progbits,_ZL33flash_attn_stream_k_fixup_generalILi80ELi1ELi8EEvPfPK15HIP_vector_typeIfLj2EEiiiiS1_IjLj3EES5_S5_S5_,comdat
	.globl	_ZL33flash_attn_stream_k_fixup_generalILi80ELi1ELi8EEvPfPK15HIP_vector_typeIfLj2EEiiiiS1_IjLj3EES5_S5_S5_ ; -- Begin function _ZL33flash_attn_stream_k_fixup_generalILi80ELi1ELi8EEvPfPK15HIP_vector_typeIfLj2EEiiiiS1_IjLj3EES5_S5_S5_
	.p2align	8
	.type	_ZL33flash_attn_stream_k_fixup_generalILi80ELi1ELi8EEvPfPK15HIP_vector_typeIfLj2EEiiiiS1_IjLj3EES5_S5_S5_,@function
_ZL33flash_attn_stream_k_fixup_generalILi80ELi1ELi8EEvPfPK15HIP_vector_typeIfLj2EEiiiiS1_IjLj3EES5_S5_S5_: ; @_ZL33flash_attn_stream_k_fixup_generalILi80ELi1ELi8EEvPfPK15HIP_vector_typeIfLj2EEiiiiS1_IjLj3EES5_S5_S5_
; %bb.0:
	s_clause 0x1
	s_load_b128 s[4:7], s[0:1], 0x10
	s_load_b32 s20, s[0:1], 0x50
	s_mov_b32 s2, 0
	s_waitcnt lgkmcnt(0)
	s_mul_hi_i32 s3, s7, s13
	s_mul_i32 s12, s7, s13
	s_cmp_lg_u64 s[2:3], 0
	s_cbranch_scc0 .LBB16_21
; %bb.1:
	v_cvt_f32_ubyte0_e32 v1, 0
	v_cvt_f32_u32_e32 v2, s20
	s_sub_u32 s10, 0, s20
	s_subb_u32 s11, 0, 0
	s_delay_alu instid0(VALU_DEP_1) | instskip(NEXT) | instid1(VALU_DEP_1)
	v_fmamk_f32 v1, v1, 0x4f800000, v2
	v_rcp_f32_e32 v1, v1
	s_waitcnt_depctr 0xfff
	v_mul_f32_e32 v1, 0x5f7ffffc, v1
	s_delay_alu instid0(VALU_DEP_1) | instskip(NEXT) | instid1(VALU_DEP_1)
	v_mul_f32_e32 v2, 0x2f800000, v1
	v_trunc_f32_e32 v2, v2
	s_delay_alu instid0(VALU_DEP_1) | instskip(SKIP_1) | instid1(VALU_DEP_2)
	v_fmamk_f32 v1, v2, 0xcf800000, v1
	v_cvt_u32_f32_e32 v2, v2
	v_cvt_u32_f32_e32 v1, v1
	s_delay_alu instid0(VALU_DEP_2) | instskip(NEXT) | instid1(VALU_DEP_2)
	v_readfirstlane_b32 s8, v2
	v_readfirstlane_b32 s9, v1
	s_delay_alu instid0(VALU_DEP_2) | instskip(NEXT) | instid1(VALU_DEP_1)
	s_mul_i32 s16, s10, s8
	s_mul_hi_u32 s18, s10, s9
	s_mul_i32 s17, s11, s9
	s_add_i32 s16, s18, s16
	s_mul_i32 s19, s10, s9
	s_add_i32 s16, s16, s17
	s_mul_hi_u32 s18, s9, s19
	s_mul_hi_u32 s21, s8, s19
	s_mul_i32 s17, s8, s19
	s_mul_hi_u32 s19, s9, s16
	s_mul_i32 s9, s9, s16
	s_mul_hi_u32 s22, s8, s16
	s_add_u32 s9, s18, s9
	s_addc_u32 s18, 0, s19
	s_add_u32 s9, s9, s17
	s_mul_i32 s16, s8, s16
	s_addc_u32 s9, s18, s21
	s_addc_u32 s17, s22, 0
	s_add_u32 s9, s9, s16
	s_addc_u32 s16, 0, s17
	v_add_co_u32 v1, s9, v1, s9
	s_delay_alu instid0(VALU_DEP_1) | instskip(SKIP_1) | instid1(VALU_DEP_1)
	s_cmp_lg_u32 s9, 0
	s_addc_u32 s8, s8, s16
	v_readfirstlane_b32 s9, v1
	s_mul_i32 s16, s10, s8
	s_delay_alu instid0(VALU_DEP_1)
	s_mul_hi_u32 s17, s10, s9
	s_mul_i32 s11, s11, s9
	s_add_i32 s16, s17, s16
	s_mul_i32 s10, s10, s9
	s_add_i32 s16, s16, s11
	s_mul_hi_u32 s17, s8, s10
	s_mul_i32 s18, s8, s10
	s_mul_hi_u32 s10, s9, s10
	s_mul_hi_u32 s19, s9, s16
	s_mul_i32 s9, s9, s16
	s_mul_hi_u32 s11, s8, s16
	s_add_u32 s9, s10, s9
	s_addc_u32 s10, 0, s19
	s_add_u32 s9, s9, s18
	s_mul_i32 s16, s8, s16
	s_addc_u32 s9, s10, s17
	s_addc_u32 s10, s11, 0
	s_add_u32 s9, s9, s16
	s_addc_u32 s10, 0, s10
	v_add_co_u32 v1, s9, v1, s9
	s_delay_alu instid0(VALU_DEP_1) | instskip(SKIP_2) | instid1(SALU_CYCLE_1)
	s_cmp_lg_u32 s9, 0
	s_addc_u32 s16, s8, s10
	s_ashr_i32 s8, s3, 31
	s_add_u32 s10, s12, s8
	s_addc_u32 s11, s3, s8
	v_readfirstlane_b32 s3, v1
	s_mov_b32 s9, s8
	s_delay_alu instid0(SALU_CYCLE_1) | instskip(NEXT) | instid1(SALU_CYCLE_1)
	s_xor_b64 s[10:11], s[10:11], s[8:9]
	s_mul_i32 s18, s10, s16
	s_delay_alu instid0(VALU_DEP_1)
	s_mul_hi_u32 s19, s10, s3
	s_mul_hi_u32 s17, s10, s16
	;; [unrolled: 1-line block ×3, first 2 shown]
	s_mul_i32 s3, s11, s3
	s_add_u32 s18, s19, s18
	s_addc_u32 s17, 0, s17
	s_mul_hi_u32 s21, s11, s16
	s_add_u32 s3, s18, s3
	s_mul_i32 s16, s11, s16
	s_addc_u32 s3, s17, s22
	s_addc_u32 s17, s21, 0
	s_add_u32 s3, s3, s16
	s_addc_u32 s16, 0, s17
	s_mul_i32 s18, s20, s3
	s_add_u32 s17, s3, 1
	v_sub_co_u32 v1, s10, s10, s18
	s_mul_hi_u32 s18, s20, s3
	s_addc_u32 s19, s16, 0
	s_mul_i32 s21, s20, s16
	s_delay_alu instid0(VALU_DEP_1)
	v_sub_co_u32 v2, s22, v1, s20
	s_add_u32 s23, s3, 2
	s_addc_u32 s24, s16, 0
	s_add_i32 s18, s18, s21
	s_cmp_lg_u32 s10, 0
	v_readfirstlane_b32 s10, v2
	s_subb_u32 s11, s11, s18
	s_cmp_lg_u32 s22, 0
	s_subb_u32 s18, s11, 0
	s_delay_alu instid0(VALU_DEP_1) | instskip(SKIP_4) | instid1(SALU_CYCLE_1)
	s_cmp_ge_u32 s10, s20
	s_cselect_b32 s10, -1, 0
	s_cmp_eq_u32 s18, 0
	v_readfirstlane_b32 s18, v1
	s_cselect_b32 s10, s10, -1
	s_cmp_lg_u32 s10, 0
	s_cselect_b32 s10, s23, s17
	s_cselect_b32 s17, s24, s19
	s_cmp_ge_u32 s18, s20
	s_cselect_b32 s18, -1, 0
	s_cmp_eq_u32 s11, 0
	s_cselect_b32 s11, s18, -1
	s_delay_alu instid0(SALU_CYCLE_1) | instskip(SKIP_2) | instid1(SALU_CYCLE_1)
	s_cmp_lg_u32 s11, 0
	s_cselect_b32 s11, s17, s16
	s_cselect_b32 s10, s10, s3
	s_xor_b64 s[10:11], s[10:11], s[8:9]
	s_delay_alu instid0(SALU_CYCLE_1)
	s_sub_u32 s16, s10, s8
	s_load_b128 s[8:11], s[0:1], 0x44
	s_and_not1_b32 vcc_lo, exec_lo, s2
	s_cbranch_vccnz .LBB16_3
.LBB16_2:
	v_cvt_f32_u32_e32 v1, s20
	s_sub_i32 s3, 0, s20
	s_delay_alu instid0(VALU_DEP_1) | instskip(SKIP_2) | instid1(VALU_DEP_1)
	v_rcp_iflag_f32_e32 v1, v1
	s_waitcnt_depctr 0xfff
	v_mul_f32_e32 v1, 0x4f7ffffe, v1
	v_cvt_u32_f32_e32 v1, v1
	s_delay_alu instid0(VALU_DEP_1) | instskip(NEXT) | instid1(VALU_DEP_1)
	v_readfirstlane_b32 s2, v1
	s_mul_i32 s3, s3, s2
	s_delay_alu instid0(SALU_CYCLE_1) | instskip(NEXT) | instid1(SALU_CYCLE_1)
	s_mul_hi_u32 s3, s2, s3
	s_add_i32 s2, s2, s3
	s_delay_alu instid0(SALU_CYCLE_1) | instskip(NEXT) | instid1(SALU_CYCLE_1)
	s_mul_hi_u32 s2, s12, s2
	s_mul_i32 s3, s2, s20
	s_waitcnt lgkmcnt(0)
	s_add_i32 s11, s2, 1
	s_sub_i32 s3, s12, s3
	s_delay_alu instid0(SALU_CYCLE_1)
	s_sub_i32 s12, s3, s20
	s_cmp_ge_u32 s3, s20
	s_cselect_b32 s2, s11, s2
	s_cselect_b32 s3, s12, s3
	s_add_i32 s11, s2, 1
	s_cmp_ge_u32 s3, s20
	s_cselect_b32 s16, s11, s2
.LBB16_3:
	s_waitcnt lgkmcnt(0)
	s_add_i32 s11, s13, 1
	s_mov_b32 s2, 0
	s_mul_hi_i32 s3, s7, s11
	s_mul_i32 s11, s7, s11
	s_cmp_lg_u64 s[2:3], 0
	s_cbranch_scc0 .LBB16_22
; %bb.4:
	v_cvt_f32_ubyte0_e32 v1, 0
	v_cvt_f32_u32_e32 v2, s20
	s_sub_u32 s18, 0, s20
	s_subb_u32 s19, 0, 0
	s_delay_alu instid0(VALU_DEP_1) | instskip(NEXT) | instid1(VALU_DEP_1)
	v_fmamk_f32 v1, v1, 0x4f800000, v2
	v_rcp_f32_e32 v1, v1
	s_waitcnt_depctr 0xfff
	v_mul_f32_e32 v1, 0x5f7ffffc, v1
	s_delay_alu instid0(VALU_DEP_1) | instskip(NEXT) | instid1(VALU_DEP_1)
	v_mul_f32_e32 v2, 0x2f800000, v1
	v_trunc_f32_e32 v2, v2
	s_delay_alu instid0(VALU_DEP_1) | instskip(SKIP_1) | instid1(VALU_DEP_2)
	v_fmamk_f32 v1, v2, 0xcf800000, v1
	v_cvt_u32_f32_e32 v2, v2
	v_cvt_u32_f32_e32 v1, v1
	s_delay_alu instid0(VALU_DEP_2) | instskip(NEXT) | instid1(VALU_DEP_2)
	v_readfirstlane_b32 s12, v2
	v_readfirstlane_b32 s17, v1
	s_delay_alu instid0(VALU_DEP_2) | instskip(NEXT) | instid1(VALU_DEP_1)
	s_mul_i32 s21, s18, s12
	s_mul_hi_u32 s23, s18, s17
	s_mul_i32 s22, s19, s17
	s_add_i32 s21, s23, s21
	s_mul_i32 s24, s18, s17
	s_add_i32 s21, s21, s22
	s_mul_hi_u32 s23, s17, s24
	s_mul_hi_u32 s25, s12, s24
	s_mul_i32 s22, s12, s24
	s_mul_hi_u32 s24, s17, s21
	s_mul_i32 s17, s17, s21
	s_mul_hi_u32 s26, s12, s21
	s_add_u32 s17, s23, s17
	s_addc_u32 s23, 0, s24
	s_add_u32 s17, s17, s22
	s_mul_i32 s21, s12, s21
	s_addc_u32 s17, s23, s25
	s_addc_u32 s22, s26, 0
	s_add_u32 s17, s17, s21
	s_addc_u32 s21, 0, s22
	v_add_co_u32 v1, s17, v1, s17
	s_delay_alu instid0(VALU_DEP_1) | instskip(SKIP_1) | instid1(VALU_DEP_1)
	s_cmp_lg_u32 s17, 0
	s_addc_u32 s12, s12, s21
	v_readfirstlane_b32 s17, v1
	s_mul_i32 s21, s18, s12
	s_delay_alu instid0(VALU_DEP_1)
	s_mul_hi_u32 s22, s18, s17
	s_mul_i32 s19, s19, s17
	s_add_i32 s21, s22, s21
	s_mul_i32 s18, s18, s17
	s_add_i32 s21, s21, s19
	s_mul_hi_u32 s22, s12, s18
	s_mul_i32 s23, s12, s18
	s_mul_hi_u32 s18, s17, s18
	s_mul_hi_u32 s24, s17, s21
	s_mul_i32 s17, s17, s21
	s_mul_hi_u32 s19, s12, s21
	s_add_u32 s17, s18, s17
	s_addc_u32 s18, 0, s24
	s_add_u32 s17, s17, s23
	s_mul_i32 s21, s12, s21
	s_addc_u32 s17, s18, s22
	s_addc_u32 s18, s19, 0
	s_add_u32 s17, s17, s21
	s_addc_u32 s18, 0, s18
	v_add_co_u32 v1, s17, v1, s17
	s_delay_alu instid0(VALU_DEP_1) | instskip(SKIP_2) | instid1(SALU_CYCLE_1)
	s_cmp_lg_u32 s17, 0
	s_addc_u32 s12, s12, s18
	s_ashr_i32 s18, s3, 31
	s_add_u32 s22, s11, s18
	s_addc_u32 s23, s3, s18
	v_readfirstlane_b32 s3, v1
	s_mov_b32 s19, s18
	s_delay_alu instid0(SALU_CYCLE_1) | instskip(NEXT) | instid1(SALU_CYCLE_1)
	s_xor_b64 s[22:23], s[22:23], s[18:19]
	s_mul_i32 s21, s22, s12
	s_delay_alu instid0(VALU_DEP_1)
	s_mul_hi_u32 s24, s22, s3
	s_mul_hi_u32 s17, s22, s12
	s_mul_hi_u32 s26, s23, s3
	s_mul_i32 s3, s23, s3
	s_add_u32 s21, s24, s21
	s_addc_u32 s17, 0, s17
	s_mul_hi_u32 s25, s23, s12
	s_add_u32 s3, s21, s3
	s_mul_i32 s12, s23, s12
	s_addc_u32 s3, s17, s26
	s_addc_u32 s17, s25, 0
	s_add_u32 s3, s3, s12
	s_addc_u32 s12, 0, s17
	s_mul_i32 s21, s20, s3
	s_add_u32 s17, s3, 1
	v_sub_co_u32 v1, s21, s22, s21
	s_mul_hi_u32 s22, s20, s3
	s_addc_u32 s24, s12, 0
	s_mul_i32 s25, s20, s12
	s_delay_alu instid0(VALU_DEP_1)
	v_sub_co_u32 v2, s26, v1, s20
	s_add_u32 s27, s3, 2
	s_addc_u32 s28, s12, 0
	s_add_i32 s22, s22, s25
	s_cmp_lg_u32 s21, 0
	v_readfirstlane_b32 s21, v2
	s_subb_u32 s22, s23, s22
	s_cmp_lg_u32 s26, 0
	s_subb_u32 s23, s22, 0
	s_delay_alu instid0(VALU_DEP_1) | instskip(SKIP_4) | instid1(SALU_CYCLE_1)
	s_cmp_ge_u32 s21, s20
	s_cselect_b32 s21, -1, 0
	s_cmp_eq_u32 s23, 0
	v_readfirstlane_b32 s23, v1
	s_cselect_b32 s21, s21, -1
	s_cmp_lg_u32 s21, 0
	s_cselect_b32 s17, s27, s17
	s_cselect_b32 s21, s28, s24
	s_cmp_ge_u32 s23, s20
	s_cselect_b32 s23, -1, 0
	s_cmp_eq_u32 s22, 0
	s_cselect_b32 s22, s23, -1
	s_delay_alu instid0(SALU_CYCLE_1) | instskip(SKIP_2) | instid1(SALU_CYCLE_1)
	s_cmp_lg_u32 s22, 0
	s_cselect_b32 s23, s21, s12
	s_cselect_b32 s22, s17, s3
	s_xor_b64 s[22:23], s[22:23], s[18:19]
	s_delay_alu instid0(SALU_CYCLE_1)
	s_sub_u32 s18, s22, s18
	s_and_not1_b32 vcc_lo, exec_lo, s2
	s_cbranch_vccnz .LBB16_6
.LBB16_5:
	v_cvt_f32_u32_e32 v1, s20
	s_sub_i32 s3, 0, s20
	s_delay_alu instid0(VALU_DEP_1) | instskip(SKIP_2) | instid1(VALU_DEP_1)
	v_rcp_iflag_f32_e32 v1, v1
	s_waitcnt_depctr 0xfff
	v_mul_f32_e32 v1, 0x4f7ffffe, v1
	v_cvt_u32_f32_e32 v1, v1
	s_delay_alu instid0(VALU_DEP_1) | instskip(NEXT) | instid1(VALU_DEP_1)
	v_readfirstlane_b32 s2, v1
	s_mul_i32 s3, s3, s2
	s_delay_alu instid0(SALU_CYCLE_1) | instskip(NEXT) | instid1(SALU_CYCLE_1)
	s_mul_hi_u32 s3, s2, s3
	s_add_i32 s2, s2, s3
	s_delay_alu instid0(SALU_CYCLE_1) | instskip(NEXT) | instid1(SALU_CYCLE_1)
	s_mul_hi_u32 s2, s11, s2
	s_mul_i32 s3, s2, s20
	s_delay_alu instid0(SALU_CYCLE_1)
	s_sub_i32 s3, s11, s3
	s_add_i32 s11, s2, 1
	s_sub_i32 s12, s3, s20
	s_cmp_ge_u32 s3, s20
	s_cselect_b32 s2, s11, s2
	s_cselect_b32 s3, s12, s3
	s_add_i32 s11, s2, 1
	s_cmp_ge_u32 s3, s20
	s_cselect_b32 s18, s11, s2
.LBB16_6:
	s_delay_alu instid0(SALU_CYCLE_1) | instskip(SKIP_3) | instid1(SALU_CYCLE_1)
	s_cmp_eq_u32 s16, s18
	s_mul_hi_u32 s2, s16, s8
	s_cselect_b32 s3, -1, 0
	s_add_i32 s2, s2, s16
	s_lshr_b32 s11, s2, s9
	s_delay_alu instid0(SALU_CYCLE_1) | instskip(NEXT) | instid1(SALU_CYCLE_1)
	s_mul_i32 s2, s11, s10
	s_cmp_eq_u32 s2, s16
	s_mul_hi_u32 s2, s18, s8
	s_cselect_b32 s12, -1, 0
	s_add_i32 s2, s2, s18
	s_delay_alu instid0(SALU_CYCLE_1) | instskip(NEXT) | instid1(SALU_CYCLE_1)
	s_lshr_b32 s2, s2, s9
	s_cmp_eq_u32 s11, s2
	s_mul_i32 s2, s2, s10
	s_cselect_b32 s17, -1, 0
	s_cmp_lg_u32 s2, s18
	s_cselect_b32 s2, -1, 0
	s_or_b32 s3, s3, s12
	s_and_b32 s2, s17, s2
	s_delay_alu instid0(SALU_CYCLE_1) | instskip(NEXT) | instid1(SALU_CYCLE_1)
	s_or_b32 s2, s3, s2
	s_and_b32 vcc_lo, exec_lo, s2
	s_cbranch_vccnz .LBB16_24
; %bb.7:
	s_load_b256 s[24:31], s[0:1], 0x20
	s_waitcnt lgkmcnt(0)
	s_mul_hi_u32 s2, s16, s24
	s_delay_alu instid0(SALU_CYCLE_1) | instskip(NEXT) | instid1(SALU_CYCLE_1)
	s_add_i32 s2, s2, s16
	s_lshr_b32 s17, s2, s25
	s_load_b32 s2, s[0:1], 0x40
	s_mul_i32 s3, s17, s26
	s_delay_alu instid0(SALU_CYCLE_1) | instskip(NEXT) | instid1(SALU_CYCLE_1)
	s_sub_i32 s3, s16, s3
	s_mul_hi_u32 s12, s3, s27
	s_delay_alu instid0(SALU_CYCLE_1) | instskip(NEXT) | instid1(SALU_CYCLE_1)
	s_add_i32 s12, s3, s12
	s_lshr_b32 s18, s12, s28
	s_delay_alu instid0(SALU_CYCLE_1) | instskip(NEXT) | instid1(SALU_CYCLE_1)
	s_mul_i32 s12, s18, s29
	s_sub_i32 s3, s3, s12
	s_delay_alu instid0(SALU_CYCLE_1) | instskip(NEXT) | instid1(SALU_CYCLE_1)
	s_mul_hi_u32 s12, s3, s30
	s_add_i32 s12, s3, s12
	s_delay_alu instid0(SALU_CYCLE_1)
	s_lshr_b32 s12, s12, s31
	s_waitcnt lgkmcnt(0)
	s_mul_i32 s2, s12, s2
	s_lshl_b32 s21, s12, 3
	s_sub_i32 s2, s3, s2
	s_mov_b32 s12, 0
	s_mul_hi_u32 s3, s2, s8
	s_delay_alu instid0(SALU_CYCLE_1) | instskip(NEXT) | instid1(SALU_CYCLE_1)
	s_add_i32 s2, s2, s3
	s_lshr_b32 s19, s2, s9
	s_delay_alu instid0(SALU_CYCLE_1) | instskip(NEXT) | instid1(SALU_CYCLE_1)
	s_add_i32 s19, s19, s14
	s_cmp_lt_i32 s19, s4
	s_cselect_b32 s2, -1, 0
	s_add_i32 s21, s21, s15
	s_delay_alu instid0(SALU_CYCLE_1) | instskip(SKIP_1) | instid1(SALU_CYCLE_1)
	s_cmp_lt_i32 s21, s6
	s_cselect_b32 s3, -1, 0
	s_and_b32 s2, s2, s3
	s_delay_alu instid0(SALU_CYCLE_1)
	s_and_not1_b32 vcc_lo, exec_lo, s2
	s_cbranch_vccnz .LBB16_24
; %bb.8:
	s_load_b128 s[0:3], s[0:1], 0x0
	s_lshl_b32 s22, s20, 5
	s_mov_b32 s23, s12
	s_lshl_b32 s24, s14, 3
	s_lshl_b64 s[22:23], s[22:23], 2
	s_mul_i32 s4, s17, s4
	s_add_i32 s24, s24, s15
	s_mul_i32 s18, s18, s6
	v_cvt_f32_ubyte0_e32 v3, 0
	v_cvt_f32_u32_e32 v4, s20
	s_waitcnt lgkmcnt(0)
	s_add_u32 s6, s2, s22
	s_addc_u32 s17, s3, s23
	s_add_i32 s4, s19, s4
	s_add_i32 s18, s21, s18
	s_mul_i32 s4, s4, s5
	s_delay_alu instid0(SALU_CYCLE_1) | instskip(NEXT) | instid1(SALU_CYCLE_1)
	s_add_i32 s18, s18, s4
	v_mad_u64_u32 v[1:2], null, 0x50, s18, v[0:1]
	s_delay_alu instid0(VALU_DEP_1) | instskip(NEXT) | instid1(VALU_DEP_1)
	v_ashrrev_i32_e32 v2, 31, v1
	v_lshlrev_b64 v[1:2], 2, v[1:2]
	s_delay_alu instid0(VALU_DEP_1) | instskip(NEXT) | instid1(VALU_DEP_2)
	v_add_co_u32 v1, vcc_lo, s0, v1
	v_add_co_ci_u32_e32 v2, vcc_lo, s1, v2, vcc_lo
	s_add_i32 s0, s14, s13
	s_delay_alu instid0(SALU_CYCLE_1) | instskip(SKIP_2) | instid1(SALU_CYCLE_1)
	s_lshl_b32 s0, s0, 3
	global_load_b32 v5, v[1:2], off
	s_add_i32 s0, s0, s15
	s_ashr_i32 s1, s0, 31
	s_delay_alu instid0(SALU_CYCLE_1) | instskip(NEXT) | instid1(SALU_CYCLE_1)
	s_lshl_b64 s[0:1], s[0:1], 3
	s_add_u32 s0, s2, s0
	s_addc_u32 s1, s3, s1
	s_add_i32 s19, s13, -1
	s_load_b64 s[0:1], s[0:1], 0x0
	v_fmamk_f32 v3, v3, 0x4f800000, v4
	v_cvt_f32_u32_e32 v4, s20
	s_add_i32 s14, s20, s14
	s_sub_i32 s18, 0, s20
	s_delay_alu instid0(VALU_DEP_1)
	v_rcp_iflag_f32_e32 v7, v4
	s_waitcnt_depctr 0xfff
	v_mul_f32_e32 v10, 0x4f7ffffe, v7
	s_waitcnt lgkmcnt(0)
	v_mov_b32_e32 v8, s0
	v_rcp_f32_e32 v3, v3
	v_mov_b32_e32 v7, s1
	s_waitcnt_depctr 0xfff
	v_mul_f32_e32 v3, 0x5f7ffffc, v3
	s_delay_alu instid0(VALU_DEP_1) | instskip(NEXT) | instid1(VALU_DEP_1)
	v_mul_f32_e32 v6, 0x2f800000, v3
	v_trunc_f32_e32 v6, v6
	s_delay_alu instid0(VALU_DEP_1) | instskip(SKIP_3) | instid1(VALU_DEP_4)
	v_fmamk_f32 v9, v6, 0xcf800000, v3
	v_mad_u64_u32 v[3:4], null, 0x50, s24, v[0:1]
	v_cvt_u32_f32_e32 v4, v6
	v_cvt_u32_f32_e32 v6, v10
	;; [unrolled: 1-line block ×3, first 2 shown]
.LBB16_9:                               ; =>This Inner Loop Header: Depth=1
	s_mul_hi_i32 s13, s19, s7
	s_mul_i32 s4, s19, s7
	s_cmp_lg_u64 s[12:13], 0
	s_mov_b32 s5, -1
                                        ; implicit-def: $sgpr0_sgpr1
	s_cbranch_scc0 .LBB16_11
; %bb.10:                               ;   in Loop: Header=BB16_9 Depth=1
	v_readfirstlane_b32 s0, v0
	v_readfirstlane_b32 s1, v4
	s_sub_u32 s5, 0, s20
	s_subb_u32 s21, 0, 0
	s_delay_alu instid0(VALU_DEP_2) | instskip(NEXT) | instid1(VALU_DEP_1)
	s_mul_hi_u32 s22, s5, s0
	s_mul_i32 s23, s5, s1
	s_mul_i32 s24, s21, s0
	s_add_i32 s22, s22, s23
	s_mul_i32 s23, s5, s0
	s_add_i32 s22, s22, s24
	s_mul_hi_u32 s24, s0, s23
	s_mul_i32 s25, s0, s22
	s_mul_hi_u32 s0, s0, s22
	s_add_u32 s24, s24, s25
	s_mul_i32 s26, s1, s23
	s_addc_u32 s0, 0, s0
	s_mul_hi_u32 s23, s1, s23
	s_mul_hi_u32 s25, s1, s22
	s_add_u32 s24, s24, s26
	s_addc_u32 s0, s0, s23
	s_mul_i32 s22, s1, s22
	s_addc_u32 s23, s25, 0
	s_add_u32 s0, s0, s22
	s_addc_u32 s22, 0, s23
	v_add_co_u32 v9, s0, v0, s0
	s_delay_alu instid0(VALU_DEP_1) | instskip(SKIP_1) | instid1(VALU_DEP_1)
	s_cmp_lg_u32 s0, 0
	s_addc_u32 s1, s1, s22
	v_readfirstlane_b32 s0, v9
	s_mul_i32 s22, s5, s1
	s_delay_alu instid0(VALU_DEP_1)
	s_mul_hi_u32 s23, s5, s0
	s_mul_i32 s21, s21, s0
	s_add_i32 s22, s23, s22
	s_mul_i32 s5, s5, s0
	s_add_i32 s22, s22, s21
	s_mul_hi_u32 s21, s1, s5
	s_mul_i32 s24, s1, s5
	s_mul_i32 s25, s0, s22
	s_mul_hi_u32 s5, s0, s5
	s_mul_hi_u32 s0, s0, s22
	s_add_u32 s5, s5, s25
	s_addc_u32 s0, 0, s0
	s_mul_hi_u32 s23, s1, s22
	s_add_u32 s5, s5, s24
	s_addc_u32 s0, s0, s21
	s_mul_i32 s5, s1, s22
	s_addc_u32 s21, s23, 0
	s_add_u32 s0, s0, s5
	s_addc_u32 s5, 0, s21
	v_add_co_u32 v9, s0, v9, s0
	s_delay_alu instid0(VALU_DEP_1) | instskip(SKIP_2) | instid1(SALU_CYCLE_1)
	s_cmp_lg_u32 s0, 0
	s_addc_u32 s5, s1, s5
	s_ashr_i32 s0, s13, 31
	s_add_u32 s22, s4, s0
	s_addc_u32 s23, s13, s0
	v_readfirstlane_b32 s13, v9
	s_mov_b32 s1, s0
	s_delay_alu instid0(SALU_CYCLE_1) | instskip(NEXT) | instid1(SALU_CYCLE_1)
	s_xor_b64 s[22:23], s[22:23], s[0:1]
	s_mul_i32 s21, s22, s5
	s_delay_alu instid0(VALU_DEP_1)
	s_mul_hi_u32 s24, s22, s13
	s_mul_hi_u32 s25, s22, s5
	s_add_u32 s21, s24, s21
	s_mul_i32 s26, s23, s13
	s_addc_u32 s24, 0, s25
	s_mul_hi_u32 s13, s23, s13
	s_mul_hi_u32 s25, s23, s5
	s_add_u32 s21, s21, s26
	s_addc_u32 s13, s24, s13
	s_mul_i32 s5, s23, s5
	s_addc_u32 s21, s25, 0
	s_add_u32 s5, s13, s5
	s_addc_u32 s13, 0, s21
	s_mul_i32 s24, s20, s5
	s_add_u32 s21, s5, 1
	v_sub_co_u32 v9, s22, s22, s24
	s_addc_u32 s24, s13, 0
	s_mul_i32 s26, s20, s13
	s_mul_hi_u32 s28, s20, s5
	s_delay_alu instid0(VALU_DEP_1)
	v_sub_co_u32 v10, s27, v9, s20
	s_add_u32 s25, s5, 2
	s_addc_u32 s29, s13, 0
	s_add_i32 s28, s28, s26
	s_cmp_lg_u32 s22, 0
	v_readfirstlane_b32 s22, v10
	s_subb_u32 s23, s23, s28
	s_cmp_lg_u32 s27, 0
	s_subb_u32 s26, s23, 0
	s_delay_alu instid0(VALU_DEP_1) | instskip(SKIP_4) | instid1(SALU_CYCLE_1)
	s_cmp_ge_u32 s22, s20
	s_cselect_b32 s22, -1, 0
	s_cmp_eq_u32 s26, 0
	v_readfirstlane_b32 s26, v9
	s_cselect_b32 s22, s22, -1
	s_cmp_lg_u32 s22, 0
	s_cselect_b32 s21, s25, s21
	s_cselect_b32 s22, s29, s24
	s_cmp_ge_u32 s26, s20
	s_cselect_b32 s24, -1, 0
	s_cmp_eq_u32 s23, 0
	s_cselect_b32 s23, s24, -1
	s_delay_alu instid0(SALU_CYCLE_1) | instskip(SKIP_4) | instid1(SALU_CYCLE_1)
	s_cmp_lg_u32 s23, 0
	s_cselect_b32 s23, s22, s13
	s_cselect_b32 s22, s21, s5
	s_mov_b32 s5, 0
	s_xor_b64 s[22:23], s[22:23], s[0:1]
	s_sub_u32 s0, s22, s0
.LBB16_11:                              ;   in Loop: Header=BB16_9 Depth=1
	s_and_not1_b32 vcc_lo, exec_lo, s5
	s_cbranch_vccnz .LBB16_13
; %bb.12:                               ;   in Loop: Header=BB16_9 Depth=1
	v_readfirstlane_b32 s0, v6
	s_delay_alu instid0(VALU_DEP_1) | instskip(NEXT) | instid1(SALU_CYCLE_1)
	s_mul_i32 s1, s18, s0
	s_mul_hi_u32 s1, s0, s1
	s_delay_alu instid0(SALU_CYCLE_1) | instskip(NEXT) | instid1(SALU_CYCLE_1)
	s_add_i32 s0, s0, s1
	s_mul_hi_u32 s0, s4, s0
	s_delay_alu instid0(SALU_CYCLE_1) | instskip(NEXT) | instid1(SALU_CYCLE_1)
	s_mul_i32 s1, s0, s20
	s_sub_i32 s1, s4, s1
	s_add_i32 s4, s0, 1
	s_sub_i32 s5, s1, s20
	s_cmp_ge_u32 s1, s20
	s_cselect_b32 s0, s4, s0
	s_cselect_b32 s1, s5, s1
	s_add_i32 s4, s0, 1
	s_cmp_ge_u32 s1, s20
	s_cselect_b32 s0, s4, s0
.LBB16_13:                              ;   in Loop: Header=BB16_9 Depth=1
	s_delay_alu instid0(SALU_CYCLE_1)
	s_cmp_lg_u32 s16, s0
	s_cbranch_scc0 .LBB16_17
; %bb.14:                               ;   in Loop: Header=BB16_9 Depth=1
	s_add_i32 s1, s14, s19
	s_mov_b32 s5, s12
	s_lshl_b32 s1, s1, 3
	s_mov_b32 s21, s16
	s_add_i32 s4, s1, s15
	s_mul_hi_u32 s1, s0, s8
	s_lshl_b64 s[4:5], s[4:5], 3
	s_delay_alu instid0(SALU_CYCLE_1) | instskip(SKIP_2) | instid1(SALU_CYCLE_1)
	s_add_u32 s4, s2, s4
	s_addc_u32 s5, s3, s5
	s_add_i32 s1, s1, s0
	s_lshr_b32 s1, s1, s9
	s_delay_alu instid0(SALU_CYCLE_1) | instskip(NEXT) | instid1(SALU_CYCLE_1)
	s_mul_i32 s13, s1, s10
	s_cmp_eq_u32 s13, s0
	s_cselect_b32 s13, -1, 0
	s_cmp_lt_u32 s1, s11
	s_cselect_b32 s1, -1, 0
	s_delay_alu instid0(SALU_CYCLE_1)
	s_or_b32 s1, s1, s13
	s_mov_b32 s13, -1
	s_and_b32 vcc_lo, exec_lo, s1
	s_mov_b32 s1, s19
	s_cbranch_vccnz .LBB16_16
; %bb.15:                               ;   in Loop: Header=BB16_9 Depth=1
	s_add_i32 s1, s19, -1
	s_mov_b32 s13, 0
	s_mov_b32 s21, s0
.LBB16_16:                              ;   in Loop: Header=BB16_9 Depth=1
	v_mad_u64_u32 v[9:10], null, 0x280, s19, v[3:4]
	s_load_b64 s[4:5], s[4:5], 0x0
	s_delay_alu instid0(VALU_DEP_1) | instskip(NEXT) | instid1(VALU_DEP_1)
	v_ashrrev_i32_e32 v10, 31, v9
	v_lshlrev_b64 v[9:10], 2, v[9:10]
	s_delay_alu instid0(VALU_DEP_1) | instskip(NEXT) | instid1(VALU_DEP_2)
	v_add_co_u32 v9, vcc_lo, s6, v9
	v_add_co_ci_u32_e32 v10, vcc_lo, s17, v10, vcc_lo
	s_waitcnt lgkmcnt(0)
	v_max_f32_e64 v11, s4, s4
	global_load_b32 v10, v[9:10], off
	v_max_f32_e32 v9, v8, v8
	s_delay_alu instid0(VALU_DEP_1) | instskip(NEXT) | instid1(VALU_DEP_1)
	v_max_f32_e32 v9, v9, v11
	v_sub_f32_e32 v12, v8, v9
	s_delay_alu instid0(VALU_DEP_1) | instskip(NEXT) | instid1(VALU_DEP_1)
	v_dual_mul_f32 v14, 0x3fb8aa3b, v12 :: v_dual_sub_f32 v11, s4, v9
	v_rndne_f32_e32 v18, v14
	s_delay_alu instid0(VALU_DEP_2) | instskip(SKIP_2) | instid1(VALU_DEP_4)
	v_mul_f32_e32 v13, 0x3fb8aa3b, v11
	v_fma_f32 v17, 0x3fb8aa3b, v12, -v14
	v_cmp_ngt_f32_e32 vcc_lo, 0xc2ce8ed0, v11
	v_sub_f32_e32 v14, v14, v18
	s_delay_alu instid0(VALU_DEP_4) | instskip(SKIP_2) | instid1(VALU_DEP_3)
	v_fma_f32 v15, 0x3fb8aa3b, v11, -v13
	v_rndne_f32_e32 v16, v13
	v_fmac_f32_e32 v17, 0x32a5705f, v12
	v_fmac_f32_e32 v15, 0x32a5705f, v11
	s_delay_alu instid0(VALU_DEP_2) | instskip(NEXT) | instid1(VALU_DEP_1)
	v_dual_sub_f32 v13, v13, v16 :: v_dual_add_f32 v14, v14, v17
	v_add_f32_e32 v13, v13, v15
	s_delay_alu instid0(VALU_DEP_2) | instskip(SKIP_2) | instid1(VALU_DEP_3)
	v_exp_f32_e32 v14, v14
	v_cvt_i32_f32_e32 v15, v16
	v_cvt_i32_f32_e32 v16, v18
	v_exp_f32_e32 v13, v13
	s_waitcnt_depctr 0xfff
	v_ldexp_f32 v14, v14, v16
	v_ldexp_f32 v13, v13, v15
	s_delay_alu instid0(VALU_DEP_1) | instskip(SKIP_1) | instid1(VALU_DEP_4)
	v_cndmask_b32_e32 v13, 0, v13, vcc_lo
	v_cmp_ngt_f32_e32 vcc_lo, 0xc2ce8ed0, v12
	v_cndmask_b32_e32 v14, 0, v14, vcc_lo
	v_cmp_nlt_f32_e32 vcc_lo, 0x42b17218, v11
	s_delay_alu instid0(VALU_DEP_4) | instskip(SKIP_1) | instid1(VALU_DEP_4)
	v_cndmask_b32_e32 v13, 0x7f800000, v13, vcc_lo
	v_cmp_nlt_f32_e32 vcc_lo, 0x42b17218, v12
	v_cndmask_b32_e32 v14, 0x7f800000, v14, vcc_lo
	v_cmp_le_f32_e32 vcc_lo, 0xc1a00000, v11
	s_delay_alu instid0(VALU_DEP_4) | instskip(SKIP_1) | instid1(VALU_DEP_4)
	v_cndmask_b32_e32 v11, 0, v13, vcc_lo
	v_cmp_le_f32_e32 vcc_lo, 0xc1a00000, v12
	v_cndmask_b32_e32 v12, 0, v14, vcc_lo
	s_waitcnt vmcnt(0)
	s_delay_alu instid0(VALU_DEP_3) | instskip(NEXT) | instid1(VALU_DEP_1)
	v_mul_f32_e32 v10, v10, v11
	v_dual_mul_f32 v11, s5, v11 :: v_dual_fmac_f32 v10, v5, v12
	s_delay_alu instid0(VALU_DEP_1)
	v_fmac_f32_e32 v11, v7, v12
	s_cbranch_execz .LBB16_18
	s_branch .LBB16_19
.LBB16_17:                              ;   in Loop: Header=BB16_9 Depth=1
                                        ; implicit-def: $sgpr13
                                        ; implicit-def: $vgpr10
                                        ; implicit-def: $vgpr9
                                        ; implicit-def: $vgpr11
                                        ; implicit-def: $sgpr1
                                        ; implicit-def: $sgpr21
.LBB16_18:                              ;   in Loop: Header=BB16_9 Depth=1
	s_waitcnt vmcnt(0)
	v_dual_mov_b32 v11, v7 :: v_dual_mov_b32 v10, v5
	v_mov_b32_e32 v9, v8
	s_add_i32 s1, s19, -1
	s_mov_b32 s13, 0
	s_mov_b32 s21, s16
.LBB16_19:                              ;   in Loop: Header=BB16_9 Depth=1
	s_and_not1_b32 vcc_lo, exec_lo, s13
	s_cbranch_vccz .LBB16_23
; %bb.20:                               ;   in Loop: Header=BB16_9 Depth=1
	v_dual_mov_b32 v7, v11 :: v_dual_mov_b32 v8, v9
	s_waitcnt vmcnt(0)
	v_mov_b32_e32 v5, v10
	s_mov_b32 s16, s21
	s_mov_b32 s19, s1
	s_branch .LBB16_9
.LBB16_21:
                                        ; implicit-def: $sgpr16_sgpr17
	s_load_b128 s[8:11], s[0:1], 0x44
	s_branch .LBB16_2
.LBB16_22:
                                        ; implicit-def: $sgpr18_sgpr19
	s_branch .LBB16_5
.LBB16_23:
	v_div_scale_f32 v0, null, v11, v11, v10
	s_delay_alu instid0(VALU_DEP_1) | instskip(SKIP_2) | instid1(VALU_DEP_1)
	v_rcp_f32_e32 v3, v0
	s_waitcnt_depctr 0xfff
	v_fma_f32 v4, -v0, v3, 1.0
	v_fmac_f32_e32 v3, v4, v3
	v_div_scale_f32 v4, vcc_lo, v10, v11, v10
	s_waitcnt vmcnt(0)
	s_delay_alu instid0(VALU_DEP_1) | instskip(NEXT) | instid1(VALU_DEP_1)
	v_mul_f32_e32 v5, v4, v3
	v_fma_f32 v6, -v0, v5, v4
	s_delay_alu instid0(VALU_DEP_1) | instskip(NEXT) | instid1(VALU_DEP_1)
	v_fmac_f32_e32 v5, v6, v3
	v_fma_f32 v0, -v0, v5, v4
	s_delay_alu instid0(VALU_DEP_1) | instskip(NEXT) | instid1(VALU_DEP_1)
	v_div_fmas_f32 v0, v0, v3, v5
	v_div_fixup_f32 v0, v0, v11, v10
	global_store_b32 v[1:2], v0, off
.LBB16_24:
	s_nop 0
	s_sendmsg sendmsg(MSG_DEALLOC_VGPRS)
	s_endpgm
	.section	.rodata,"a",@progbits
	.p2align	6, 0x0
	.amdhsa_kernel _ZL33flash_attn_stream_k_fixup_generalILi80ELi1ELi8EEvPfPK15HIP_vector_typeIfLj2EEiiiiS1_IjLj3EES5_S5_S5_
		.amdhsa_group_segment_fixed_size 0
		.amdhsa_private_segment_fixed_size 0
		.amdhsa_kernarg_size 336
		.amdhsa_user_sgpr_count 13
		.amdhsa_user_sgpr_dispatch_ptr 0
		.amdhsa_user_sgpr_queue_ptr 0
		.amdhsa_user_sgpr_kernarg_segment_ptr 1
		.amdhsa_user_sgpr_dispatch_id 0
		.amdhsa_user_sgpr_private_segment_size 0
		.amdhsa_wavefront_size32 1
		.amdhsa_uses_dynamic_stack 0
		.amdhsa_enable_private_segment 0
		.amdhsa_system_sgpr_workgroup_id_x 1
		.amdhsa_system_sgpr_workgroup_id_y 1
		.amdhsa_system_sgpr_workgroup_id_z 1
		.amdhsa_system_sgpr_workgroup_info 0
		.amdhsa_system_vgpr_workitem_id 0
		.amdhsa_next_free_vgpr 19
		.amdhsa_next_free_sgpr 32
		.amdhsa_reserve_vcc 1
		.amdhsa_float_round_mode_32 0
		.amdhsa_float_round_mode_16_64 0
		.amdhsa_float_denorm_mode_32 3
		.amdhsa_float_denorm_mode_16_64 3
		.amdhsa_dx10_clamp 1
		.amdhsa_ieee_mode 1
		.amdhsa_fp16_overflow 0
		.amdhsa_workgroup_processor_mode 1
		.amdhsa_memory_ordered 1
		.amdhsa_forward_progress 0
		.amdhsa_shared_vgpr_count 0
		.amdhsa_exception_fp_ieee_invalid_op 0
		.amdhsa_exception_fp_denorm_src 0
		.amdhsa_exception_fp_ieee_div_zero 0
		.amdhsa_exception_fp_ieee_overflow 0
		.amdhsa_exception_fp_ieee_underflow 0
		.amdhsa_exception_fp_ieee_inexact 0
		.amdhsa_exception_int_div_zero 0
	.end_amdhsa_kernel
	.section	.text._ZL33flash_attn_stream_k_fixup_generalILi80ELi1ELi8EEvPfPK15HIP_vector_typeIfLj2EEiiiiS1_IjLj3EES5_S5_S5_,"axG",@progbits,_ZL33flash_attn_stream_k_fixup_generalILi80ELi1ELi8EEvPfPK15HIP_vector_typeIfLj2EEiiiiS1_IjLj3EES5_S5_S5_,comdat
.Lfunc_end16:
	.size	_ZL33flash_attn_stream_k_fixup_generalILi80ELi1ELi8EEvPfPK15HIP_vector_typeIfLj2EEiiiiS1_IjLj3EES5_S5_S5_, .Lfunc_end16-_ZL33flash_attn_stream_k_fixup_generalILi80ELi1ELi8EEvPfPK15HIP_vector_typeIfLj2EEiiiiS1_IjLj3EES5_S5_S5_
                                        ; -- End function
	.section	.AMDGPU.csdata,"",@progbits
; Kernel info:
; codeLenInByte = 3220
; NumSgprs: 34
; NumVgprs: 19
; ScratchSize: 0
; MemoryBound: 0
; FloatMode: 240
; IeeeMode: 1
; LDSByteSize: 0 bytes/workgroup (compile time only)
; SGPRBlocks: 4
; VGPRBlocks: 2
; NumSGPRsForWavesPerEU: 34
; NumVGPRsForWavesPerEU: 19
; Occupancy: 16
; WaveLimiterHint : 0
; COMPUTE_PGM_RSRC2:SCRATCH_EN: 0
; COMPUTE_PGM_RSRC2:USER_SGPR: 13
; COMPUTE_PGM_RSRC2:TRAP_HANDLER: 0
; COMPUTE_PGM_RSRC2:TGID_X_EN: 1
; COMPUTE_PGM_RSRC2:TGID_Y_EN: 1
; COMPUTE_PGM_RSRC2:TGID_Z_EN: 1
; COMPUTE_PGM_RSRC2:TIDIG_COMP_CNT: 0
	.section	.text._ZL15flash_attn_tileILi80ELi80ELi16ELi4ELb0EEvPKcS1_S1_S1_S1_PKiPfP15HIP_vector_typeIfLj2EEffffjfiS5_IjLj3EEiiiiiiiiiiiliiliiiiil,"axG",@progbits,_ZL15flash_attn_tileILi80ELi80ELi16ELi4ELb0EEvPKcS1_S1_S1_S1_PKiPfP15HIP_vector_typeIfLj2EEffffjfiS5_IjLj3EEiiiiiiiiiiiliiliiiiil,comdat
	.globl	_ZL15flash_attn_tileILi80ELi80ELi16ELi4ELb0EEvPKcS1_S1_S1_S1_PKiPfP15HIP_vector_typeIfLj2EEffffjfiS5_IjLj3EEiiiiiiiiiiiliiliiiiil ; -- Begin function _ZL15flash_attn_tileILi80ELi80ELi16ELi4ELb0EEvPKcS1_S1_S1_S1_PKiPfP15HIP_vector_typeIfLj2EEffffjfiS5_IjLj3EEiiiiiiiiiiiliiliiiiil
	.p2align	8
	.type	_ZL15flash_attn_tileILi80ELi80ELi16ELi4ELb0EEvPKcS1_S1_S1_S1_PKiPfP15HIP_vector_typeIfLj2EEffffjfiS5_IjLj3EEiiiiiiiiiiiliiliiiiil,@function
_ZL15flash_attn_tileILi80ELi80ELi16ELi4ELb0EEvPKcS1_S1_S1_S1_PKiPfP15HIP_vector_typeIfLj2EEffffjfiS5_IjLj3EEiiiiiiiiiiiliiliiiiil: ; @_ZL15flash_attn_tileILi80ELi80ELi16ELi4ELb0EEvPKcS1_S1_S1_S1_PKiPfP15HIP_vector_typeIfLj2EEffffjfiS5_IjLj3EEiiiiiiiiiiiliiliiiiil
; %bb.0:
	s_clause 0x1
	s_load_b128 s[36:39], s[0:1], 0x5c
	s_load_b64 s[40:41], s[0:1], 0x80
	s_mov_b64 s[42:43], 0
	s_waitcnt lgkmcnt(0)
	s_ashr_i32 s2, s39, 31
	s_delay_alu instid0(SALU_CYCLE_1) | instskip(NEXT) | instid1(SALU_CYCLE_1)
	s_lshr_b32 s2, s2, 30
	s_add_i32 s2, s39, s2
	s_delay_alu instid0(SALU_CYCLE_1) | instskip(NEXT) | instid1(SALU_CYCLE_1)
	s_ashr_i32 s2, s2, 2
	v_cvt_f32_u32_e32 v1, s2
	s_sub_i32 s4, 0, s2
	s_delay_alu instid0(VALU_DEP_1) | instskip(SKIP_2) | instid1(VALU_DEP_1)
	v_rcp_iflag_f32_e32 v1, v1
	s_waitcnt_depctr 0xfff
	v_mul_f32_e32 v1, 0x4f7ffffe, v1
	v_cvt_u32_f32_e32 v1, v1
	s_delay_alu instid0(VALU_DEP_1) | instskip(NEXT) | instid1(VALU_DEP_1)
	v_readfirstlane_b32 s3, v1
	s_mul_i32 s4, s4, s3
	s_delay_alu instid0(SALU_CYCLE_1) | instskip(NEXT) | instid1(SALU_CYCLE_1)
	s_mul_hi_u32 s4, s3, s4
	s_add_i32 s3, s3, s4
	s_delay_alu instid0(SALU_CYCLE_1) | instskip(NEXT) | instid1(SALU_CYCLE_1)
	s_mul_hi_u32 s3, s15, s3
	s_mul_i32 s4, s3, s2
	s_add_i32 s5, s3, 1
	s_sub_i32 s4, s15, s4
	s_delay_alu instid0(SALU_CYCLE_1)
	s_sub_i32 s6, s4, s2
	s_cmp_ge_u32 s4, s2
	s_cselect_b32 s3, s5, s3
	s_cselect_b32 s4, s6, s4
	s_add_i32 s5, s3, 1
	s_cmp_ge_u32 s4, s2
	s_cselect_b32 s44, s5, s3
	s_abs_i32 s2, s41
	s_abs_i32 s7, s39
	v_cvt_f32_u32_e32 v1, s2
	s_sub_i32 s4, 0, s2
	s_lshl_b32 s5, s15, 2
	s_mul_i32 s6, s44, s39
	s_delay_alu instid0(VALU_DEP_1) | instskip(SKIP_3) | instid1(VALU_DEP_1)
	v_rcp_iflag_f32_e32 v1, v1
	s_sub_i32 s34, s5, s6
	s_waitcnt_depctr 0xfff
	v_mul_f32_e32 v1, 0x4f7ffffe, v1
	v_cvt_u32_f32_e32 v1, v1
	s_delay_alu instid0(VALU_DEP_1) | instskip(NEXT) | instid1(VALU_DEP_1)
	v_readfirstlane_b32 s3, v1
	s_mul_i32 s4, s4, s3
	s_delay_alu instid0(SALU_CYCLE_1) | instskip(NEXT) | instid1(SALU_CYCLE_1)
	s_mul_hi_u32 s4, s3, s4
	s_add_i32 s3, s3, s4
	s_xor_b32 s4, s39, s41
	s_mul_hi_u32 s3, s7, s3
	s_ashr_i32 s4, s4, 31
	s_mul_i32 s5, s3, s2
	s_add_i32 s6, s3, 1
	s_sub_i32 s5, s7, s5
	s_delay_alu instid0(SALU_CYCLE_1)
	s_sub_i32 s7, s5, s2
	s_cmp_ge_u32 s5, s2
	s_cselect_b32 s3, s6, s3
	s_cselect_b32 s5, s7, s5
	s_add_i32 s6, s3, 1
	s_cmp_ge_u32 s5, s2
	s_cselect_b32 s2, s6, s3
	s_delay_alu instid0(SALU_CYCLE_1) | instskip(NEXT) | instid1(SALU_CYCLE_1)
	s_xor_b32 s2, s2, s4
	s_sub_i32 s11, s2, s4
	s_clause 0x1
	s_load_b512 s[16:31], s[0:1], 0x0
	s_load_b64 s[2:3], s[0:1], 0xb8
	s_abs_i32 s10, s11
	s_delay_alu instid0(SALU_CYCLE_1) | instskip(NEXT) | instid1(VALU_DEP_1)
	v_cvt_f32_u32_e32 v1, s10
	v_rcp_iflag_f32_e32 v1, v1
	s_waitcnt_depctr 0xfff
	v_mul_f32_e32 v1, 0x4f7ffffe, v1
	s_waitcnt lgkmcnt(0)
	s_cmp_eq_u64 s[22:23], 0
	s_delay_alu instid0(VALU_DEP_1) | instskip(NEXT) | instid1(VALU_DEP_1)
	v_cvt_u32_f32_e32 v1, v1
	v_readfirstlane_b32 s12, v1
	s_cbranch_scc1 .LBB17_2
; %bb.1:
	s_abs_i32 s2, s2
	s_abs_i32 s6, s44
	v_cvt_f32_u32_e32 v1, s2
	s_sub_i32 s5, 0, s2
	s_delay_alu instid0(VALU_DEP_1) | instskip(SKIP_2) | instid1(VALU_DEP_1)
	v_rcp_iflag_f32_e32 v1, v1
	s_waitcnt_depctr 0xfff
	v_mul_f32_e32 v1, 0x4f7ffffe, v1
	v_cvt_u32_f32_e32 v1, v1
	s_delay_alu instid0(VALU_DEP_1) | instskip(NEXT) | instid1(VALU_DEP_1)
	v_readfirstlane_b32 s4, v1
	s_mul_i32 s5, s5, s4
	s_delay_alu instid0(SALU_CYCLE_1) | instskip(NEXT) | instid1(SALU_CYCLE_1)
	s_mul_hi_u32 s5, s4, s5
	s_add_i32 s7, s4, s5
	s_load_b64 s[4:5], s[0:1], 0xc8
	s_mul_hi_u32 s7, s6, s7
	s_delay_alu instid0(SALU_CYCLE_1) | instskip(NEXT) | instid1(SALU_CYCLE_1)
	s_mul_i32 s7, s7, s2
	s_sub_i32 s6, s6, s7
	s_ashr_i32 s7, s44, 31
	s_sub_i32 s8, s6, s2
	s_cmp_ge_u32 s6, s2
	s_cselect_b32 s6, s8, s6
	s_delay_alu instid0(SALU_CYCLE_1) | instskip(SKIP_2) | instid1(SALU_CYCLE_1)
	s_sub_i32 s8, s6, s2
	s_cmp_ge_u32 s6, s2
	s_cselect_b32 s2, s8, s6
	s_xor_b32 s2, s2, s7
	s_delay_alu instid0(SALU_CYCLE_1)
	s_sub_i32 s2, s2, s7
	s_waitcnt lgkmcnt(0)
	s_mul_i32 s5, s2, s5
	s_mul_hi_u32 s6, s2, s4
	s_ashr_i32 s7, s2, 31
	s_add_i32 s5, s6, s5
	s_mul_i32 s7, s7, s4
	s_mul_i32 s2, s2, s4
	s_add_i32 s5, s5, s7
	s_add_u32 s42, s22, s2
	s_addc_u32 s43, s23, s5
.LBB17_2:
	s_clause 0x1
	s_load_b128 s[4:7], s[0:1], 0x70
	s_load_b32 s8, s[0:1], 0x40
	v_and_b32_e32 v117, 0x3ff, v0
	v_bfe_u32 v118, v0, 10, 10
	s_lshl_b32 s33, s13, 4
	s_delay_alu instid0(VALU_DEP_2) | instskip(SKIP_3) | instid1(VALU_DEP_4)
	v_lshlrev_b32_e32 v104, 2, v117
	v_cmp_gt_u32_e64 s2, 20, v117
	v_lshlrev_b32_e32 v0, 1, v117
	v_lshl_add_u32 v8, v118, 1, s33
	v_lshlrev_b32_e32 v1, 2, v104
	s_waitcnt lgkmcnt(0)
	s_mul_i32 s7, s44, s6
	s_mul_i32 s9, s34, s5
	s_ashr_i32 s15, s7, 31
	s_add_u32 s7, s16, s7
	s_addc_u32 s15, s17, s15
	s_ashr_i32 s16, s9, 31
	s_add_u32 s9, s7, s9
	s_mov_b32 s6, s5
	s_addc_u32 s15, s15, s16
	s_ashr_i32 s7, s5, 31
	s_ashr_i32 s5, s4, 31
	s_lshr_b64 s[6:7], s[6:7], 2
	s_lshr_b64 s[4:5], s[4:5], 2
	s_mul_i32 s16, s7, 12
	s_mul_hi_u32 s17, s6, 12
	s_mul_i32 s22, s6, 12
	s_and_saveexec_b32 s23, s2
	s_cbranch_execz .LBB17_4
; %bb.3:
	v_mul_hi_u32 v2, v8, s36
	s_lshl_b64 s[46:47], s[6:7], 2
	s_delay_alu instid0(SALU_CYCLE_1) | instskip(SKIP_2) | instid1(SALU_CYCLE_1)
	s_add_u32 s35, s9, s46
	s_addc_u32 s41, s15, s47
	s_lshl_b64 s[46:47], s[6:7], 3
	s_add_u32 s45, s9, s46
	s_delay_alu instid0(VALU_DEP_1)
	v_add_nc_u32_e32 v2, v8, v2
	s_addc_u32 s46, s15, s47
	s_add_i32 s47, s17, s16
	s_add_u32 s48, s9, s22
	s_addc_u32 s47, s15, s47
	v_lshrrev_b32_e32 v2, s37, v2
	s_delay_alu instid0(VALU_DEP_1) | instskip(NEXT) | instid1(VALU_DEP_1)
	v_mul_lo_u32 v2, v2, s38
	v_sub_nc_u32_e32 v6, v8, v2
	s_delay_alu instid0(VALU_DEP_1) | instskip(NEXT) | instid1(VALU_DEP_1)
	v_mad_u64_u32 v[2:3], null, s4, v6, 0
	v_mad_u64_u32 v[4:5], null, s5, v6, v[3:4]
	s_delay_alu instid0(VALU_DEP_1) | instskip(NEXT) | instid1(VALU_DEP_1)
	v_mov_b32_e32 v3, v4
	v_lshlrev_b64 v[2:3], 2, v[2:3]
	s_delay_alu instid0(VALU_DEP_1) | instskip(NEXT) | instid1(VALU_DEP_2)
	v_add_co_u32 v4, vcc_lo, s9, v2
	v_add_co_ci_u32_e32 v5, vcc_lo, s15, v3, vcc_lo
	v_add_co_u32 v6, vcc_lo, s35, v2
	v_add_co_ci_u32_e32 v7, vcc_lo, s41, v3, vcc_lo
	;; [unrolled: 2-line block ×8, first 2 shown]
	s_clause 0x3
	global_load_b128 v[2:5], v[2:3], off
	global_load_b128 v[9:12], v[6:7], off
	;; [unrolled: 1-line block ×4, first 2 shown]
	v_mul_u32_u24_e32 v6, 0x140, v118
	s_delay_alu instid0(VALU_DEP_1) | instskip(NEXT) | instid1(VALU_DEP_1)
	v_or_b32_e32 v6, v6, v0
	v_lshlrev_b32_e32 v27, 2, v6
	s_waitcnt vmcnt(2)
	v_fma_mixlo_f16 v21, v9, s8, 0
	v_fma_mixlo_f16 v6, v2, s8, 0
	;; [unrolled: 1-line block ×4, first 2 shown]
	s_waitcnt vmcnt(1)
	v_fma_mixlo_f16 v23, v13, s8, 0
	v_fma_mixlo_f16 v24, v15, s8, 0
	s_waitcnt vmcnt(0)
	v_fma_mixlo_f16 v25, v17, s8, 0
	v_fma_mixlo_f16 v26, v19, s8, 0
	v_fma_mixhi_f16 v7, v5, s8, 0
	v_fma_mixhi_f16 v6, v3, s8, 0
	;; [unrolled: 1-line block ×8, first 2 shown]
	ds_store_2addr_b64 v27, v[6:7], v[21:22] offset1:20
	ds_store_2addr_b64 v27, v[23:24], v[25:26] offset0:40 offset1:60
.LBB17_4:
	s_or_b32 exec_lo, exec_lo, s23
	v_lshlrev_b32_e32 v9, 3, v118
	s_delay_alu instid0(VALU_DEP_1) | instskip(NEXT) | instid1(VALU_DEP_1)
	v_or_b32_e32 v2, 4, v9
	v_lshrrev_b32_e32 v116, 2, v2
	s_and_saveexec_b32 s23, s2
	s_cbranch_execnz .LBB17_13
; %bb.5:
	s_or_b32 exec_lo, exec_lo, s23
	v_or_b32_e32 v115, 5, v9
	s_and_saveexec_b32 s23, s2
	s_cbranch_execnz .LBB17_14
.LBB17_6:
	s_or_b32 exec_lo, exec_lo, s23
	v_or_b32_e32 v114, 6, v9
	s_and_saveexec_b32 s23, s2
	s_cbranch_execnz .LBB17_15
.LBB17_7:
	s_or_b32 exec_lo, exec_lo, s23
	v_or_b32_e32 v113, 7, v9
	s_and_saveexec_b32 s6, s2
	s_cbranch_execz .LBB17_9
.LBB17_8:
	s_delay_alu instid0(VALU_DEP_1) | instskip(SKIP_2) | instid1(VALU_DEP_2)
	v_lshrrev_b32_e32 v2, 2, v113
	s_add_i32 s17, s17, s16
	v_mul_u32_u24_e32 v7, 40, v113
	v_add_nc_u32_e32 v2, s33, v2
	s_delay_alu instid0(VALU_DEP_2) | instskip(NEXT) | instid1(VALU_DEP_2)
	v_add_lshl_u32 v0, v7, v0, 2
	v_mul_hi_u32 v3, v2, s36
	s_delay_alu instid0(VALU_DEP_1) | instskip(NEXT) | instid1(VALU_DEP_1)
	v_add_nc_u32_e32 v3, v2, v3
	v_lshrrev_b32_e32 v3, s37, v3
	s_delay_alu instid0(VALU_DEP_1) | instskip(NEXT) | instid1(VALU_DEP_1)
	v_mul_lo_u32 v3, v3, s38
	v_sub_nc_u32_e32 v6, v2, v3
	s_delay_alu instid0(VALU_DEP_1) | instskip(SKIP_1) | instid1(VALU_DEP_1)
	v_mad_u64_u32 v[2:3], null, s4, v6, 0
	s_add_u32 s4, s9, s22
	v_mad_u64_u32 v[4:5], null, s5, v6, v[3:4]
	s_addc_u32 s5, s15, s17
	s_delay_alu instid0(VALU_DEP_1) | instskip(NEXT) | instid1(VALU_DEP_1)
	v_mov_b32_e32 v3, v4
	v_lshlrev_b64 v[2:3], 2, v[2:3]
	s_delay_alu instid0(VALU_DEP_1) | instskip(NEXT) | instid1(VALU_DEP_2)
	v_add_co_u32 v2, vcc_lo, s4, v2
	v_add_co_ci_u32_e32 v3, vcc_lo, s5, v3, vcc_lo
	s_delay_alu instid0(VALU_DEP_2) | instskip(NEXT) | instid1(VALU_DEP_2)
	v_add_co_u32 v1, vcc_lo, v2, v1
	v_add_co_ci_u32_e32 v2, vcc_lo, 0, v3, vcc_lo
	global_load_b128 v[1:4], v[1:2], off
	s_waitcnt vmcnt(0)
	v_fma_mixlo_f16 v6, v3, s8, 0
	v_fma_mixlo_f16 v5, v1, s8, 0
	s_delay_alu instid0(VALU_DEP_2) | instskip(NEXT) | instid1(VALU_DEP_2)
	v_fma_mixhi_f16 v6, v4, s8, 0
	v_fma_mixhi_f16 v5, v2, s8, 0
	ds_store_b64 v0, v[5:6]
.LBB17_9:
	s_or_b32 exec_lo, exec_lo, s6
	s_cmp_eq_u64 s[26:27], 0
	s_waitcnt lgkmcnt(0)
	s_barrier
	buffer_gl0_inv
	s_cbranch_scc1 .LBB17_11
; %bb.10:
	s_load_b32 s4, s[0:1], 0xd0
	s_mov_b32 s5, 0
	s_waitcnt lgkmcnt(0)
	s_mul_i32 s4, s4, s44
	s_delay_alu instid0(SALU_CYCLE_1) | instskip(NEXT) | instid1(SALU_CYCLE_1)
	s_add_i32 s4, s4, s13
	s_lshl_b64 s[4:5], s[4:5], 2
	s_delay_alu instid0(SALU_CYCLE_1)
	s_add_u32 s4, s26, s4
	s_addc_u32 s5, s27, s5
	s_load_b32 s40, s[4:5], 0x0
.LBB17_11:
	v_mbcnt_lo_u32_b32 v131, -1, 0
	s_lshl_b32 s35, s14, 5
	s_waitcnt lgkmcnt(0)
	s_cmp_lt_i32 s35, s40
	s_cbranch_scc1 .LBB17_16
; %bb.12:
	v_mbcnt_lo_u32_b32 v10, -1, 0
	v_mov_b32_e32 v132, 32
	s_mov_b32 s4, 0
	s_mov_b32 s5, 0xfeffffff
	s_delay_alu instid0(VALU_DEP_2)
	v_xor_b32_e32 v159, 16, v10
	v_xor_b32_e32 v160, 8, v10
	;; [unrolled: 1-line block ×5, first 2 shown]
	s_branch .LBB17_17
.LBB17_13:
	s_delay_alu instid0(VALU_DEP_1) | instskip(SKIP_1) | instid1(VALU_DEP_2)
	v_add_nc_u32_e32 v3, s33, v116
	v_mul_u32_u24_e32 v2, 40, v2
	v_mul_hi_u32 v4, v3, s36
	s_delay_alu instid0(VALU_DEP_2) | instskip(NEXT) | instid1(VALU_DEP_2)
	v_add_lshl_u32 v2, v2, v0, 2
	v_add_nc_u32_e32 v4, v3, v4
	s_delay_alu instid0(VALU_DEP_1) | instskip(NEXT) | instid1(VALU_DEP_1)
	v_lshrrev_b32_e32 v4, s37, v4
	v_mul_lo_u32 v4, v4, s38
	s_delay_alu instid0(VALU_DEP_1) | instskip(NEXT) | instid1(VALU_DEP_1)
	v_sub_nc_u32_e32 v7, v3, v4
	v_mad_u64_u32 v[3:4], null, s4, v7, 0
	s_delay_alu instid0(VALU_DEP_1) | instskip(NEXT) | instid1(VALU_DEP_1)
	v_mad_u64_u32 v[5:6], null, s5, v7, v[4:5]
	v_mov_b32_e32 v4, v5
	s_delay_alu instid0(VALU_DEP_1) | instskip(NEXT) | instid1(VALU_DEP_1)
	v_lshlrev_b64 v[3:4], 2, v[3:4]
	v_add_co_u32 v3, vcc_lo, s9, v3
	s_delay_alu instid0(VALU_DEP_2) | instskip(NEXT) | instid1(VALU_DEP_2)
	v_add_co_ci_u32_e32 v4, vcc_lo, s15, v4, vcc_lo
	v_add_co_u32 v3, vcc_lo, v3, v1
	s_delay_alu instid0(VALU_DEP_2) | instskip(SKIP_4) | instid1(VALU_DEP_2)
	v_add_co_ci_u32_e32 v4, vcc_lo, 0, v4, vcc_lo
	global_load_b128 v[3:6], v[3:4], off
	s_waitcnt vmcnt(0)
	v_fma_mixlo_f16 v11, v5, s8, 0
	v_fma_mixlo_f16 v10, v3, s8, 0
	v_fma_mixhi_f16 v11, v6, s8, 0
	s_delay_alu instid0(VALU_DEP_2)
	v_fma_mixhi_f16 v10, v4, s8, 0
	ds_store_b64 v2, v[10:11]
	s_or_b32 exec_lo, exec_lo, s23
	v_or_b32_e32 v115, 5, v9
	s_and_saveexec_b32 s23, s2
	s_cbranch_execz .LBB17_6
.LBB17_14:
	s_delay_alu instid0(VALU_DEP_1)
	v_lshrrev_b32_e32 v2, 2, v115
	s_lshl_b64 s[46:47], s[6:7], 2
	v_mul_u32_u24_e32 v10, 40, v115
	s_add_u32 s35, s9, s46
	s_addc_u32 s41, s15, s47
	v_add_nc_u32_e32 v2, s33, v2
	s_delay_alu instid0(VALU_DEP_1) | instskip(NEXT) | instid1(VALU_DEP_1)
	v_mul_hi_u32 v3, v2, s36
	v_add_nc_u32_e32 v3, v2, v3
	s_delay_alu instid0(VALU_DEP_1) | instskip(NEXT) | instid1(VALU_DEP_1)
	v_lshrrev_b32_e32 v3, s37, v3
	v_mul_lo_u32 v3, v3, s38
	s_delay_alu instid0(VALU_DEP_1) | instskip(NEXT) | instid1(VALU_DEP_1)
	v_sub_nc_u32_e32 v6, v2, v3
	v_mad_u64_u32 v[2:3], null, s4, v6, 0
	s_delay_alu instid0(VALU_DEP_1) | instskip(NEXT) | instid1(VALU_DEP_1)
	v_mad_u64_u32 v[4:5], null, s5, v6, v[3:4]
	v_mov_b32_e32 v3, v4
	s_delay_alu instid0(VALU_DEP_1) | instskip(NEXT) | instid1(VALU_DEP_1)
	v_lshlrev_b64 v[2:3], 2, v[2:3]
	v_add_co_u32 v2, vcc_lo, s35, v2
	s_delay_alu instid0(VALU_DEP_2) | instskip(NEXT) | instid1(VALU_DEP_2)
	v_add_co_ci_u32_e32 v3, vcc_lo, s41, v3, vcc_lo
	v_add_co_u32 v2, vcc_lo, v2, v1
	s_delay_alu instid0(VALU_DEP_2)
	v_add_co_ci_u32_e32 v3, vcc_lo, 0, v3, vcc_lo
	global_load_b128 v[2:5], v[2:3], off
	s_waitcnt vmcnt(0)
	v_fma_mixlo_f16 v7, v4, s8, 0
	v_fma_mixlo_f16 v6, v2, s8, 0
	v_add_lshl_u32 v2, v10, v0, 2
	s_delay_alu instid0(VALU_DEP_3) | instskip(NEXT) | instid1(VALU_DEP_3)
	v_fma_mixhi_f16 v7, v5, s8, 0
	v_fma_mixhi_f16 v6, v3, s8, 0
	ds_store_b64 v2, v[6:7]
	s_or_b32 exec_lo, exec_lo, s23
	v_or_b32_e32 v114, 6, v9
	s_and_saveexec_b32 s23, s2
	s_cbranch_execz .LBB17_7
.LBB17_15:
	s_delay_alu instid0(VALU_DEP_1)
	v_lshrrev_b32_e32 v2, 2, v114
	s_lshl_b64 s[6:7], s[6:7], 3
	v_mul_u32_u24_e32 v10, 40, v114
	s_add_u32 s6, s9, s6
	s_addc_u32 s7, s15, s7
	v_add_nc_u32_e32 v2, s33, v2
	s_delay_alu instid0(VALU_DEP_1) | instskip(NEXT) | instid1(VALU_DEP_1)
	v_mul_hi_u32 v3, v2, s36
	v_add_nc_u32_e32 v3, v2, v3
	s_delay_alu instid0(VALU_DEP_1) | instskip(NEXT) | instid1(VALU_DEP_1)
	v_lshrrev_b32_e32 v3, s37, v3
	v_mul_lo_u32 v3, v3, s38
	s_delay_alu instid0(VALU_DEP_1) | instskip(NEXT) | instid1(VALU_DEP_1)
	v_sub_nc_u32_e32 v6, v2, v3
	v_mad_u64_u32 v[2:3], null, s4, v6, 0
	s_delay_alu instid0(VALU_DEP_1) | instskip(NEXT) | instid1(VALU_DEP_1)
	v_mad_u64_u32 v[4:5], null, s5, v6, v[3:4]
	v_mov_b32_e32 v3, v4
	s_delay_alu instid0(VALU_DEP_1) | instskip(NEXT) | instid1(VALU_DEP_1)
	v_lshlrev_b64 v[2:3], 2, v[2:3]
	v_add_co_u32 v2, vcc_lo, s6, v2
	s_delay_alu instid0(VALU_DEP_2) | instskip(NEXT) | instid1(VALU_DEP_2)
	v_add_co_ci_u32_e32 v3, vcc_lo, s7, v3, vcc_lo
	v_add_co_u32 v2, vcc_lo, v2, v1
	s_delay_alu instid0(VALU_DEP_2)
	v_add_co_ci_u32_e32 v3, vcc_lo, 0, v3, vcc_lo
	global_load_b128 v[2:5], v[2:3], off
	s_waitcnt vmcnt(0)
	v_fma_mixlo_f16 v7, v4, s8, 0
	v_fma_mixlo_f16 v6, v2, s8, 0
	v_add_lshl_u32 v2, v10, v0, 2
	s_delay_alu instid0(VALU_DEP_3) | instskip(NEXT) | instid1(VALU_DEP_3)
	v_fma_mixhi_f16 v7, v5, s8, 0
	v_fma_mixhi_f16 v6, v3, s8, 0
	ds_store_b64 v2, v[6:7]
	s_or_b32 exec_lo, exec_lo, s23
	v_or_b32_e32 v113, 7, v9
	s_and_saveexec_b32 s6, s2
	s_cbranch_execnz .LBB17_8
	s_branch .LBB17_9
.LBB17_16:
	s_mov_b32 s4, -1
                                        ; implicit-def: $sgpr5
                                        ; implicit-def: $vgpr10
                                        ; implicit-def: $vgpr132
                                        ; implicit-def: $vgpr159
                                        ; implicit-def: $vgpr160
                                        ; implicit-def: $vgpr161
                                        ; implicit-def: $vgpr162
                                        ; implicit-def: $vgpr163
.LBB17_17:
	s_delay_alu instid0(SALU_CYCLE_1) | instskip(SKIP_2) | instid1(VALU_DEP_3)
	v_cndmask_b32_e64 v0, 0, 1, s4
	v_dual_mov_b32 v7, s5 :: v_dual_mov_b32 v164, s4
	v_dual_mov_b32 v135, s4 :: v_dual_mov_b32 v6, s5
	v_cmp_ne_u32_e32 vcc_lo, 1, v0
	v_dual_mov_b32 v5, s5 :: v_dual_mov_b32 v4, s5
	v_dual_mov_b32 v3, s5 :: v_dual_mov_b32 v2, s5
	v_dual_mov_b32 v1, s5 :: v_dual_mov_b32 v0, s5
	v_dual_mov_b32 v167, s4 :: v_dual_mov_b32 v166, s4
	v_dual_mov_b32 v165, s4 :: v_dual_mov_b32 v170, s4
	v_dual_mov_b32 v169, s4 :: v_dual_mov_b32 v168, s4
	v_dual_mov_b32 v171, s4 :: v_dual_mov_b32 v136, s4
	v_dual_mov_b32 v133, s4 :: v_dual_mov_b32 v134, s4
	v_dual_mov_b32 v129, s4 :: v_dual_mov_b32 v130, s4
	v_dual_mov_b32 v127, s4 :: v_dual_mov_b32 v128, s4
	v_dual_mov_b32 v125, s4 :: v_dual_mov_b32 v126, s4
	v_dual_mov_b32 v123, s4 :: v_dual_mov_b32 v124, s4
	v_dual_mov_b32 v121, s4 :: v_dual_mov_b32 v122, s4
	v_dual_mov_b32 v120, s4 :: v_dual_mov_b32 v119, s4
	s_cbranch_vccnz .LBB17_38
; %bb.18:
	s_clause 0x1
	s_load_b128 s[4:7], s[0:1], 0x98
	s_load_b64 s[8:9], s[0:1], 0x8c
	s_sub_i32 s13, 0, s10
	s_abs_i32 s15, s34
	s_mul_i32 s13, s13, s12
	s_ashr_i32 s22, s34, 31
	s_mul_hi_u32 s13, s12, s13
	s_ashr_i32 s11, s11, 31
	s_add_i32 s12, s12, s13
	s_ashr_i32 s13, s3, 1
	s_mul_hi_u32 s3, s15, s12
	s_ashr_i32 s12, s44, 31
	s_load_b64 s[16:17], s[0:1], 0xa8
	s_mul_i32 s23, s3, s10
	v_add_nc_u32_e32 v3, 1, v8
	v_mul_hi_u32 v1, s36, v8
	v_lshrrev_b32_e32 v0, 2, v117
	v_lshl_add_u32 v4, v118, 5, v117
	v_dual_mov_b32 v122, 0 :: v_dual_and_b32 v139, 12, v104
	s_waitcnt lgkmcnt(0)
	s_ashr_i32 s41, s6, 2
	s_mul_i32 s5, s44, s5
	s_mul_hi_u32 s6, s44, s4
	s_ashr_i32 s45, s8, 2
	s_mul_i32 s8, s12, s4
	s_add_i32 s5, s6, s5
	s_mul_i32 s4, s44, s4
	s_add_i32 s5, s5, s8
	s_add_u32 s4, s18, s4
	s_addc_u32 s5, s19, s5
	s_sub_i32 s8, s15, s23
	s_xor_b32 s6, s22, s11
	s_add_i32 s11, s3, 1
	s_sub_i32 s15, s8, s10
	s_cmp_ge_u32 s8, s10
	v_mul_hi_u32 v2, s36, v3
	s_cselect_b32 s3, s11, s3
	s_cselect_b32 s8, s15, s8
	s_add_i32 s11, s3, 1
	s_cmp_ge_u32 s8, s10
	s_mul_i32 s8, s44, s17
	s_cselect_b32 s3, s11, s3
	s_mul_hi_u32 s10, s44, s16
	s_xor_b32 s3, s3, s6
	v_dual_mov_b32 v119, 0 :: v_dual_add_nc_u32 v2, v3, v2
	s_sub_i32 s3, s3, s6
	v_dual_mov_b32 v120, 0 :: v_dual_add_nc_u32 v1, v8, v1
	s_mul_i32 s6, s3, s9
	s_mul_i32 s12, s12, s16
	s_ashr_i32 s11, s6, 31
	s_add_u32 s46, s4, s6
	s_addc_u32 s47, s5, s11
	s_add_i32 s4, s10, s8
	s_mul_i32 s9, s44, s16
	v_dual_mov_b32 v132, 32 :: v_dual_add_nc_u32 v5, v9, v0
	v_lshrrev_b32_e32 v2, s37, v2
	s_add_i32 s4, s4, s12
	s_mul_i32 s3, s3, s7
	s_add_u32 s5, s20, s9
	v_lshrrev_b32_e32 v1, s37, v1
	s_addc_u32 s6, s21, s4
	s_movk_i32 s4, 0x3840
	s_ashr_i32 s7, s3, 31
	s_add_u32 s48, s5, s3
	v_cmp_gt_u32_e32 vcc_lo, 32, v4
	v_cmp_gt_u32_e64 s3, 32, v5
	v_mul_lo_u32 v0, s45, v4
	v_mul_lo_u32 v7, v2, s38
	v_mad_u32_u24 v140, 0x60, v4, s4
	v_mul_lo_u32 v2, s45, v5
	v_mul_u32_u24_e32 v4, 0x60, v5
	v_dual_mov_b32 v124, 0 :: v_dual_lshlrev_b32 v5, 2, v139
	v_mul_lo_u32 v6, v1, s38
	v_dual_mov_b32 v121, 0 :: v_dual_and_b32 v146, 28, v104
	s_delay_alu instid0(VALU_DEP_3) | instskip(SKIP_2) | instid1(VALU_DEP_4)
	v_add3_u32 v141, v4, v5, 0x3800
	v_lshrrev_b32_e32 v5, 3, v117
	v_dual_mov_b32 v128, 0 :: v_dual_and_b32 v145, 4, v104
	v_dual_mov_b32 v123, 0 :: v_dual_lshlrev_b32 v10, 2, v146
	v_sub_nc_u32_e32 v6, v8, v6
	v_lshrrev_b32_e32 v8, 1, v117
	v_lshl_add_u32 v5, v118, 2, v5
	v_ashrrev_i32_e32 v1, 31, v0
	v_lshl_add_u32 v144, v118, 9, 0x2800
	v_mul_lo_u32 v142, v6, s13
	v_lshl_add_u32 v4, v118, 4, v8
	v_mul_u32_u24_e32 v8, 0xa0, v5
	v_cmp_gt_u32_e64 s5, 16, v5
	v_dual_mov_b32 v126, 0 :: v_dual_lshlrev_b32 v9, 4, v117
	s_delay_alu instid0(VALU_DEP_4) | instskip(NEXT) | instid1(VALU_DEP_4)
	v_mul_u32_u24_e32 v6, 0xa0, v4
	v_add3_u32 v149, v8, v10, 0x3800
	v_mov_b32_e32 v8, 0xfeffffff
	v_sub_nc_u32_e32 v7, v3, v7
	v_cmp_gt_u32_e64 s4, 16, v4
	v_mul_lo_u32 v4, s41, v4
	v_ashrrev_i32_e32 v3, 31, v2
	v_lshlrev_b64 v[105:106], 2, v[0:1]
	v_mul_lo_u32 v143, v7, s13
	v_lshl_or_b32 v7, v145, 2, v6
	v_mul_lo_u32 v6, s41, v5
	v_lshlrev_b64 v[107:108], 2, v[2:3]
	v_mul_u32_u24_e32 v137, 0x60, v117
	v_ashrrev_i32_e32 v5, 31, v4
	v_dual_mov_b32 v125, 0 :: v_dual_add_nc_u32 v148, 0x3880, v7
	v_mul_u32_u24_e32 v138, 0x500, v118
	v_dual_mov_b32 v130, 0 :: v_dual_lshlrev_b32 v147, 3, v117
	v_ashrrev_i32_e32 v7, 31, v6
	v_lshlrev_b64 v[109:110], 2, v[4:5]
	v_dual_mov_b32 v127, 0 :: v_dual_add_nc_u32 v150, v144, v9
	v_dual_mov_b32 v129, 0 :: v_dual_mov_b32 v134, 0
	s_delay_alu instid0(VALU_DEP_4)
	v_lshlrev_b64 v[111:112], 2, v[6:7]
	v_dual_mov_b32 v133, 0 :: v_dual_mov_b32 v136, 0
	v_dual_mov_b32 v135, 0 :: v_dual_mov_b32 v10, 0xfeffffff
	;; [unrolled: 1-line block ×8, first 2 shown]
	v_mov_b32_e32 v153, 0
	v_mov_b32_e32 v151, 0
	s_addc_u32 s49, s6, s7
	s_add_u32 s26, s0, 0xd0
	s_addc_u32 s27, s1, 0
.LBB17_19:                              ; =>This Inner Loop Header: Depth=1
	s_mul_hi_i32 s7, s35, s45
	s_mul_i32 s6, s35, s45
	s_delay_alu instid0(SALU_CYCLE_1) | instskip(NEXT) | instid1(SALU_CYCLE_1)
	s_lshl_b64 s[8:9], s[6:7], 2
	s_add_u32 s7, s46, s8
	s_addc_u32 s8, s47, s9
	s_and_saveexec_b32 s9, vcc_lo
	s_cbranch_execz .LBB17_21
; %bb.20:                               ;   in Loop: Header=BB17_19 Depth=1
	v_add_co_u32 v0, s6, s7, v105
	s_delay_alu instid0(VALU_DEP_1)
	v_add_co_ci_u32_e64 v1, s6, s8, v106, s6
	global_load_b128 v[0:3], v[0:1], off offset:64
	s_waitcnt vmcnt(0)
	ds_store_b128 v140, v[0:3]
.LBB17_21:                              ;   in Loop: Header=BB17_19 Depth=1
	s_or_b32 exec_lo, exec_lo, s9
	v_lshlrev_b32_e32 v16, 2, v139
	s_and_saveexec_b32 s9, s3
	s_cbranch_execz .LBB17_23
; %bb.22:                               ;   in Loop: Header=BB17_19 Depth=1
	v_add_co_u32 v0, s6, s7, v107
	s_delay_alu instid0(VALU_DEP_1) | instskip(NEXT) | instid1(VALU_DEP_2)
	v_add_co_ci_u32_e64 v1, s6, s8, v108, s6
	v_add_co_u32 v0, s6, v0, v16
	s_delay_alu instid0(VALU_DEP_1)
	v_add_co_ci_u32_e64 v1, s6, 0, v1, s6
	global_load_b128 v[0:3], v[0:1], off
	s_waitcnt vmcnt(0)
	ds_store_b128 v141, v[0:3]
.LBB17_23:                              ;   in Loop: Header=BB17_19 Depth=1
	s_or_b32 exec_lo, exec_lo, s9
	s_waitcnt lgkmcnt(0)
	s_barrier
	buffer_gl0_inv
	ds_load_b128 v[17:20], v137 offset:14336
	ds_load_b128 v[21:24], v138
	ds_load_b128 v[25:28], v138 offset:160
	ds_load_b128 v[29:32], v138 offset:320
	;; [unrolled: 1-line block ×7, first 2 shown]
	v_dual_mov_b32 v0, 0 :: v_dual_mov_b32 v1, 0
	v_dual_mov_b32 v2, 0 :: v_dual_mov_b32 v3, 0
	;; [unrolled: 1-line block ×4, first 2 shown]
	s_waitcnt lgkmcnt(7)
	;;#ASMSTART
	v_dot2_f32_f16 v0, v17, v21, v0
	;;#ASMEND
	;;#ASMSTART
	v_dot2_f32_f16 v0, v18, v22, v0
	;;#ASMEND
	;;#ASMSTART
	v_dot2_f32_f16 v0, v19, v23, v0
	;;#ASMEND
	;;#ASMSTART
	v_dot2_f32_f16 v0, v20, v24, v0
	;;#ASMEND
	s_waitcnt lgkmcnt(6)
	;;#ASMSTART
	v_dot2_f32_f16 v1, v17, v25, v1
	;;#ASMEND
	;;#ASMSTART
	v_dot2_f32_f16 v1, v18, v26, v1
	;;#ASMEND
	;;#ASMSTART
	v_dot2_f32_f16 v1, v19, v27, v1
	;;#ASMEND
	;;#ASMSTART
	v_dot2_f32_f16 v1, v20, v28, v1
	;;#ASMEND
	s_waitcnt lgkmcnt(5)
	;;#ASMSTART
	v_dot2_f32_f16 v2, v17, v29, v2
	;;#ASMEND
	;;#ASMSTART
	v_dot2_f32_f16 v2, v18, v30, v2
	;;#ASMEND
	;;#ASMSTART
	v_dot2_f32_f16 v2, v19, v31, v2
	;;#ASMEND
	;;#ASMSTART
	v_dot2_f32_f16 v2, v20, v32, v2
	;;#ASMEND
	s_waitcnt lgkmcnt(4)
	;;#ASMSTART
	v_dot2_f32_f16 v3, v17, v33, v3
	;;#ASMEND
	;;#ASMSTART
	v_dot2_f32_f16 v3, v18, v34, v3
	;;#ASMEND
	;;#ASMSTART
	v_dot2_f32_f16 v3, v19, v35, v3
	;;#ASMEND
	;;#ASMSTART
	v_dot2_f32_f16 v3, v20, v36, v3
	;;#ASMEND
	s_waitcnt lgkmcnt(3)
	;;#ASMSTART
	v_dot2_f32_f16 v4, v17, v37, v4
	;;#ASMEND
	;;#ASMSTART
	v_dot2_f32_f16 v4, v18, v38, v4
	;;#ASMEND
	;;#ASMSTART
	v_dot2_f32_f16 v4, v19, v39, v4
	;;#ASMEND
	;;#ASMSTART
	v_dot2_f32_f16 v4, v20, v40, v4
	;;#ASMEND
	s_waitcnt lgkmcnt(2)
	;;#ASMSTART
	v_dot2_f32_f16 v5, v17, v41, v5
	;;#ASMEND
	;;#ASMSTART
	v_dot2_f32_f16 v5, v18, v42, v5
	;;#ASMEND
	;;#ASMSTART
	v_dot2_f32_f16 v5, v19, v43, v5
	;;#ASMEND
	;;#ASMSTART
	v_dot2_f32_f16 v5, v20, v44, v5
	;;#ASMEND
	s_waitcnt lgkmcnt(1)
	;;#ASMSTART
	v_dot2_f32_f16 v6, v17, v45, v6
	;;#ASMEND
	;;#ASMSTART
	v_dot2_f32_f16 v6, v18, v46, v6
	;;#ASMEND
	;;#ASMSTART
	v_dot2_f32_f16 v6, v19, v47, v6
	;;#ASMEND
	;;#ASMSTART
	v_dot2_f32_f16 v6, v20, v48, v6
	;;#ASMEND
	s_waitcnt lgkmcnt(0)
	;;#ASMSTART
	v_dot2_f32_f16 v7, v17, v49, v7
	;;#ASMEND
	;;#ASMSTART
	v_dot2_f32_f16 v7, v18, v50, v7
	;;#ASMEND
	;;#ASMSTART
	v_dot2_f32_f16 v7, v19, v51, v7
	;;#ASMEND
	;;#ASMSTART
	v_dot2_f32_f16 v7, v20, v52, v7
	;;#ASMEND
	ds_load_b128 v[17:20], v137 offset:14352
	ds_load_b128 v[21:24], v138 offset:16
	;; [unrolled: 1-line block ×9, first 2 shown]
	s_waitcnt lgkmcnt(7)
	;;#ASMSTART
	v_dot2_f32_f16 v0, v17, v21, v0
	;;#ASMEND
	;;#ASMSTART
	v_dot2_f32_f16 v0, v18, v22, v0
	;;#ASMEND
	;;#ASMSTART
	v_dot2_f32_f16 v0, v19, v23, v0
	;;#ASMEND
	;;#ASMSTART
	v_dot2_f32_f16 v0, v20, v24, v0
	;;#ASMEND
	s_waitcnt lgkmcnt(6)
	;;#ASMSTART
	v_dot2_f32_f16 v1, v17, v25, v1
	;;#ASMEND
	;;#ASMSTART
	v_dot2_f32_f16 v1, v18, v26, v1
	;;#ASMEND
	;;#ASMSTART
	v_dot2_f32_f16 v1, v19, v27, v1
	;;#ASMEND
	;;#ASMSTART
	v_dot2_f32_f16 v1, v20, v28, v1
	;;#ASMEND
	;; [unrolled: 13-line block ×8, first 2 shown]
	ds_load_b128 v[17:20], v137 offset:14368
	ds_load_b128 v[21:24], v138 offset:32
	;; [unrolled: 1-line block ×9, first 2 shown]
	s_waitcnt lgkmcnt(7)
	;;#ASMSTART
	v_dot2_f32_f16 v0, v17, v21, v0
	;;#ASMEND
	;;#ASMSTART
	v_dot2_f32_f16 v0, v18, v22, v0
	;;#ASMEND
	;;#ASMSTART
	v_dot2_f32_f16 v0, v19, v23, v0
	;;#ASMEND
	;;#ASMSTART
	v_dot2_f32_f16 v0, v20, v24, v0
	;;#ASMEND
	s_waitcnt lgkmcnt(6)
	;;#ASMSTART
	v_dot2_f32_f16 v1, v17, v25, v1
	;;#ASMEND
	;;#ASMSTART
	v_dot2_f32_f16 v1, v18, v26, v1
	;;#ASMEND
	;;#ASMSTART
	v_dot2_f32_f16 v1, v19, v27, v1
	;;#ASMEND
	;;#ASMSTART
	v_dot2_f32_f16 v1, v20, v28, v1
	;;#ASMEND
	;; [unrolled: 13-line block ×8, first 2 shown]
	ds_load_b128 v[17:20], v137 offset:14384
	ds_load_b128 v[21:24], v138 offset:48
	;; [unrolled: 1-line block ×9, first 2 shown]
	s_waitcnt lgkmcnt(7)
	;;#ASMSTART
	v_dot2_f32_f16 v0, v17, v21, v0
	;;#ASMEND
	;;#ASMSTART
	v_dot2_f32_f16 v0, v18, v22, v0
	;;#ASMEND
	;;#ASMSTART
	v_dot2_f32_f16 v0, v19, v23, v0
	;;#ASMEND
	;;#ASMSTART
	v_dot2_f32_f16 v0, v20, v24, v0
	;;#ASMEND
	s_waitcnt lgkmcnt(6)
	;;#ASMSTART
	v_dot2_f32_f16 v1, v17, v25, v1
	;;#ASMEND
	;;#ASMSTART
	v_dot2_f32_f16 v1, v18, v26, v1
	;;#ASMEND
	;;#ASMSTART
	v_dot2_f32_f16 v1, v19, v27, v1
	;;#ASMEND
	;;#ASMSTART
	v_dot2_f32_f16 v1, v20, v28, v1
	;;#ASMEND
	;; [unrolled: 13-line block ×8, first 2 shown]
	ds_load_b128 v[17:20], v137 offset:14400
	ds_load_b128 v[21:24], v138 offset:64
	;; [unrolled: 1-line block ×9, first 2 shown]
	s_waitcnt lgkmcnt(7)
	;;#ASMSTART
	v_dot2_f32_f16 v0, v17, v21, v0
	;;#ASMEND
	;;#ASMSTART
	v_dot2_f32_f16 v0, v18, v22, v0
	;;#ASMEND
	;;#ASMSTART
	v_dot2_f32_f16 v0, v19, v23, v0
	;;#ASMEND
	;;#ASMSTART
	v_dot2_f32_f16 v0, v20, v24, v0
	;;#ASMEND
	s_waitcnt lgkmcnt(6)
	;;#ASMSTART
	v_dot2_f32_f16 v1, v17, v25, v1
	;;#ASMEND
	;;#ASMSTART
	v_dot2_f32_f16 v1, v18, v26, v1
	;;#ASMEND
	;;#ASMSTART
	v_dot2_f32_f16 v1, v19, v27, v1
	;;#ASMEND
	;;#ASMSTART
	v_dot2_f32_f16 v1, v20, v28, v1
	;;#ASMEND
	;; [unrolled: 13-line block ×8, first 2 shown]
	s_barrier
	buffer_gl0_inv
	s_and_saveexec_b32 s9, vcc_lo
	s_cbranch_execz .LBB17_25
; %bb.24:                               ;   in Loop: Header=BB17_19 Depth=1
	v_add_co_u32 v17, s6, s7, v105
	s_delay_alu instid0(VALU_DEP_1)
	v_add_co_ci_u32_e64 v18, s6, s8, v106, s6
	global_load_b128 v[17:20], v[17:18], off offset:144
	s_waitcnt vmcnt(0)
	ds_store_b128 v140, v[17:20]
.LBB17_25:                              ;   in Loop: Header=BB17_19 Depth=1
	s_or_b32 exec_lo, exec_lo, s9
	s_and_saveexec_b32 s9, s3
	s_cbranch_execz .LBB17_27
; %bb.26:                               ;   in Loop: Header=BB17_19 Depth=1
	v_add_co_u32 v17, s6, s7, v107
	s_delay_alu instid0(VALU_DEP_1) | instskip(NEXT) | instid1(VALU_DEP_2)
	v_add_co_ci_u32_e64 v18, s6, s8, v108, s6
	v_add_co_u32 v16, s6, v17, v16
	s_delay_alu instid0(VALU_DEP_1)
	v_add_co_ci_u32_e64 v17, s6, 0, v18, s6
	global_load_b128 v[16:19], v[16:17], off offset:80
	s_waitcnt vmcnt(0)
	ds_store_b128 v141, v[16:19]
.LBB17_27:                              ;   in Loop: Header=BB17_19 Depth=1
	s_or_b32 exec_lo, exec_lo, s9
	s_waitcnt lgkmcnt(0)
	s_barrier
	buffer_gl0_inv
	ds_load_b128 v[16:19], v137 offset:14336
	ds_load_b128 v[20:23], v138 offset:80
	;; [unrolled: 1-line block ×9, first 2 shown]
	v_xor_b32_e32 v159, 16, v131
	v_xor_b32_e32 v160, 8, v131
	;; [unrolled: 1-line block ×5, first 2 shown]
	s_mul_hi_i32 s37, s35, s41
	s_mul_i32 s36, s35, s41
	v_lshlrev_b32_e32 v184, 2, v145
	s_lshl_b64 s[36:37], s[36:37], 2
	s_waitcnt lgkmcnt(7)
	;;#ASMSTART
	v_dot2_f32_f16 v0, v16, v20, v0
	;;#ASMEND
	;;#ASMSTART
	v_dot2_f32_f16 v0, v17, v21, v0
	;;#ASMEND
	;;#ASMSTART
	v_dot2_f32_f16 v0, v18, v22, v0
	;;#ASMEND
	;;#ASMSTART
	v_dot2_f32_f16 v0, v19, v23, v0
	;;#ASMEND
	s_waitcnt lgkmcnt(6)
	;;#ASMSTART
	v_dot2_f32_f16 v1, v16, v24, v1
	;;#ASMEND
	;;#ASMSTART
	v_dot2_f32_f16 v1, v17, v25, v1
	;;#ASMEND
	;;#ASMSTART
	v_dot2_f32_f16 v1, v18, v26, v1
	;;#ASMEND
	;;#ASMSTART
	v_dot2_f32_f16 v1, v19, v27, v1
	;;#ASMEND
	;; [unrolled: 13-line block ×8, first 2 shown]
	ds_load_b128 v[16:19], v137 offset:14352
	ds_load_b128 v[20:23], v138 offset:96
	;; [unrolled: 1-line block ×9, first 2 shown]
	s_add_u32 s36, s48, s36
	s_waitcnt lgkmcnt(7)
	;;#ASMSTART
	v_dot2_f32_f16 v0, v16, v20, v0
	;;#ASMEND
	;;#ASMSTART
	v_dot2_f32_f16 v0, v17, v21, v0
	;;#ASMEND
	;;#ASMSTART
	v_dot2_f32_f16 v0, v18, v22, v0
	;;#ASMEND
	;;#ASMSTART
	v_dot2_f32_f16 v0, v19, v23, v0
	;;#ASMEND
	s_waitcnt lgkmcnt(6)
	;;#ASMSTART
	v_dot2_f32_f16 v1, v16, v24, v1
	;;#ASMEND
	;;#ASMSTART
	v_dot2_f32_f16 v1, v17, v25, v1
	;;#ASMEND
	;;#ASMSTART
	v_dot2_f32_f16 v1, v18, v26, v1
	;;#ASMEND
	;;#ASMSTART
	v_dot2_f32_f16 v1, v19, v27, v1
	;;#ASMEND
	;; [unrolled: 13-line block ×8, first 2 shown]
	ds_load_b128 v[16:19], v137 offset:14368
	ds_load_b128 v[20:23], v138 offset:112
	;; [unrolled: 1-line block ×9, first 2 shown]
	s_waitcnt lgkmcnt(7)
	;;#ASMSTART
	v_dot2_f32_f16 v0, v16, v20, v0
	;;#ASMEND
	;;#ASMSTART
	v_dot2_f32_f16 v0, v17, v21, v0
	;;#ASMEND
	;;#ASMSTART
	v_dot2_f32_f16 v0, v18, v22, v0
	;;#ASMEND
	;;#ASMSTART
	v_dot2_f32_f16 v0, v19, v23, v0
	;;#ASMEND
	s_waitcnt lgkmcnt(6)
	;;#ASMSTART
	v_dot2_f32_f16 v1, v16, v24, v1
	;;#ASMEND
	;;#ASMSTART
	v_dot2_f32_f16 v1, v17, v25, v1
	;;#ASMEND
	;;#ASMSTART
	v_dot2_f32_f16 v1, v18, v26, v1
	;;#ASMEND
	;;#ASMSTART
	v_dot2_f32_f16 v1, v19, v27, v1
	;;#ASMEND
	;; [unrolled: 13-line block ×8, first 2 shown]
	ds_load_b128 v[16:19], v137 offset:14384
	ds_load_b128 v[20:23], v138 offset:128
	ds_load_b128 v[24:27], v138 offset:288
	ds_load_b128 v[28:31], v138 offset:448
	v_add_nc_u32_e32 v36, s35, v117
	ds_load_b128 v[32:35], v138 offset:608
	s_addc_u32 s37, s49, s37
	v_add_nc_u32_e32 v52, v36, v142
	v_add_nc_u32_e32 v54, v36, v143
	ds_load_b128 v[36:39], v138 offset:768
	ds_load_b128 v[40:43], v138 offset:928
	;; [unrolled: 1-line block ×4, first 2 shown]
	s_waitcnt lgkmcnt(7)
	;;#ASMSTART
	v_dot2_f32_f16 v0, v16, v20, v0
	;;#ASMEND
	;;#ASMSTART
	v_dot2_f32_f16 v0, v17, v21, v0
	;;#ASMEND
	;;#ASMSTART
	v_dot2_f32_f16 v0, v18, v22, v0
	;;#ASMEND
	;;#ASMSTART
	v_dot2_f32_f16 v0, v19, v23, v0
	;;#ASMEND
	s_waitcnt lgkmcnt(6)
	;;#ASMSTART
	v_dot2_f32_f16 v1, v16, v24, v1
	;;#ASMEND
	;;#ASMSTART
	v_dot2_f32_f16 v1, v17, v25, v1
	;;#ASMEND
	;;#ASMSTART
	v_dot2_f32_f16 v1, v18, v26, v1
	;;#ASMEND
	;;#ASMSTART
	v_dot2_f32_f16 v1, v19, v27, v1
	;;#ASMEND
	s_waitcnt lgkmcnt(5)
	;;#ASMSTART
	v_dot2_f32_f16 v2, v16, v28, v2
	;;#ASMEND
	;;#ASMSTART
	v_dot2_f32_f16 v2, v17, v29, v2
	;;#ASMEND
	;;#ASMSTART
	v_dot2_f32_f16 v2, v18, v30, v2
	;;#ASMEND
	;;#ASMSTART
	v_dot2_f32_f16 v2, v19, v31, v2
	;;#ASMEND
	s_waitcnt lgkmcnt(4)
	;;#ASMSTART
	v_dot2_f32_f16 v3, v16, v32, v3
	;;#ASMEND
	;;#ASMSTART
	v_dot2_f32_f16 v3, v17, v33, v3
	;;#ASMEND
	;;#ASMSTART
	v_dot2_f32_f16 v3, v18, v34, v3
	;;#ASMEND
	;;#ASMSTART
	v_dot2_f32_f16 v3, v19, v35, v3
	;;#ASMEND
	s_waitcnt lgkmcnt(3)
	;;#ASMSTART
	v_dot2_f32_f16 v4, v16, v36, v4
	;;#ASMEND
	;;#ASMSTART
	v_dot2_f32_f16 v4, v17, v37, v4
	;;#ASMEND
	;;#ASMSTART
	v_dot2_f32_f16 v4, v18, v38, v4
	;;#ASMEND
	;;#ASMSTART
	v_dot2_f32_f16 v4, v19, v39, v4
	;;#ASMEND
	s_waitcnt lgkmcnt(2)
	;;#ASMSTART
	v_dot2_f32_f16 v5, v16, v40, v5
	;;#ASMEND
	;;#ASMSTART
	v_dot2_f32_f16 v5, v17, v41, v5
	;;#ASMEND
	;;#ASMSTART
	v_dot2_f32_f16 v5, v18, v42, v5
	;;#ASMEND
	;;#ASMSTART
	v_dot2_f32_f16 v5, v19, v43, v5
	;;#ASMEND
	s_waitcnt lgkmcnt(1)
	;;#ASMSTART
	v_dot2_f32_f16 v6, v16, v44, v6
	;;#ASMEND
	;;#ASMSTART
	v_dot2_f32_f16 v6, v17, v45, v6
	;;#ASMEND
	;;#ASMSTART
	v_dot2_f32_f16 v6, v18, v46, v6
	;;#ASMEND
	;;#ASMSTART
	v_dot2_f32_f16 v6, v19, v47, v6
	;;#ASMEND
	s_waitcnt lgkmcnt(0)
	;;#ASMSTART
	v_dot2_f32_f16 v7, v16, v48, v7
	;;#ASMEND
	;;#ASMSTART
	v_dot2_f32_f16 v7, v17, v49, v7
	;;#ASMEND
	;;#ASMSTART
	v_dot2_f32_f16 v7, v18, v50, v7
	;;#ASMEND
	;;#ASMSTART
	v_dot2_f32_f16 v7, v19, v51, v7
	;;#ASMEND
	ds_load_b128 v[16:19], v137 offset:14400
	ds_load_b128 v[20:23], v138 offset:144
	v_ashrrev_i32_e32 v53, 31, v52
	v_ashrrev_i32_e32 v55, 31, v54
	ds_load_b128 v[24:27], v138 offset:304
	ds_load_b128 v[28:31], v138 offset:464
	;; [unrolled: 1-line block ×3, first 2 shown]
	v_lshlrev_b64 v[36:37], 1, v[52:53]
	v_lshlrev_b64 v[52:53], 1, v[54:55]
	s_delay_alu instid0(VALU_DEP_2) | instskip(NEXT) | instid1(VALU_DEP_1)
	v_add_co_u32 v54, s6, s42, v36
	v_add_co_ci_u32_e64 v55, s6, s43, v37, s6
	ds_load_b128 v[36:39], v138 offset:784
	ds_load_b128 v[40:43], v138 offset:944
	;; [unrolled: 1-line block ×4, first 2 shown]
	s_waitcnt lgkmcnt(7)
	;;#ASMSTART
	v_dot2_f32_f16 v0, v16, v20, v0
	;;#ASMEND
	;;#ASMSTART
	v_dot2_f32_f16 v0, v17, v21, v0
	;;#ASMEND
	;;#ASMSTART
	v_dot2_f32_f16 v0, v18, v22, v0
	;;#ASMEND
	;;#ASMSTART
	v_dot2_f32_f16 v0, v19, v23, v0
	;;#ASMEND
	s_waitcnt lgkmcnt(6)
	;;#ASMSTART
	v_dot2_f32_f16 v1, v16, v24, v1
	;;#ASMEND
	;;#ASMSTART
	v_dot2_f32_f16 v1, v17, v25, v1
	;;#ASMEND
	;;#ASMSTART
	v_dot2_f32_f16 v1, v18, v26, v1
	;;#ASMEND
	;;#ASMSTART
	v_dot2_f32_f16 v1, v19, v27, v1
	;;#ASMEND
	;; [unrolled: 13-line block ×7, first 2 shown]
	s_waitcnt lgkmcnt(0)
	;;#ASMSTART
	v_dot2_f32_f16 v7, v16, v48, v7
	;;#ASMEND
	v_add_co_u32 v16, s6, s42, v52
	;;#ASMSTART
	v_dot2_f32_f16 v7, v17, v49, v7
	;;#ASMEND
	v_add_co_ci_u32_e64 v17, s6, s43, v53, s6
	;;#ASMSTART
	v_dot2_f32_f16 v7, v18, v50, v7
	;;#ASMEND
	;;#ASMSTART
	v_dot2_f32_f16 v7, v19, v51, v7
	;;#ASMEND
	s_clause 0x1
	flat_load_u16 v18, v[54:55]
	flat_load_u16 v16, v[16:17]
	v_cmp_gt_i32_e64 s6, 32, v159
	v_max_f32_e32 v17, v9, v9
	v_dual_max_f32 v19, v8, v8 :: v_dual_max_f32 v20, v10, v10
	v_max_f32_e32 v25, v12, v12
	s_delay_alu instid0(VALU_DEP_4) | instskip(SKIP_3) | instid1(VALU_DEP_3)
	v_cndmask_b32_e64 v23, v131, v159, s6
	v_dual_max_f32 v24, v14, v14 :: v_dual_max_f32 v21, v13, v13
	v_cmp_gt_i32_e64 s6, 32, v160
	s_waitcnt vmcnt(0) lgkmcnt(0)
	v_lshlrev_b32_e32 v23, 2, v23
	s_barrier
	buffer_gl0_inv
	v_cvt_f32_f16_e32 v18, v18
	v_max_f32_e32 v22, v11, v11
	v_cvt_f32_f16_e32 v16, v16
	s_delay_alu instid0(VALU_DEP_3) | instskip(SKIP_1) | instid1(VALU_DEP_3)
	v_dual_max_f32 v26, v15, v15 :: v_dual_add_f32 v27, v1, v18
	v_add_f32_e32 v28, v0, v18
	v_dual_add_f32 v29, v3, v18 :: v_dual_add_f32 v30, v5, v16
	v_add_f32_e32 v31, v4, v16
	s_delay_alu instid0(VALU_DEP_4) | instskip(SKIP_1) | instid1(VALU_DEP_4)
	v_dual_add_f32 v1, 0x40051340, v27 :: v_dual_add_f32 v32, v7, v16
	v_add_f32_e32 v16, v6, v16
	v_dual_add_f32 v18, v2, v18 :: v_dual_add_f32 v3, 0x40051340, v29
	s_delay_alu instid0(VALU_DEP_3) | instskip(SKIP_1) | instid1(VALU_DEP_3)
	v_dual_max_f32 v1, v17, v1 :: v_dual_add_f32 v0, 0x40051340, v28
	v_add_f32_e32 v5, 0x40051340, v30
	v_dual_add_f32 v2, 0x40051340, v18 :: v_dual_add_f32 v7, 0x40051340, v32
	ds_bpermute_b32 v17, v23, v1
	v_dual_max_f32 v3, v20, v3 :: v_dual_max_f32 v0, v19, v0
	v_dual_add_f32 v6, 0x40051340, v16 :: v_dual_max_f32 v7, v25, v7
	v_dual_add_f32 v4, 0x40051340, v31 :: v_dual_max_f32 v5, v22, v5
	ds_bpermute_b32 v20, v23, v3
	ds_bpermute_b32 v25, v23, v7
	v_max_f32_e32 v6, v26, v6
	ds_bpermute_b32 v22, v23, v5
	v_cndmask_b32_e64 v26, v131, v160, s6
	v_cmp_gt_i32_e64 s6, 32, v161
	s_waitcnt lgkmcnt(3)
	v_max_f32_e32 v17, v17, v17
	ds_bpermute_b32 v19, v23, v0
	v_max_f32_e32 v2, v21, v2
	s_waitcnt lgkmcnt(3)
	v_dual_max_f32 v1, v1, v17 :: v_dual_max_f32 v20, v20, v20
	s_waitcnt lgkmcnt(1)
	v_dual_max_f32 v25, v25, v25 :: v_dual_max_f32 v22, v22, v22
	s_delay_alu instid0(VALU_DEP_2) | instskip(NEXT) | instid1(VALU_DEP_2)
	v_max_f32_e32 v3, v3, v20
	v_max_f32_e32 v7, v7, v25
	s_delay_alu instid0(VALU_DEP_3)
	v_max_f32_e32 v5, v5, v22
	s_waitcnt lgkmcnt(0)
	v_max_f32_e32 v19, v19, v19
	ds_bpermute_b32 v21, v23, v2
	v_max_f32_e32 v4, v24, v4
	s_waitcnt lgkmcnt(0)
	v_dual_max_f32 v0, v0, v19 :: v_dual_max_f32 v21, v21, v21
	ds_bpermute_b32 v24, v23, v4
	ds_bpermute_b32 v23, v23, v6
	v_lshlrev_b32_e32 v26, 2, v26
	s_waitcnt lgkmcnt(0)
	v_dual_max_f32 v24, v24, v24 :: v_dual_max_f32 v23, v23, v23
	ds_bpermute_b32 v19, v26, v0
	v_max_f32_e32 v2, v2, v21
	ds_bpermute_b32 v17, v26, v1
	v_max_f32_e32 v4, v4, v24
	ds_bpermute_b32 v22, v26, v5
	ds_bpermute_b32 v20, v26, v3
	;; [unrolled: 1-line block ×3, first 2 shown]
	s_waitcnt lgkmcnt(4)
	v_max_f32_e32 v19, v19, v19
	ds_bpermute_b32 v21, v26, v2
	s_waitcnt lgkmcnt(4)
	v_dual_max_f32 v17, v17, v17 :: v_dual_max_f32 v6, v6, v23
	ds_bpermute_b32 v23, v26, v4
	s_waitcnt lgkmcnt(4)
	v_dual_max_f32 v22, v22, v22 :: v_dual_max_f32 v1, v1, v17
	s_waitcnt lgkmcnt(2)
	s_delay_alu instid0(VALU_DEP_1) | instskip(NEXT) | instid1(VALU_DEP_1)
	v_dual_max_f32 v24, v24, v24 :: v_dual_max_f32 v5, v5, v22
	v_max_f32_e32 v7, v7, v24
	s_waitcnt lgkmcnt(1)
	v_max_f32_e32 v21, v21, v21
	ds_bpermute_b32 v25, v26, v6
	v_cndmask_b32_e64 v26, v131, v161, s6
	s_waitcnt lgkmcnt(1)
	v_dual_max_f32 v23, v23, v23 :: v_dual_max_f32 v20, v20, v20
	v_max_f32_e32 v2, v2, v21
	v_cmp_gt_i32_e64 s6, 32, v162
	v_lshlrev_b32_e32 v26, 2, v26
	ds_bpermute_b32 v17, v26, v1
	v_max_f32_e32 v4, v4, v23
	ds_bpermute_b32 v21, v26, v2
	ds_bpermute_b32 v22, v26, v5
	;; [unrolled: 1-line block ×3, first 2 shown]
	s_waitcnt lgkmcnt(4)
	v_dual_max_f32 v25, v25, v25 :: v_dual_max_f32 v0, v0, v19
	v_max_f32_e32 v3, v3, v20
	ds_bpermute_b32 v19, v26, v0
	ds_bpermute_b32 v20, v26, v3
	v_max_f32_e32 v6, v6, v25
	s_waitcnt lgkmcnt(5)
	v_max_f32_e32 v17, v17, v17
	ds_bpermute_b32 v23, v26, v4
	s_waitcnt lgkmcnt(3)
	v_dual_max_f32 v21, v21, v21 :: v_dual_max_f32 v24, v24, v24
	v_max_f32_e32 v1, v1, v17
	s_delay_alu instid0(VALU_DEP_2)
	v_max_f32_e32 v7, v7, v24
	s_waitcnt lgkmcnt(2)
	v_max_f32_e32 v19, v19, v19
	ds_bpermute_b32 v25, v26, v6
	v_cndmask_b32_e64 v26, v131, v162, s6
	s_waitcnt lgkmcnt(2)
	v_max_f32_e32 v20, v20, v20
	v_max_f32_e32 v22, v22, v22
	v_cmp_gt_i32_e64 s6, 32, v163
	s_waitcnt lgkmcnt(1)
	v_dual_max_f32 v23, v23, v23 :: v_dual_lshlrev_b32 v26, 2, v26
	v_dual_max_f32 v0, v0, v19 :: v_dual_max_f32 v3, v3, v20
	s_delay_alu instid0(VALU_DEP_2)
	v_max_f32_e32 v4, v4, v23
	ds_bpermute_b32 v17, v26, v1
	ds_bpermute_b32 v19, v26, v0
	;; [unrolled: 1-line block ×5, first 2 shown]
	s_waitcnt lgkmcnt(5)
	v_max_f32_e32 v25, v25, v25
	v_dual_max_f32 v2, v2, v21 :: v_dual_max_f32 v5, v5, v22
	s_delay_alu instid0(VALU_DEP_2)
	v_max_f32_e32 v6, v6, v25
	ds_bpermute_b32 v21, v26, v2
	ds_bpermute_b32 v22, v26, v5
	s_waitcnt lgkmcnt(6)
	v_max_f32_e32 v17, v17, v17
	s_waitcnt lgkmcnt(5)
	v_max_f32_e32 v19, v19, v19
	ds_bpermute_b32 v25, v26, v6
	v_cndmask_b32_e64 v26, v131, v163, s6
	s_waitcnt lgkmcnt(3)
	v_dual_max_f32 v20, v20, v20 :: v_dual_max_f32 v23, v23, v23
	v_dual_max_f32 v24, v24, v24 :: v_dual_max_f32 v1, v1, v17
	v_max_f32_e32 v0, v0, v19
	v_lshlrev_b32_e32 v26, 2, v26
	s_delay_alu instid0(VALU_DEP_4)
	v_max_f32_e32 v4, v4, v23
	ds_bpermute_b32 v17, v26, v1
	s_waitcnt lgkmcnt(2)
	v_dual_max_f32 v21, v21, v21 :: v_dual_max_f32 v22, v22, v22
	v_max_f32_e32 v3, v3, v20
	ds_bpermute_b32 v19, v26, v0
	ds_bpermute_b32 v23, v26, v4
	v_dual_max_f32 v2, v2, v21 :: v_dual_max_f32 v5, v5, v22
	s_waitcnt lgkmcnt(3)
	v_max_f32_e32 v25, v25, v25
	v_max_f32_e32 v7, v7, v24
	ds_bpermute_b32 v20, v26, v3
	ds_bpermute_b32 v21, v26, v2
	;; [unrolled: 1-line block ×3, first 2 shown]
	v_max_f32_e32 v6, v6, v25
	ds_bpermute_b32 v24, v26, v7
	ds_bpermute_b32 v25, v26, v6
	s_waitcnt lgkmcnt(7)
	v_max_f32_e32 v17, v17, v17
	s_waitcnt lgkmcnt(4)
	v_dual_max_f32 v19, v19, v19 :: v_dual_max_f32 v20, v20, v20
	s_waitcnt lgkmcnt(2)
	v_dual_max_f32 v21, v21, v21 :: v_dual_max_f32 v22, v22, v22
	s_delay_alu instid0(VALU_DEP_2) | instskip(SKIP_2) | instid1(VALU_DEP_3)
	v_max_f32_e32 v0, v0, v19
	s_waitcnt lgkmcnt(1)
	v_dual_max_f32 v24, v24, v24 :: v_dual_max_f32 v23, v23, v23
	v_max_f32_e32 v2, v2, v21
	v_max_f32_e32 v1, v1, v17
	s_waitcnt lgkmcnt(0)
	v_max_f32_e32 v25, v25, v25
	v_dual_max_f32 v3, v3, v20 :: v_dual_max_f32 v4, v4, v23
	s_delay_alu instid0(VALU_DEP_3) | instskip(SKIP_1) | instid1(VALU_DEP_4)
	v_dual_max_f32 v7, v7, v24 :: v_dual_sub_f32 v182, v9, v1
	v_sub_f32_e32 v17, v27, v1
	v_dual_max_f32 v5, v5, v22 :: v_dual_max_f32 v6, v6, v25
	s_delay_alu instid0(VALU_DEP_4)
	v_dual_sub_f32 v181, v8, v0 :: v_dual_sub_f32 v180, v10, v3
	v_dual_sub_f32 v8, v28, v0 :: v_dual_sub_f32 v179, v13, v2
	v_sub_f32_e32 v10, v31, v4
	v_dual_sub_f32 v177, v14, v4 :: v_dual_sub_f32 v176, v12, v7
	v_dual_mul_f32 v12, 0x3fb8aa3b, v17 :: v_dual_sub_f32 v9, v18, v2
	v_dual_sub_f32 v178, v11, v5 :: v_dual_sub_f32 v13, v29, v3
	v_dual_sub_f32 v14, v30, v5 :: v_dual_sub_f32 v175, v15, v6
	v_dual_sub_f32 v11, v16, v6 :: v_dual_mul_f32 v16, 0x3fb8aa3b, v8
	s_delay_alu instid0(VALU_DEP_3)
	v_mul_f32_e32 v18, 0x3fb8aa3b, v13
	v_rndne_f32_e32 v25, v12
	v_mul_f32_e32 v21, 0x3fb8aa3b, v10
	v_dual_sub_f32 v15, v32, v7 :: v_dual_mul_f32 v20, 0x3fb8aa3b, v14
	v_mul_f32_e32 v19, 0x3fb8aa3b, v9
	v_fma_f32 v24, 0x3fb8aa3b, v17, -v12
	v_fma_f32 v26, 0x3fb8aa3b, v8, -v16
	s_delay_alu instid0(VALU_DEP_4)
	v_mul_f32_e32 v22, 0x3fb8aa3b, v15
	v_sub_f32_e32 v12, v12, v25
	v_fma_f32 v34, 0x3fb8aa3b, v10, -v21
	v_rndne_f32_e32 v35, v21
	v_rndne_f32_e32 v27, v16
	v_fma_f32 v30, 0x3fb8aa3b, v9, -v19
	v_rndne_f32_e32 v31, v19
	v_fmac_f32_e32 v24, 0x32a5705f, v17
	v_dual_fmac_f32 v26, 0x32a5705f, v8 :: v_dual_sub_f32 v21, v21, v35
	v_fmac_f32_e32 v34, 0x32a5705f, v10
	v_fma_f32 v28, 0x3fb8aa3b, v13, -v18
	v_rndne_f32_e32 v29, v18
	v_mul_f32_e32 v23, 0x3fb8aa3b, v11
	s_delay_alu instid0(VALU_DEP_4)
	v_dual_fmac_f32 v30, 0x32a5705f, v9 :: v_dual_add_f32 v21, v21, v34
	v_sub_f32_e32 v19, v19, v31
	v_sub_f32_e32 v16, v16, v27
	v_add_f32_e32 v12, v12, v24
	v_sub_f32_e32 v18, v18, v29
	v_rndne_f32_e32 v39, v23
	v_dual_add_f32 v19, v19, v30 :: v_dual_fmac_f32 v28, 0x32a5705f, v13
	v_add_f32_e32 v16, v16, v26
	v_exp_f32_e32 v12, v12
	v_fma_f32 v32, 0x3fb8aa3b, v14, -v20
	v_rndne_f32_e32 v33, v20
	v_fma_f32 v38, 0x3fb8aa3b, v11, -v23
	v_sub_f32_e32 v23, v23, v39
	v_cvt_i32_f32_e32 v25, v25
	v_add_f32_e32 v18, v18, v28
	v_exp_f32_e32 v16, v16
	v_cvt_i32_f32_e32 v27, v27
	v_fmac_f32_e32 v32, 0x32a5705f, v14
	v_fmac_f32_e32 v38, 0x32a5705f, v11
	v_sub_f32_e32 v20, v20, v33
	v_exp_f32_e32 v18, v18
	v_ldexp_f32 v12, v12, v25
	v_cmp_ngt_f32_e64 s22, 0xc2ce8ed0, v17
	v_add_f32_e32 v23, v23, v38
	v_fma_f32 v36, 0x3fb8aa3b, v15, -v22
	v_rndne_f32_e32 v37, v22
	v_cvt_i32_f32_e32 v29, v29
	v_add_f32_e32 v20, v20, v32
	v_exp_f32_e32 v19, v19
	v_ldexp_f32 v16, v16, v27
	v_cndmask_b32_e64 v12, 0, v12, s22
	v_cmp_ngt_f32_e64 s22, 0xc2ce8ed0, v8
	v_cvt_i32_f32_e32 v31, v31
	v_fmac_f32_e32 v36, 0x32a5705f, v15
	v_sub_f32_e32 v22, v22, v37
	v_exp_f32_e32 v20, v20
	v_ldexp_f32 v18, v18, v29
	v_cndmask_b32_e64 v16, 0, v16, s22
	v_cmp_ngt_f32_e64 s22, 0xc2ce8ed0, v13
	v_cvt_i32_f32_e32 v33, v33
	v_add_f32_e32 v22, v22, v36
	v_exp_f32_e32 v21, v21
	v_ldexp_f32 v19, v19, v31
	v_cndmask_b32_e64 v18, 0, v18, s22
	v_cmp_ngt_f32_e64 s22, 0xc2ce8ed0, v9
	v_cvt_i32_f32_e32 v35, v35
	v_exp_f32_e32 v22, v22
	v_ldexp_f32 v20, v20, v33
	v_exp_f32_e32 v23, v23
	v_cndmask_b32_e64 v19, 0, v19, s22
	v_cmp_ngt_f32_e64 s22, 0xc2ce8ed0, v14
	v_cvt_i32_f32_e32 v24, v37
	v_ldexp_f32 v21, v21, v35
	v_cvt_i32_f32_e32 v26, v39
	v_cmp_ngt_f32_e64 s9, 0xc2ce8ed0, v181
	v_cndmask_b32_e64 v20, 0, v20, s22
	v_cmp_ngt_f32_e64 s22, 0xc2ce8ed0, v10
	v_ldexp_f32 v22, v22, v24
	v_ldexp_f32 v23, v23, v26
	v_cmp_nlt_f32_e64 s6, 0x42b17218, v181
	v_cmp_ngt_f32_e64 s12, 0xc2ce8ed0, v182
	v_cndmask_b32_e64 v21, 0, v21, s22
	v_cmp_ngt_f32_e64 s22, 0xc2ce8ed0, v15
	v_cmp_nlt_f32_e64 s7, 0x42b17218, v182
	v_cmp_ngt_f32_e64 s13, 0xc2ce8ed0, v179
	v_cmp_nlt_f32_e64 s8, 0x42b17218, v179
	v_cmp_ngt_f32_e64 s17, 0xc2ce8ed0, v180
	v_cndmask_b32_e64 v22, 0, v22, s22
	v_cmp_ngt_f32_e64 s22, 0xc2ce8ed0, v11
	v_cmp_nlt_f32_e64 s10, 0x42b17218, v180
	v_cmp_ngt_f32_e64 s18, 0xc2ce8ed0, v177
	v_cmp_nlt_f32_e64 s11, 0x42b17218, v177
	v_cmp_ngt_f32_e64 s19, 0xc2ce8ed0, v178
	v_cndmask_b32_e64 v23, 0, v23, s22
	v_cmp_nlt_f32_e64 s22, 0x42b17218, v17
	v_cmp_nlt_f32_e64 s15, 0x42b17218, v178
	v_cmp_ngt_f32_e64 s20, 0xc2ce8ed0, v175
	v_cmp_nlt_f32_e64 s16, 0x42b17218, v175
	v_cmp_ngt_f32_e64 s21, 0xc2ce8ed0, v176
	v_cndmask_b32_e64 v168, 0x7f800000, v12, s22
	v_cmp_nlt_f32_e64 s22, 0x42b17218, v8
	s_delay_alu instid0(VALU_DEP_2) | instskip(NEXT) | instid1(VALU_DEP_2)
	v_cvt_f16_f32_e64 v8, v168
	v_cndmask_b32_e64 v171, 0x7f800000, v16, s22
	v_cmp_nlt_f32_e64 s22, 0x42b17218, v13
	s_delay_alu instid0(VALU_DEP_1) | instskip(SKIP_1) | instid1(VALU_DEP_2)
	v_cndmask_b32_e64 v166, 0x7f800000, v18, s22
	v_cmp_nlt_f32_e64 s22, 0x42b17218, v9
	v_cvt_f16_f32_e64 v9, v166
	s_delay_alu instid0(VALU_DEP_2) | instskip(SKIP_1) | instid1(VALU_DEP_2)
	v_cndmask_b32_e64 v170, 0x7f800000, v19, s22
	v_cmp_nlt_f32_e64 s22, 0x42b17218, v14
	v_cvt_f16_f32_e64 v14, v170
	s_delay_alu instid0(VALU_DEP_2) | instskip(SKIP_1) | instid1(VALU_DEP_3)
	v_cndmask_b32_e64 v165, 0x7f800000, v20, s22
	v_cmp_nlt_f32_e64 s22, 0x42b17218, v10
	v_pack_b32_f16 v9, v14, v9
	s_delay_alu instid0(VALU_DEP_3) | instskip(NEXT) | instid1(VALU_DEP_3)
	v_cvt_f16_f32_e64 v10, v165
	v_cndmask_b32_e64 v169, 0x7f800000, v21, s22
	v_cmp_nlt_f32_e64 s22, 0x42b17218, v15
	v_cvt_f16_f32_e64 v15, v171
	s_delay_alu instid0(VALU_DEP_3) | instskip(NEXT) | instid1(VALU_DEP_3)
	v_cvt_f16_f32_e64 v13, v169
	v_cndmask_b32_e64 v164, 0x7f800000, v22, s22
	v_cmp_nlt_f32_e64 s22, 0x42b17218, v11
	s_delay_alu instid0(VALU_DEP_4) | instskip(NEXT) | instid1(VALU_DEP_4)
	v_pack_b32_f16 v8, v15, v8
	v_pack_b32_f16 v10, v13, v10
	s_delay_alu instid0(VALU_DEP_4) | instskip(NEXT) | instid1(VALU_DEP_4)
	v_cvt_f16_f32_e64 v11, v164
	v_cndmask_b32_e64 v167, 0x7f800000, v23, s22
	v_cmp_nlt_f32_e64 s22, 0x42b17218, v176
	s_delay_alu instid0(VALU_DEP_2) | instskip(NEXT) | instid1(VALU_DEP_1)
	v_cvt_f16_f32_e64 v12, v167
	v_pack_b32_f16 v11, v12, v11
	ds_store_b128 v150, v[8:11]
	s_and_saveexec_b32 s50, s4
	s_cbranch_execz .LBB17_29
; %bb.28:                               ;   in Loop: Header=BB17_19 Depth=1
	v_add_co_u32 v8, s23, s36, v109
	s_delay_alu instid0(VALU_DEP_1) | instskip(NEXT) | instid1(VALU_DEP_2)
	v_add_co_ci_u32_e64 v9, s23, s37, v110, s23
	v_add_co_u32 v8, s23, v8, v184
	s_delay_alu instid0(VALU_DEP_1)
	v_add_co_ci_u32_e64 v9, s23, 0, v9, s23
	global_load_b128 v[8:11], v[8:9], off offset:128
	s_waitcnt vmcnt(0)
	ds_store_b128 v148, v[8:11]
.LBB17_29:                              ;   in Loop: Header=BB17_19 Depth=1
	s_or_b32 exec_lo, exec_lo, s50
	v_lshlrev_b32_e32 v183, 2, v146
	s_and_saveexec_b32 s50, s5
	s_cbranch_execz .LBB17_31
; %bb.30:                               ;   in Loop: Header=BB17_19 Depth=1
	v_add_co_u32 v8, s23, s36, v111
	s_delay_alu instid0(VALU_DEP_1) | instskip(NEXT) | instid1(VALU_DEP_2)
	v_add_co_ci_u32_e64 v9, s23, s37, v112, s23
	v_add_co_u32 v8, s23, v8, v183
	s_delay_alu instid0(VALU_DEP_1)
	v_add_co_ci_u32_e64 v9, s23, 0, v9, s23
	global_load_b128 v[8:11], v[8:9], off
	s_waitcnt vmcnt(0)
	ds_store_b128 v149, v[8:11]
.LBB17_31:                              ;   in Loop: Header=BB17_19 Depth=1
	s_or_b32 exec_lo, exec_lo, s50
	v_add_nc_u32_e32 v174, 0x3800, v147
	s_waitcnt lgkmcnt(0)
	s_barrier
	buffer_gl0_inv
	v_add_nc_u32_e32 v173, 0x3c00, v147
	ds_load_2addr_b64 v[92:95], v174 offset1:20
	ds_load_b128 v[100:103], v144
	ds_load_b128 v[96:99], v144 offset:16
	ds_load_b128 v[88:91], v144 offset:32
	ds_load_b128 v[80:83], v144 offset:48
	ds_load_2addr_b64 v[84:87], v174 offset0:40 offset1:60
	ds_load_2addr_b64 v[68:71], v174 offset0:80 offset1:100
	ds_load_b128 v[76:79], v144 offset:64
	ds_load_b128 v[72:75], v144 offset:80
	ds_load_2addr_b64 v[56:59], v174 offset0:120 offset1:140
	ds_load_b128 v[64:67], v144 offset:96
	ds_load_b128 v[60:63], v144 offset:112
	;; [unrolled: 3-line block ×3, first 2 shown]
	ds_load_2addr_b64 v[32:35], v174 offset0:200 offset1:220
	v_add_nc_u32_e32 v172, 0x4000, v147
	ds_load_b128 v[44:47], v144 offset:160
	ds_load_b128 v[36:39], v144 offset:176
	ds_load_2addr_b64 v[20:23], v173 offset0:112 offset1:132
	ds_load_b128 v[28:31], v144 offset:192
	ds_load_b128 v[24:27], v144 offset:208
	ds_load_2addr_b64 v[8:11], v172 offset0:24 offset1:44
	ds_load_b128 v[16:19], v144 offset:224
	ds_load_b128 v[12:15], v144 offset:240
	s_or_b32 s23, s35, 16
	s_waitcnt lgkmcnt(0)
	s_mul_hi_i32 s37, s23, s41
	s_mul_i32 s36, s23, s41
	s_barrier
	s_lshl_b64 s[36:37], s[36:37], 2
	buffer_gl0_inv
	s_add_u32 s36, s48, s36
	s_addc_u32 s37, s49, s37
	s_and_saveexec_b32 s50, s4
	s_cbranch_execz .LBB17_33
; %bb.32:                               ;   in Loop: Header=BB17_19 Depth=1
	v_add_co_u32 v185, s23, s36, v109
	s_delay_alu instid0(VALU_DEP_1) | instskip(NEXT) | instid1(VALU_DEP_2)
	v_add_co_ci_u32_e64 v186, s23, s37, v110, s23
	v_add_co_u32 v184, s23, v185, v184
	s_delay_alu instid0(VALU_DEP_1)
	v_add_co_ci_u32_e64 v185, s23, 0, v186, s23
	global_load_b128 v[184:187], v[184:185], off offset:128
	s_waitcnt vmcnt(0)
	ds_store_b128 v148, v[184:187]
.LBB17_33:                              ;   in Loop: Header=BB17_19 Depth=1
	s_or_b32 exec_lo, exec_lo, s50
	v_dual_mul_f32 v186, 0x3fb8aa3b, v179 :: v_dual_mul_f32 v187, 0x3fb8aa3b, v180
	v_dual_mul_f32 v190, 0x3fb8aa3b, v175 :: v_dual_mul_f32 v191, 0x3fb8aa3b, v176
	v_dual_mul_f32 v184, 0x3fb8aa3b, v181 :: v_dual_mul_f32 v185, 0x3fb8aa3b, v182
	v_dual_mul_f32 v188, 0x3fb8aa3b, v177 :: v_dual_mul_f32 v189, 0x3fb8aa3b, v178
	s_delay_alu instid0(VALU_DEP_4)
	v_fma_f32 v196, 0x3fb8aa3b, v179, -v186
	v_rndne_f32_e32 v197, v186
	v_fma_f32 v198, 0x3fb8aa3b, v180, -v187
	v_fma_f32 v204, 0x3fb8aa3b, v175, -v190
	v_rndne_f32_e32 v205, v190
	v_fma_f32 v192, 0x3fb8aa3b, v181, -v184
	v_rndne_f32_e32 v193, v184
	;; [unrolled: 2-line block ×3, first 2 shown]
	v_rndne_f32_e32 v199, v187
	v_fma_f32 v200, 0x3fb8aa3b, v177, -v188
	v_rndne_f32_e32 v201, v188
	v_fma_f32 v202, 0x3fb8aa3b, v178, -v189
	;; [unrolled: 2-line block ×3, first 2 shown]
	v_rndne_f32_e32 v207, v191
	v_dual_fmac_f32 v196, 0x32a5705f, v179 :: v_dual_sub_f32 v179, v186, v197
	v_fmac_f32_e32 v198, 0x32a5705f, v180
	v_dual_fmac_f32 v204, 0x32a5705f, v175 :: v_dual_sub_f32 v175, v190, v205
	s_delay_alu instid0(VALU_DEP_3)
	v_dual_fmac_f32 v192, 0x32a5705f, v181 :: v_dual_add_f32 v179, v179, v196
	v_dual_sub_f32 v181, v184, v193 :: v_dual_fmac_f32 v194, 0x32a5705f, v182
	v_sub_f32_e32 v182, v185, v195
	v_sub_f32_e32 v180, v187, v199
	v_dual_fmac_f32 v200, 0x32a5705f, v177 :: v_dual_add_f32 v175, v175, v204
	v_dual_sub_f32 v177, v188, v201 :: v_dual_fmac_f32 v202, 0x32a5705f, v178
	v_sub_f32_e32 v178, v189, v203
	v_fmac_f32_e32 v206, 0x32a5705f, v176
	s_delay_alu instid0(VALU_DEP_3) | instskip(SKIP_3) | instid1(VALU_DEP_4)
	v_dual_sub_f32 v176, v191, v207 :: v_dual_add_f32 v177, v177, v200
	v_dual_add_f32 v181, v181, v192 :: v_dual_add_f32 v182, v182, v194
	v_add_f32_e32 v180, v180, v198
	v_add_f32_e32 v178, v178, v202
	;; [unrolled: 1-line block ×3, first 2 shown]
	s_delay_alu instid0(VALU_DEP_4)
	v_exp_f32_e32 v181, v181
	v_exp_f32_e32 v182, v182
	;; [unrolled: 1-line block ×8, first 2 shown]
	v_cvt_i32_f32_e32 v184, v193
	v_cvt_i32_f32_e32 v185, v195
	;; [unrolled: 1-line block ×8, first 2 shown]
	v_ldexp_f32 v181, v181, v184
	v_ldexp_f32 v182, v182, v185
	;; [unrolled: 1-line block ×8, first 2 shown]
	v_cndmask_b32_e64 v181, 0, v181, s9
	v_cndmask_b32_e64 v184, 0, v182, s12
	;; [unrolled: 1-line block ×16, first 2 shown]
	s_and_saveexec_b32 s7, s5
	s_cbranch_execz .LBB17_35
; %bb.34:                               ;   in Loop: Header=BB17_19 Depth=1
	v_add_co_u32 v184, s6, s36, v111
	s_delay_alu instid0(VALU_DEP_1) | instskip(NEXT) | instid1(VALU_DEP_2)
	v_add_co_ci_u32_e64 v185, s6, s37, v112, s6
	v_add_co_u32 v183, s6, v184, v183
	s_delay_alu instid0(VALU_DEP_1)
	v_add_co_ci_u32_e64 v184, s6, 0, v185, s6
	global_load_b128 v[183:186], v[183:184], off
	s_waitcnt vmcnt(0)
	ds_store_b128 v149, v[183:186]
.LBB17_35:                              ;   in Loop: Header=BB17_19 Depth=1
	s_or_b32 exec_lo, exec_lo, s7
	v_dual_fmac_f32 v166, v157, v179 :: v_dual_fmac_f32 v165, v152, v177
	v_cvt_f16_f32_e64 v152, v181
	v_dual_fmac_f32 v167, v153, v176 :: v_dual_fmac_f32 v164, v151, v175
	v_cvt_f16_f32_e64 v151, v180
	v_cvt_f16_f32_e64 v153, v179
	s_delay_alu instid0(VALU_DEP_4)
	v_pk_mul_f16 v133, v152, v133 op_sel_hi:[0,1]
	v_pk_mul_f16 v134, v152, v134 op_sel_hi:[0,1]
	v_cvt_f16_f32_e64 v152, v178
	v_dual_fmac_f32 v171, v154, v182 :: v_dual_fmac_f32 v168, v155, v181
	v_cvt_f16_f32_e64 v154, v182
	v_pk_mul_f16 v129, v151, v129 op_sel_hi:[0,1]
	v_pk_mul_f16 v130, v151, v130 op_sel_hi:[0,1]
	;; [unrolled: 1-line block ×4, first 2 shown]
	v_cvt_f16_f32_e64 v151, v177
	v_pk_mul_f16 v125, v152, v125 op_sel_hi:[0,1]
	v_cvt_f16_f32_e64 v153, v176
	v_pk_mul_f16 v126, v152, v126 op_sel_hi:[0,1]
	;; [unrolled: 2-line block ×3, first 2 shown]
	v_pk_mul_f16 v136, v154, v136 op_sel_hi:[0,1]
	v_pk_mul_f16 v123, v151, v123 op_sel_hi:[0,1]
	;; [unrolled: 1-line block ×7, first 2 shown]
	v_pk_fma_f16 v135, v92, v100, v135 op_sel_hi:[1,0,1]
	v_pk_fma_f16 v133, v92, v100, v133 op_sel:[0,1,0]
	v_pk_fma_f16 v129, v92, v101, v129 op_sel_hi:[1,0,1]
	v_pk_fma_f16 v127, v92, v101, v127 op_sel:[0,1,0]
	;; [unrolled: 2-line block ×120, first 2 shown]
	s_waitcnt lgkmcnt(0)
	s_barrier
	buffer_gl0_inv
	ds_load_2addr_b64 v[16:19], v174 offset1:20
	ds_load_b128 v[20:23], v144 offset:256
	v_pk_fma_f16 v38, v10, v12, v27 op_sel_hi:[1,0,1]
	v_pk_fma_f16 v31, v10, v12, v31 op_sel:[0,1,0]
	v_pk_fma_f16 v32, v10, v13, v32 op_sel_hi:[1,0,1]
	v_pk_fma_f16 v33, v10, v13, v33 op_sel:[0,1,0]
	v_pk_fma_f16 v34, v10, v14, v34 op_sel_hi:[1,0,1]
	v_pk_fma_f16 v35, v10, v14, v35 op_sel:[0,1,0]
	v_pk_fma_f16 v36, v10, v15, v36 op_sel_hi:[1,0,1]
	v_pk_fma_f16 v39, v10, v15, v8 op_sel:[0,1,0]
	v_pk_fma_f16 v37, v11, v12, v37 op_sel_hi:[1,0,1]
	v_pk_fma_f16 v40, v11, v12, v24 op_sel:[0,1,0]
	v_pk_fma_f16 v28, v11, v13, v28 op_sel_hi:[1,0,1]
	v_pk_fma_f16 v29, v11, v14, v29 op_sel_hi:[1,0,1]
	v_pk_fma_f16 v41, v11, v13, v25 op_sel:[0,1,0]
	v_pk_fma_f16 v42, v11, v14, v26 op_sel:[0,1,0]
	v_pk_fma_f16 v43, v11, v15, v30 op_sel_hi:[1,0,1]
	v_pk_fma_f16 v44, v11, v15, v9 op_sel:[0,1,0]
	ds_load_b128 v[8:11], v144 offset:272
	ds_load_b128 v[12:15], v144 offset:288
	;; [unrolled: 1-line block ×3, first 2 shown]
	v_dual_fmac_f32 v170, v156, v180 :: v_dual_fmac_f32 v169, v158, v178
	s_waitcnt lgkmcnt(3)
	v_pk_fma_f16 v38, v16, v20, v38 op_sel_hi:[1,0,1]
	v_pk_fma_f16 v45, v16, v20, v31 op_sel:[0,1,0]
	v_pk_fma_f16 v32, v16, v21, v32 op_sel_hi:[1,0,1]
	v_pk_fma_f16 v33, v16, v21, v33 op_sel:[0,1,0]
	;; [unrolled: 2-line block ×5, first 2 shown]
	v_pk_fma_f16 v39, v17, v21, v28 op_sel_hi:[1,0,1]
	v_pk_fma_f16 v40, v17, v22, v29 op_sel_hi:[1,0,1]
	ds_load_2addr_b64 v[28:31], v174 offset0:40 offset1:60
	v_pk_fma_f16 v21, v17, v21, v41 op_sel:[0,1,0]
	v_pk_fma_f16 v22, v17, v22, v42 op_sel:[0,1,0]
	v_pk_fma_f16 v41, v17, v23, v43 op_sel_hi:[1,0,1]
	v_pk_fma_f16 v17, v17, v23, v44 op_sel:[0,1,0]
	s_waitcnt lgkmcnt(3)
	v_pk_fma_f16 v23, v18, v8, v38 op_sel_hi:[1,0,1]
	v_pk_fma_f16 v38, v18, v8, v45 op_sel:[0,1,0]
	v_pk_fma_f16 v32, v18, v9, v32 op_sel_hi:[1,0,1]
	v_pk_fma_f16 v33, v18, v9, v33 op_sel:[0,1,0]
	v_pk_fma_f16 v34, v18, v10, v34 op_sel_hi:[1,0,1]
	v_pk_fma_f16 v35, v18, v10, v35 op_sel:[0,1,0]
	v_pk_fma_f16 v36, v18, v11, v36 op_sel_hi:[1,0,1]
	v_pk_fma_f16 v16, v18, v11, v16 op_sel:[0,1,0]
	v_pk_fma_f16 v18, v19, v8, v37 op_sel_hi:[1,0,1]
	v_pk_fma_f16 v8, v19, v8, v20 op_sel:[0,1,0]
	v_pk_fma_f16 v20, v19, v9, v39 op_sel_hi:[1,0,1]
	v_pk_fma_f16 v9, v19, v9, v21 op_sel:[0,1,0]
	v_pk_fma_f16 v21, v19, v10, v40 op_sel_hi:[1,0,1]
	v_pk_fma_f16 v10, v19, v10, v22 op_sel:[0,1,0]
	v_pk_fma_f16 v22, v19, v11, v41 op_sel_hi:[1,0,1]
	v_pk_fma_f16 v37, v19, v11, v17 op_sel:[0,1,0]
	s_waitcnt lgkmcnt(0)
	v_pk_fma_f16 v23, v28, v12, v23 op_sel_hi:[1,0,1]
	v_pk_fma_f16 v38, v28, v12, v38 op_sel:[0,1,0]
	v_pk_fma_f16 v32, v28, v13, v32 op_sel_hi:[1,0,1]
	v_pk_fma_f16 v33, v28, v13, v33 op_sel:[0,1,0]
	;; [unrolled: 2-line block ×7, first 2 shown]
	ds_load_2addr_b64 v[8:11], v174 offset0:80 offset1:100
	ds_load_b128 v[16:19], v144 offset:320
	v_pk_fma_f16 v22, v29, v15, v22 op_sel_hi:[1,0,1]
	v_pk_fma_f16 v29, v29, v15, v37 op_sel:[0,1,0]
	v_pk_fma_f16 v23, v30, v24, v23 op_sel_hi:[1,0,1]
	v_pk_fma_f16 v37, v30, v24, v38 op_sel:[0,1,0]
	v_pk_fma_f16 v32, v30, v25, v32 op_sel_hi:[1,0,1]
	v_pk_fma_f16 v33, v30, v25, v33 op_sel:[0,1,0]
	v_pk_fma_f16 v34, v30, v26, v34 op_sel_hi:[1,0,1]
	v_pk_fma_f16 v35, v30, v26, v35 op_sel:[0,1,0]
	v_pk_fma_f16 v36, v30, v27, v36 op_sel_hi:[1,0,1]
	v_pk_fma_f16 v28, v30, v27, v28 op_sel:[0,1,0]
	v_pk_fma_f16 v30, v31, v24, v39 op_sel_hi:[1,0,1]
	v_pk_fma_f16 v24, v31, v24, v12 op_sel:[0,1,0]
	v_pk_fma_f16 v20, v31, v25, v20 op_sel_hi:[1,0,1]
	v_pk_fma_f16 v25, v31, v25, v13 op_sel:[0,1,0]
	v_pk_fma_f16 v21, v31, v26, v21 op_sel_hi:[1,0,1]
	v_pk_fma_f16 v26, v31, v26, v14 op_sel:[0,1,0]
	ds_load_b128 v[12:15], v144 offset:336
	v_pk_fma_f16 v38, v31, v27, v22 op_sel_hi:[1,0,1]
	v_pk_fma_f16 v29, v31, v27, v29 op_sel:[0,1,0]
	s_waitcnt lgkmcnt(1)
	v_pk_fma_f16 v31, v8, v16, v23 op_sel_hi:[1,0,1]
	v_pk_fma_f16 v37, v8, v16, v37 op_sel:[0,1,0]
	v_pk_fma_f16 v32, v8, v17, v32 op_sel_hi:[1,0,1]
	v_pk_fma_f16 v33, v8, v17, v33 op_sel:[0,1,0]
	v_pk_fma_f16 v34, v8, v18, v34 op_sel_hi:[1,0,1]
	v_pk_fma_f16 v35, v8, v18, v35 op_sel:[0,1,0]
	v_pk_fma_f16 v36, v8, v19, v36 op_sel_hi:[1,0,1]
	v_pk_fma_f16 v8, v8, v19, v28 op_sel:[0,1,0]
	v_pk_fma_f16 v28, v9, v16, v30 op_sel_hi:[1,0,1]
	v_pk_fma_f16 v16, v9, v16, v24 op_sel:[0,1,0]
	v_pk_fma_f16 v30, v9, v17, v20 op_sel_hi:[1,0,1]
	v_pk_fma_f16 v17, v9, v17, v25 op_sel:[0,1,0]
	v_pk_fma_f16 v39, v9, v18, v21 op_sel_hi:[1,0,1]
	v_pk_fma_f16 v18, v9, v18, v26 op_sel:[0,1,0]
	ds_load_2addr_b64 v[20:23], v174 offset0:120 offset1:140
	ds_load_b128 v[24:27], v144 offset:352
	v_pk_fma_f16 v38, v9, v19, v38 op_sel_hi:[1,0,1]
	v_pk_fma_f16 v9, v9, v19, v29 op_sel:[0,1,0]
	s_waitcnt lgkmcnt(2)
	v_pk_fma_f16 v29, v10, v12, v31 op_sel_hi:[1,0,1]
	v_pk_fma_f16 v31, v10, v12, v37 op_sel:[0,1,0]
	v_pk_fma_f16 v32, v10, v13, v32 op_sel_hi:[1,0,1]
	v_pk_fma_f16 v33, v10, v13, v33 op_sel:[0,1,0]
	v_pk_fma_f16 v34, v10, v14, v34 op_sel_hi:[1,0,1]
	v_pk_fma_f16 v35, v10, v14, v35 op_sel:[0,1,0]
	v_pk_fma_f16 v36, v10, v15, v36 op_sel_hi:[1,0,1]
	v_pk_fma_f16 v8, v10, v15, v8 op_sel:[0,1,0]
	v_pk_fma_f16 v10, v11, v12, v28 op_sel_hi:[1,0,1]
	v_pk_fma_f16 v12, v11, v12, v16 op_sel:[0,1,0]
	v_pk_fma_f16 v28, v11, v13, v30 op_sel_hi:[1,0,1]
	v_pk_fma_f16 v13, v11, v13, v17 op_sel:[0,1,0]
	v_pk_fma_f16 v30, v11, v14, v39 op_sel_hi:[1,0,1]
	v_pk_fma_f16 v14, v11, v14, v18 op_sel:[0,1,0]
	ds_load_b128 v[16:19], v144 offset:368
	v_pk_fma_f16 v37, v11, v15, v38 op_sel_hi:[1,0,1]
	v_pk_fma_f16 v38, v11, v15, v9 op_sel:[0,1,0]
	s_waitcnt lgkmcnt(1)
	v_pk_fma_f16 v29, v20, v24, v29 op_sel_hi:[1,0,1]
	v_pk_fma_f16 v31, v20, v24, v31 op_sel:[0,1,0]
	v_pk_fma_f16 v32, v20, v25, v32 op_sel_hi:[1,0,1]
	v_pk_fma_f16 v33, v20, v25, v33 op_sel:[0,1,0]
	v_pk_fma_f16 v34, v20, v26, v34 op_sel_hi:[1,0,1]
	v_pk_fma_f16 v35, v20, v26, v35 op_sel:[0,1,0]
	v_pk_fma_f16 v36, v20, v27, v36 op_sel_hi:[1,0,1]
	v_pk_fma_f16 v20, v20, v27, v8 op_sel:[0,1,0]
	v_pk_fma_f16 v39, v21, v24, v10 op_sel_hi:[1,0,1]
	v_pk_fma_f16 v24, v21, v24, v12 op_sel:[0,1,0]
	v_pk_fma_f16 v28, v21, v25, v28 op_sel_hi:[1,0,1]
	v_pk_fma_f16 v25, v21, v25, v13 op_sel:[0,1,0]
	v_pk_fma_f16 v30, v21, v26, v30 op_sel_hi:[1,0,1]
	v_pk_fma_f16 v26, v21, v26, v14 op_sel:[0,1,0]
	ds_load_2addr_b64 v[8:11], v174 offset0:160 offset1:180
	ds_load_b128 v[12:15], v144 offset:384
	v_pk_fma_f16 v37, v21, v27, v37 op_sel_hi:[1,0,1]
	v_pk_fma_f16 v21, v21, v27, v38 op_sel:[0,1,0]
	s_waitcnt lgkmcnt(2)
	v_pk_fma_f16 v29, v22, v16, v29 op_sel_hi:[1,0,1]
	v_pk_fma_f16 v31, v22, v16, v31 op_sel:[0,1,0]
	v_pk_fma_f16 v32, v22, v17, v32 op_sel_hi:[1,0,1]
	v_pk_fma_f16 v33, v22, v17, v33 op_sel:[0,1,0]
	v_pk_fma_f16 v34, v22, v18, v34 op_sel_hi:[1,0,1]
	v_pk_fma_f16 v35, v22, v18, v35 op_sel:[0,1,0]
	v_pk_fma_f16 v36, v22, v19, v36 op_sel_hi:[1,0,1]
	v_pk_fma_f16 v20, v22, v19, v20 op_sel:[0,1,0]
	v_pk_fma_f16 v22, v23, v16, v39 op_sel_hi:[1,0,1]
	v_pk_fma_f16 v16, v23, v16, v24 op_sel:[0,1,0]
	v_pk_fma_f16 v28, v23, v17, v28 op_sel_hi:[1,0,1]
	v_pk_fma_f16 v17, v23, v17, v25 op_sel:[0,1,0]
	v_pk_fma_f16 v30, v23, v18, v30 op_sel_hi:[1,0,1]
	v_pk_fma_f16 v18, v23, v18, v26 op_sel:[0,1,0]
	;; [unrolled: 37-line block ×4, first 2 shown]
	ds_load_b128 v[20:23], v144 offset:464
	v_pk_fma_f16 v37, v19, v15, v37 op_sel_hi:[1,0,1]
	v_pk_fma_f16 v38, v19, v15, v17 op_sel:[0,1,0]
	s_waitcnt lgkmcnt(1)
	v_pk_fma_f16 v29, v8, v24, v29 op_sel_hi:[1,0,1]
	v_pk_fma_f16 v31, v8, v24, v31 op_sel:[0,1,0]
	v_pk_fma_f16 v32, v8, v25, v32 op_sel_hi:[1,0,1]
	v_pk_fma_f16 v33, v8, v25, v33 op_sel:[0,1,0]
	;; [unrolled: 2-line block ×8, first 2 shown]
	ds_load_2addr_b64 v[12:15], v172 offset0:24 offset1:44
	ds_load_b128 v[16:19], v144 offset:480
	s_waitcnt lgkmcnt(2)
	v_pk_fma_f16 v27, v10, v20, v29 op_sel_hi:[1,0,1]
	v_pk_fma_f16 v29, v10, v20, v31 op_sel:[0,1,0]
	v_pk_fma_f16 v31, v10, v21, v32 op_sel_hi:[1,0,1]
	v_pk_fma_f16 v32, v10, v21, v33 op_sel:[0,1,0]
	;; [unrolled: 2-line block ×8, first 2 shown]
	ds_load_b128 v[8:11], v144 offset:496
	s_waitcnt lgkmcnt(0)
	s_barrier
	buffer_gl0_inv
	s_load_b32 s6, s[26:27], 0x4
	v_pk_fma_f16 v27, v12, v16, v27 op_sel_hi:[1,0,1]
	v_pk_fma_f16 v28, v12, v16, v29 op_sel:[0,1,0]
	v_pk_fma_f16 v29, v12, v17, v31 op_sel_hi:[1,0,1]
	v_pk_fma_f16 v30, v12, v17, v32 op_sel:[0,1,0]
	;; [unrolled: 2-line block ×9, first 2 shown]
	v_pk_fma_f16 v129, v14, v9, v29 op_sel_hi:[1,0,1]
	s_waitcnt lgkmcnt(0)
	s_lshl_b32 s6, s6, 5
	v_pk_fma_f16 v127, v14, v9, v30 op_sel:[0,1,0]
	v_pk_fma_f16 v125, v14, v10, v31 op_sel_hi:[1,0,1]
	v_pk_fma_f16 v123, v14, v10, v32 op_sel:[0,1,0]
	v_pk_fma_f16 v121, v14, v11, v33 op_sel_hi:[1,0,1]
	;; [unrolled: 2-line block ×6, first 2 shown]
	v_pk_fma_f16 v119, v15, v11, v13 op_sel:[0,1,0]
	s_add_i32 s35, s6, s35
	s_delay_alu instid0(SALU_CYCLE_1)
	s_cmp_ge_i32 s35, s40
	s_cbranch_scc1 .LBB17_37
; %bb.36:                               ;   in Loop: Header=BB17_19 Depth=1
	v_dual_mov_b32 v8, v0 :: v_dual_mov_b32 v9, v1
	v_dual_mov_b32 v13, v2 :: v_dual_mov_b32 v10, v3
	;; [unrolled: 1-line block ×8, first 2 shown]
	s_branch .LBB17_19
.LBB17_37:
	v_mov_b32_e32 v10, v131
.LBB17_38:
	v_cmp_lt_i32_e32 vcc_lo, v159, v132
	s_cmp_lg_u64 s[24:25], 0
	s_cselect_b32 s3, -1, 0
	s_cmp_eq_u32 s14, 0
	v_cndmask_b32_e32 v8, v10, v159, vcc_lo
	v_cmp_lt_i32_e32 vcc_lo, v160, v132
	s_cselect_b32 s4, -1, 0
	s_delay_alu instid0(SALU_CYCLE_1) | instskip(SKIP_2) | instid1(VALU_DEP_2)
	s_and_b32 s3, s4, s3
	v_cndmask_b32_e32 v17, v10, v160, vcc_lo
	v_cmp_lt_i32_e32 vcc_lo, v161, v132
	v_lshlrev_b32_e32 v17, 2, v17
	v_lshlrev_b32_e32 v8, 2, v8
	ds_bpermute_b32 v9, v8, v171
	s_waitcnt lgkmcnt(0)
	v_add_f32_e32 v9, v171, v9
	ds_bpermute_b32 v11, v8, v168
	ds_bpermute_b32 v12, v8, v170
	;; [unrolled: 1-line block ×8, first 2 shown]
	s_waitcnt lgkmcnt(6)
	v_dual_add_f32 v11, v168, v11 :: v_dual_add_f32 v12, v170, v12
	s_waitcnt lgkmcnt(4)
	v_dual_add_f32 v14, v169, v14 :: v_dual_add_f32 v13, v166, v13
	;; [unrolled: 2-line block ×3, first 2 shown]
	s_waitcnt lgkmcnt(1)
	v_add_f32_e32 v8, v164, v8
	ds_bpermute_b32 v20, v17, v12
	ds_bpermute_b32 v22, v17, v14
	;; [unrolled: 1-line block ×7, first 2 shown]
	v_cndmask_b32_e32 v25, v10, v161, vcc_lo
	s_waitcnt lgkmcnt(7)
	v_add_f32_e32 v9, v9, v18
	v_cmp_lt_i32_e32 vcc_lo, v162, v132
	s_waitcnt lgkmcnt(6)
	v_dual_add_f32 v12, v12, v20 :: v_dual_lshlrev_b32 v25, 2, v25
	s_waitcnt lgkmcnt(4)
	v_dual_add_f32 v14, v14, v22 :: v_dual_add_f32 v11, v11, v19
	s_waitcnt lgkmcnt(2)
	v_add_f32_e32 v16, v16, v24
	s_waitcnt lgkmcnt(0)
	v_add_f32_e32 v8, v8, v17
	ds_bpermute_b32 v19, v25, v12
	v_add_f32_e32 v13, v13, v21
	ds_bpermute_b32 v21, v25, v14
	;; [unrolled: 2-line block ×3, first 2 shown]
	ds_bpermute_b32 v23, v25, v16
	ds_bpermute_b32 v24, v25, v8
	;; [unrolled: 1-line block ×3, first 2 shown]
	s_waitcnt lgkmcnt(5)
	v_add_f32_e32 v12, v12, v19
	ds_bpermute_b32 v20, v25, v13
	s_waitcnt lgkmcnt(5)
	v_add_f32_e32 v14, v14, v21
	ds_bpermute_b32 v22, v25, v15
	s_waitcnt lgkmcnt(4)
	v_dual_cndmask_b32 v25, v10, v162 :: v_dual_add_f32 v16, v16, v23
	v_cmp_lt_i32_e32 vcc_lo, v163, v132
	s_waitcnt lgkmcnt(3)
	v_dual_add_f32 v9, v9, v17 :: v_dual_add_f32 v8, v8, v24
	s_delay_alu instid0(VALU_DEP_3)
	v_dual_cndmask_b32 v10, v10, v163 :: v_dual_lshlrev_b32 v25, 2, v25
	s_and_b32 vcc_lo, exec_lo, s3
	ds_bpermute_b32 v17, v25, v9
	ds_bpermute_b32 v19, v25, v12
	;; [unrolled: 1-line block ×5, first 2 shown]
	s_waitcnt lgkmcnt(7)
	v_add_f32_e32 v11, v11, v18
	s_waitcnt lgkmcnt(6)
	v_dual_add_f32 v13, v13, v20 :: v_dual_lshlrev_b32 v10, 2, v10
	s_waitcnt lgkmcnt(5)
	v_add_f32_e32 v15, v15, v22
	ds_bpermute_b32 v20, v25, v13
	s_waitcnt lgkmcnt(4)
	v_dual_add_f32 v9, v9, v17 :: v_dual_add_f32 v12, v12, v19
	ds_bpermute_b32 v18, v25, v11
	s_waitcnt lgkmcnt(3)
	v_add_f32_e32 v16, v16, v23
	v_add_f32_e32 v14, v14, v21
	ds_bpermute_b32 v22, v25, v15
	s_waitcnt lgkmcnt(3)
	v_add_f32_e32 v17, v8, v24
	ds_bpermute_b32 v8, v10, v9
	ds_bpermute_b32 v19, v10, v12
	;; [unrolled: 1-line block ×5, first 2 shown]
	s_waitcnt lgkmcnt(7)
	v_add_f32_e32 v13, v13, v20
	ds_bpermute_b32 v20, v10, v13
	s_waitcnt lgkmcnt(7)
	v_add_f32_e32 v11, v11, v18
	s_waitcnt lgkmcnt(5)
	v_dual_add_f32 v15, v15, v22 :: v_dual_add_f32 v8, v9, v8
	ds_bpermute_b32 v18, v10, v11
	ds_bpermute_b32 v22, v10, v15
	s_waitcnt lgkmcnt(6)
	v_add_f32_e32 v10, v12, v19
	s_waitcnt lgkmcnt(5)
	v_add_f32_e32 v12, v14, v21
	s_waitcnt lgkmcnt(1)
	v_dual_add_f32 v14, v16, v23 :: v_dual_add_f32 v9, v11, v18
	v_add_f32_e32 v11, v13, v20
	s_waitcnt lgkmcnt(0)
	v_add_f32_e32 v13, v15, v22
	v_add_f32_e32 v15, v17, v24
	s_cbranch_vccz .LBB17_40
; %bb.39:
	s_ashr_i32 s35, s34, 31
	v_dual_mov_b32 v16, 0 :: v_dual_max_f32 v17, v1, v1
	s_lshl_b64 s[4:5], s[34:35], 2
	v_dual_max_f32 v18, v2, v2 :: v_dual_max_f32 v21, v5, v5
	s_add_u32 s4, s24, s4
	s_addc_u32 s5, s25, s5
	v_max_f32_e32 v19, v3, v3
	global_load_b128 v[24:27], v16, s[4:5]
	v_max_f32_e32 v16, v0, v0
	v_max_f32_e32 v22, v6, v6
	v_dual_max_f32 v20, v4, v4 :: v_dual_max_f32 v31, v7, v7
	s_waitcnt vmcnt(0)
	v_max_f32_e32 v29, v26, v26
	v_dual_max_f32 v23, v24, v24 :: v_dual_max_f32 v28, v25, v25
	v_max_f32_e32 v30, v27, v27
	s_delay_alu instid0(VALU_DEP_2) | instskip(NEXT) | instid1(VALU_DEP_3)
	v_dual_max_f32 v18, v18, v29 :: v_dual_max_f32 v21, v21, v28
	v_dual_max_f32 v17, v17, v28 :: v_dual_max_f32 v16, v16, v23
	s_delay_alu instid0(VALU_DEP_3) | instskip(SKIP_1) | instid1(VALU_DEP_3)
	v_dual_max_f32 v19, v19, v30 :: v_dual_max_f32 v20, v20, v23
	v_dual_max_f32 v23, v31, v30 :: v_dual_max_f32 v22, v22, v29
	v_sub_f32_e32 v29, v24, v16
	s_delay_alu instid0(VALU_DEP_4)
	v_dual_sub_f32 v28, v0, v16 :: v_dual_sub_f32 v31, v25, v17
	v_dual_sub_f32 v30, v1, v17 :: v_dual_sub_f32 v33, v26, v18
	;; [unrolled: 1-line block ×7, first 2 shown]
	v_dual_mov_b32 v0, v16 :: v_dual_mov_b32 v3, v19
	v_dual_sub_f32 v26, v26, v22 :: v_dual_mov_b32 v1, v17
	v_dual_mov_b32 v2, v18 :: v_dual_mov_b32 v5, v21
	v_dual_mov_b32 v4, v20 :: v_dual_mov_b32 v7, v23
	v_dual_mov_b32 v6, v22 :: v_dual_mul_f32 v17, 0x3fb8aa3b, v29
	v_dual_mul_f32 v16, 0x3fb8aa3b, v28 :: v_dual_mul_f32 v19, 0x3fb8aa3b, v31
	v_dual_mul_f32 v18, 0x3fb8aa3b, v30 :: v_dual_mul_f32 v21, 0x3fb8aa3b, v33
	s_delay_alu instid0(VALU_DEP_3) | instskip(NEXT) | instid1(VALU_DEP_3)
	v_fma_f32 v50, 0x3fb8aa3b, v29, -v17
	v_fma_f32 v48, 0x3fb8aa3b, v28, -v16
	v_rndne_f32_e32 v49, v16
	v_rndne_f32_e32 v51, v17
	;; [unrolled: 1-line block ×3, first 2 shown]
	v_dual_mul_f32 v20, 0x3fb8aa3b, v32 :: v_dual_mul_f32 v23, 0x3fb8aa3b, v35
	s_delay_alu instid0(VALU_DEP_3)
	v_dual_fmac_f32 v48, 0x32a5705f, v28 :: v_dual_sub_f32 v17, v17, v51
	v_sub_f32_e32 v16, v16, v49
	v_dual_mul_f32 v22, 0x3fb8aa3b, v34 :: v_dual_mul_f32 v41, 0x3fb8aa3b, v24
	v_dual_mul_f32 v44, 0x3fb8aa3b, v38 :: v_dual_mul_f32 v47, 0x3fb8aa3b, v27
	v_fma_f32 v52, 0x3fb8aa3b, v30, -v18
	v_rndne_f32_e32 v53, v18
	v_fma_f32 v54, 0x3fb8aa3b, v31, -v19
	v_rndne_f32_e32 v59, v21
	v_dual_fmac_f32 v50, 0x32a5705f, v29 :: v_dual_sub_f32 v19, v19, v55
	v_add_f32_e32 v16, v16, v48
	v_fma_f32 v58, 0x3fb8aa3b, v33, -v21
	v_rndne_f32_e32 v63, v23
	v_rndne_f32_e32 v67, v41
	;; [unrolled: 1-line block ×3, first 2 shown]
	v_fmac_f32_e32 v52, 0x32a5705f, v30
	v_dual_sub_f32 v18, v18, v53 :: v_dual_sub_f32 v21, v21, v59
	v_dual_mul_f32 v46, 0x3fb8aa3b, v39 :: v_dual_add_f32 v17, v17, v50
	v_exp_f32_e32 v16, v16
	v_dual_mul_f32 v40, 0x3fb8aa3b, v36 :: v_dual_mul_f32 v43, 0x3fb8aa3b, v25
	v_dual_mul_f32 v42, 0x3fb8aa3b, v37 :: v_dual_mul_f32 v45, 0x3fb8aa3b, v26
	v_fma_f32 v56, 0x3fb8aa3b, v32, -v20
	v_rndne_f32_e32 v57, v20
	v_rndne_f32_e32 v61, v22
	v_fma_f32 v62, 0x3fb8aa3b, v35, -v23
	v_fma_f32 v66, 0x3fb8aa3b, v24, -v41
	;; [unrolled: 1-line block ×3, first 2 shown]
	v_cvt_i32_f32_e32 v49, v49
	v_dual_fmac_f32 v58, 0x32a5705f, v33 :: v_dual_sub_f32 v47, v47, v79
	v_fmac_f32_e32 v54, 0x32a5705f, v31
	v_sub_f32_e32 v23, v23, v63
	v_sub_f32_e32 v41, v41, v67
	s_delay_alu instid0(VALU_DEP_4)
	v_dual_add_f32 v21, v21, v58 :: v_dual_add_f32 v18, v18, v52
	v_exp_f32_e32 v17, v17
	v_fma_f32 v60, 0x3fb8aa3b, v34, -v22
	v_rndne_f32_e32 v71, v43
	v_rndne_f32_e32 v75, v45
	v_cvt_i32_f32_e32 v51, v51
	v_fmac_f32_e32 v56, 0x32a5705f, v32
	v_sub_f32_e32 v20, v20, v57
	v_dual_sub_f32 v22, v22, v61 :: v_dual_add_f32 v19, v19, v54
	v_exp_f32_e32 v18, v18
	v_ldexp_f32 v16, v16, v49
	v_cmp_ngt_f32_e32 vcc_lo, 0xc2ce8ed0, v28
	v_fma_f32 v70, 0x3fb8aa3b, v25, -v43
	v_fma_f32 v74, 0x3fb8aa3b, v26, -v45
	v_cvt_i32_f32_e32 v53, v53
	v_sub_f32_e32 v43, v43, v71
	v_dual_sub_f32 v45, v45, v75 :: v_dual_add_f32 v20, v20, v56
	v_exp_f32_e32 v19, v19
	v_ldexp_f32 v17, v17, v51
	v_cndmask_b32_e32 v16, 0, v16, vcc_lo
	v_cmp_ngt_f32_e32 vcc_lo, 0xc2ce8ed0, v29
	v_cvt_i32_f32_e32 v55, v55
	v_fmac_f32_e32 v60, 0x32a5705f, v34
	v_fmac_f32_e32 v74, 0x32a5705f, v26
	v_exp_f32_e32 v20, v20
	v_ldexp_f32 v18, v18, v53
	v_cndmask_b32_e32 v17, 0, v17, vcc_lo
	v_cmp_ngt_f32_e32 vcc_lo, 0xc2ce8ed0, v30
	v_fma_f32 v64, 0x3fb8aa3b, v36, -v40
	v_rndne_f32_e32 v69, v42
	v_cvt_i32_f32_e32 v57, v57
	v_dual_fmac_f32 v66, 0x32a5705f, v24 :: v_dual_add_f32 v45, v45, v74
	v_fmac_f32_e32 v62, 0x32a5705f, v35
	v_add_f32_e32 v22, v22, v60
	v_exp_f32_e32 v21, v21
	v_ldexp_f32 v19, v19, v55
	v_cndmask_b32_e32 v18, 0, v18, vcc_lo
	v_cmp_ngt_f32_e32 vcc_lo, 0xc2ce8ed0, v31
	v_fma_f32 v68, 0x3fb8aa3b, v37, -v42
	v_cvt_i32_f32_e32 v59, v59
	v_dual_sub_f32 v42, v42, v69 :: v_dual_add_f32 v41, v41, v66
	v_dual_cndmask_b32 v19, 0, v19 :: v_dual_fmac_f32 v64, 0x32a5705f, v36
	v_add_f32_e32 v23, v23, v62
	v_exp_f32_e32 v22, v22
	v_ldexp_f32 v20, v20, v57
	v_cmp_ngt_f32_e32 vcc_lo, 0xc2ce8ed0, v32
	v_fma_f32 v72, 0x3fb8aa3b, v38, -v44
	v_cvt_i32_f32_e32 v61, v61
	v_exp_f32_e32 v23, v23
	v_ldexp_f32 v21, v21, v59
	v_cndmask_b32_e32 v20, 0, v20, vcc_lo
	v_cmp_ngt_f32_e32 vcc_lo, 0xc2ce8ed0, v33
	v_cvt_i32_f32_e32 v63, v63
	v_fmac_f32_e32 v72, 0x32a5705f, v38
	v_ldexp_f32 v22, v22, v61
	v_rndne_f32_e32 v65, v40
	v_cndmask_b32_e32 v21, 0, v21, vcc_lo
	v_cmp_ngt_f32_e32 vcc_lo, 0xc2ce8ed0, v34
	v_ldexp_f32 v23, v23, v63
	v_fmac_f32_e32 v78, 0x32a5705f, v27
	v_fmac_f32_e32 v68, 0x32a5705f, v37
	v_exp_f32_e32 v41, v41
	v_cndmask_b32_e32 v22, 0, v22, vcc_lo
	v_cmp_ngt_f32_e32 vcc_lo, 0xc2ce8ed0, v35
	v_dual_fmac_f32 v70, 0x32a5705f, v25 :: v_dual_add_f32 v47, v47, v78
	v_add_f32_e32 v42, v42, v68
	v_cvt_i32_f32_e32 v67, v67
	v_dual_cndmask_b32 v23, 0, v23 :: v_dual_sub_f32 v40, v40, v65
	s_delay_alu instid0(VALU_DEP_4)
	v_add_f32_e32 v43, v43, v70
	v_cvt_i32_f32_e32 v65, v65
	v_exp_f32_e32 v42, v42
	v_cmp_ngt_f32_e32 vcc_lo, 0xc2ce8ed0, v36
	v_add_f32_e32 v40, v40, v64
	v_cvt_i32_f32_e32 v69, v69
	v_exp_f32_e32 v43, v43
	v_ldexp_f32 v41, v41, v67
	v_rndne_f32_e32 v73, v44
	v_exp_f32_e32 v40, v40
	v_cvt_i32_f32_e32 v71, v71
	v_exp_f32_e32 v45, v45
	v_ldexp_f32 v42, v42, v69
	v_exp_f32_e32 v47, v47
	v_fma_f32 v76, 0x3fb8aa3b, v39, -v46
	v_rndne_f32_e32 v77, v46
	v_ldexp_f32 v43, v43, v71
	v_cvt_i32_f32_e32 v75, v75
	v_cvt_i32_f32_e32 v79, v79
	v_ldexp_f32 v40, v40, v65
	s_delay_alu instid0(TRANS32_DEP_2) | instid1(VALU_DEP_3)
	v_ldexp_f32 v45, v45, v75
	s_delay_alu instid0(TRANS32_DEP_1) | instid1(VALU_DEP_3)
	v_ldexp_f32 v47, v47, v79
	s_delay_alu instid0(VALU_DEP_3)
	v_cndmask_b32_e32 v40, 0, v40, vcc_lo
	v_cmp_ngt_f32_e32 vcc_lo, 0xc2ce8ed0, v24
	v_sub_f32_e32 v46, v46, v77
	v_cvt_i32_f32_e32 v77, v77
	v_cndmask_b32_e32 v41, 0, v41, vcc_lo
	v_cmp_ngt_f32_e32 vcc_lo, 0xc2ce8ed0, v37
	v_cndmask_b32_e32 v42, 0, v42, vcc_lo
	v_cmp_ngt_f32_e32 vcc_lo, 0xc2ce8ed0, v25
	v_sub_f32_e32 v44, v44, v73
	v_cvt_i32_f32_e32 v73, v73
	s_delay_alu instid0(VALU_DEP_2) | instskip(SKIP_1) | instid1(VALU_DEP_2)
	v_dual_cndmask_b32 v43, 0, v43 :: v_dual_add_f32 v44, v44, v72
	v_cmp_ngt_f32_e32 vcc_lo, 0xc2ce8ed0, v38
	v_exp_f32_e32 v44, v44
	s_waitcnt_depctr 0xfff
	v_ldexp_f32 v44, v44, v73
	s_delay_alu instid0(VALU_DEP_1) | instskip(SKIP_2) | instid1(VALU_DEP_1)
	v_cndmask_b32_e32 v44, 0, v44, vcc_lo
	v_cmp_ngt_f32_e32 vcc_lo, 0xc2ce8ed0, v26
	v_dual_fmac_f32 v76, 0x32a5705f, v39 :: v_dual_cndmask_b32 v45, 0, v45
	v_add_f32_e32 v46, v46, v76
	v_cmp_ngt_f32_e32 vcc_lo, 0xc2ce8ed0, v39
	s_delay_alu instid0(VALU_DEP_2) | instskip(SKIP_2) | instid1(VALU_DEP_1)
	v_exp_f32_e32 v46, v46
	s_waitcnt_depctr 0xfff
	v_ldexp_f32 v46, v46, v77
	v_cndmask_b32_e32 v46, 0, v46, vcc_lo
	v_cmp_ngt_f32_e32 vcc_lo, 0xc2ce8ed0, v27
	v_cndmask_b32_e32 v47, 0, v47, vcc_lo
	v_cmp_nlt_f32_e32 vcc_lo, 0x42b17218, v28
	v_cndmask_b32_e32 v28, 0x7f800000, v16, vcc_lo
	v_cmp_nlt_f32_e32 vcc_lo, 0x42b17218, v29
	;; [unrolled: 2-line block ×3, first 2 shown]
	s_delay_alu instid0(VALU_DEP_2) | instskip(SKIP_4) | instid1(VALU_DEP_3)
	v_dual_fmac_f32 v16, v8, v28 :: v_dual_cndmask_b32 v29, 0x7f800000, v18
	v_cmp_nlt_f32_e32 vcc_lo, 0x42b17218, v31
	v_cvt_f16_f32_e32 v8, v28
	v_cndmask_b32_e32 v17, 0x7f800000, v19, vcc_lo
	v_cmp_nlt_f32_e32 vcc_lo, 0x42b17218, v32
	v_pk_mul_f16 v135, v8, v135 op_sel_hi:[0,1]
	v_pk_mul_f16 v136, v8, v136 op_sel_hi:[0,1]
	s_delay_alu instid0(VALU_DEP_4)
	v_dual_mov_b32 v8, v16 :: v_dual_fmac_f32 v17, v9, v29
	v_cndmask_b32_e32 v30, 0x7f800000, v20, vcc_lo
	v_cmp_nlt_f32_e32 vcc_lo, 0x42b17218, v33
	v_cvt_f16_f32_e32 v9, v29
	v_cndmask_b32_e32 v18, 0x7f800000, v21, vcc_lo
	v_cmp_nlt_f32_e32 vcc_lo, 0x42b17218, v34
	s_delay_alu instid0(VALU_DEP_3) | instskip(SKIP_1) | instid1(VALU_DEP_4)
	v_pk_mul_f16 v133, v9, v133 op_sel_hi:[0,1]
	v_pk_mul_f16 v134, v9, v134 op_sel_hi:[0,1]
	v_dual_mov_b32 v9, v17 :: v_dual_fmac_f32 v18, v10, v30
	v_cndmask_b32_e32 v31, 0x7f800000, v22, vcc_lo
	v_cmp_nlt_f32_e32 vcc_lo, 0x42b17218, v35
	v_cvt_f16_f32_e32 v10, v30
	v_cndmask_b32_e32 v19, 0x7f800000, v23, vcc_lo
	v_cmp_nlt_f32_e32 vcc_lo, 0x42b17218, v36
	s_delay_alu instid0(VALU_DEP_3) | instskip(SKIP_1) | instid1(VALU_DEP_4)
	v_pk_mul_f16 v129, v10, v129 op_sel_hi:[0,1]
	v_pk_mul_f16 v130, v10, v130 op_sel_hi:[0,1]
	;; [unrolled: 9-line block ×5, first 2 shown]
	v_dual_mov_b32 v13, v21 :: v_dual_fmac_f32 v22, v14, v25
	v_cndmask_b32_e32 v26, 0x7f800000, v46, vcc_lo
	v_cmp_nlt_f32_e32 vcc_lo, 0x42b17218, v27
	v_cvt_f16_f32_e32 v14, v25
	v_cndmask_b32_e32 v23, 0x7f800000, v47, vcc_lo
	s_delay_alu instid0(VALU_DEP_2) | instskip(SKIP_1) | instid1(VALU_DEP_3)
	v_pk_mul_f16 v121, v14, v121 op_sel_hi:[0,1]
	v_pk_mul_f16 v122, v14, v122 op_sel_hi:[0,1]
	v_dual_mov_b32 v14, v22 :: v_dual_fmac_f32 v23, v15, v26
	v_cvt_f16_f32_e32 v15, v26
	s_delay_alu instid0(VALU_DEP_1) | instskip(SKIP_1) | instid1(VALU_DEP_4)
	v_pk_mul_f16 v120, v15, v120 op_sel_hi:[0,1]
	v_pk_mul_f16 v119, v15, v119 op_sel_hi:[0,1]
	v_mov_b32_e32 v15, v23
	s_branch .LBB17_41
.LBB17_40:
	s_delay_alu instid0(VALU_DEP_1) | instskip(NEXT) | instid1(VALU_DEP_3)
	v_dual_mov_b32 v23, v15 :: v_dual_mov_b32 v22, v14
	v_dual_mov_b32 v21, v13 :: v_dual_mov_b32 v20, v12
	;; [unrolled: 1-line block ×4, first 2 shown]
.LBB17_41:
	v_lshlrev_b32_e32 v24, 1, v118
	s_mov_b32 s3, exec_lo
	s_delay_alu instid0(VALU_DEP_1) | instskip(NEXT) | instid1(VALU_DEP_1)
	v_add_nc_u32_e32 v25, s33, v24
	v_cmpx_gt_i32_e64 s38, v25
	s_cbranch_execz .LBB17_94
; %bb.42:
	s_load_b32 s1, s[0:1], 0xd4
	v_mov_b32_e32 v27, 1.0
	s_waitcnt lgkmcnt(0)
	s_cmp_lg_u32 s1, 1
	s_cselect_b32 s4, -1, 0
	s_cmp_eq_u32 s1, 1
	s_cselect_b32 s0, -1, 0
	s_and_b32 vcc_lo, exec_lo, s4
	s_cbranch_vccnz .LBB17_44
; %bb.43:
	v_div_scale_f32 v25, null, v8, v8, 1.0
	s_delay_alu instid0(VALU_DEP_1) | instskip(SKIP_2) | instid1(VALU_DEP_1)
	v_rcp_f32_e32 v26, v25
	s_waitcnt_depctr 0xfff
	v_fma_f32 v27, -v25, v26, 1.0
	v_fmac_f32_e32 v26, v27, v26
	v_div_scale_f32 v27, vcc_lo, 1.0, v8, 1.0
	s_delay_alu instid0(VALU_DEP_1) | instskip(NEXT) | instid1(VALU_DEP_1)
	v_mul_f32_e32 v28, v27, v26
	v_fma_f32 v29, -v25, v28, v27
	s_delay_alu instid0(VALU_DEP_1) | instskip(NEXT) | instid1(VALU_DEP_1)
	v_fmac_f32_e32 v28, v29, v26
	v_fma_f32 v25, -v25, v28, v27
	s_delay_alu instid0(VALU_DEP_1) | instskip(NEXT) | instid1(VALU_DEP_1)
	v_div_fmas_f32 v25, v25, v26, v28
	v_div_fixup_f32 v27, v25, v8, 1.0
.LBB17_44:
	s_mul_i32 s3, s44, s38
	s_delay_alu instid0(SALU_CYCLE_1) | instskip(NEXT) | instid1(SALU_CYCLE_1)
	s_add_i32 s3, s3, s33
	v_add_nc_u32_e32 v8, s3, v24
	s_delay_alu instid0(VALU_DEP_1) | instskip(NEXT) | instid1(VALU_DEP_1)
	v_mul_lo_u32 v26, v8, s39
	v_add_nc_u32_e32 v8, s34, v26
	s_delay_alu instid0(VALU_DEP_1)
	v_mad_u64_u32 v[24:25], null, s1, v8, s[14:15]
	s_and_saveexec_b32 s5, s2
	s_cbranch_execz .LBB17_46
; %bb.45:
	v_lshrrev_b32_e32 v8, 16, v136
	s_delay_alu instid0(VALU_DEP_2) | instskip(SKIP_2) | instid1(VALU_DEP_4)
	v_mad_u64_u32 v[28:29], null, 0x50, v24, v[104:105]
	v_lshrrev_b32_e32 v25, 16, v135
	v_cvt_f32_f16_e64 v33, v136
	v_cvt_f32_f16_e32 v8, v8
	v_mov_b32_e32 v29, 0
	v_cvt_f32_f16_e64 v34, v135
	v_cvt_f32_f16_e32 v25, v25
	s_delay_alu instid0(VALU_DEP_4) | instskip(NEXT) | instid1(VALU_DEP_4)
	v_mul_f32_e32 v30, v27, v8
	v_lshlrev_b64 v[31:32], 2, v[28:29]
	v_mul_f32_e32 v29, v27, v33
	s_delay_alu instid0(VALU_DEP_4) | instskip(SKIP_1) | instid1(VALU_DEP_4)
	v_mul_f32_e32 v28, v27, v25
	v_mul_f32_e32 v27, v27, v34
	v_add_co_u32 v31, vcc_lo, s28, v31
	v_add_co_ci_u32_e32 v32, vcc_lo, s29, v32, vcc_lo
	global_store_b128 v[31:32], v[27:30], off
.LBB17_46:
	s_or_b32 exec_lo, exec_lo, s5
	v_cmp_eq_u32_e32 vcc_lo, 0, v117
	s_and_b32 s5, vcc_lo, s4
	s_delay_alu instid0(SALU_CYCLE_1)
	s_and_saveexec_b32 s4, s5
	s_cbranch_execz .LBB17_48
; %bb.47:
	v_ashrrev_i32_e32 v25, 31, v24
	v_mov_b32_e32 v27, v0
	v_mov_b32_e32 v28, v16
	s_delay_alu instid0(VALU_DEP_3) | instskip(NEXT) | instid1(VALU_DEP_1)
	v_lshlrev_b64 v[24:25], 3, v[24:25]
	v_add_co_u32 v24, vcc_lo, s30, v24
	s_delay_alu instid0(VALU_DEP_2)
	v_add_co_ci_u32_e32 v25, vcc_lo, s31, v25, vcc_lo
	global_store_b64 v[24:25], v[27:28], off
.LBB17_48:
	s_or_b32 exec_lo, exec_lo, s4
	v_cndmask_b32_e64 v24, 0, 1, s0
	v_mov_b32_e32 v0, 1.0
	s_and_not1_b32 vcc_lo, exec_lo, s0
	s_cbranch_vccnz .LBB17_50
; %bb.49:
	v_div_scale_f32 v0, null, v9, v9, 1.0
	s_delay_alu instid0(VALU_DEP_1) | instskip(SKIP_2) | instid1(VALU_DEP_1)
	v_rcp_f32_e32 v8, v0
	s_waitcnt_depctr 0xfff
	v_fma_f32 v16, -v0, v8, 1.0
	v_fmac_f32_e32 v8, v16, v8
	v_div_scale_f32 v16, vcc_lo, 1.0, v9, 1.0
	s_delay_alu instid0(VALU_DEP_1) | instskip(NEXT) | instid1(VALU_DEP_1)
	v_mul_f32_e32 v25, v16, v8
	v_fma_f32 v27, -v0, v25, v16
	s_delay_alu instid0(VALU_DEP_1) | instskip(NEXT) | instid1(VALU_DEP_1)
	v_fmac_f32_e32 v25, v27, v8
	v_fma_f32 v0, -v0, v25, v16
	s_delay_alu instid0(VALU_DEP_1) | instskip(NEXT) | instid1(VALU_DEP_1)
	v_div_fmas_f32 v0, v0, v8, v25
	v_div_fixup_f32 v0, v0, v9, 1.0
.LBB17_50:
	s_add_i32 s6, s34, 1
	s_delay_alu instid0(SALU_CYCLE_1) | instskip(NEXT) | instid1(VALU_DEP_1)
	v_add_nc_u32_e32 v16, s6, v26
	v_mad_u64_u32 v[8:9], null, s1, v16, s[14:15]
	s_and_saveexec_b32 s0, s2
	s_cbranch_execz .LBB17_52
; %bb.51:
	s_delay_alu instid0(VALU_DEP_1)
	v_mad_u64_u32 v[27:28], null, 0x50, v8, v[104:105]
	v_cvt_f32_f16_e64 v25, v134
	v_mov_b32_e32 v28, 0
	v_lshrrev_b32_e32 v9, 16, v134
	v_lshrrev_b32_e32 v16, 16, v133
	v_cvt_f32_f16_e64 v33, v133
	v_mul_f32_e32 v29, v0, v25
	v_lshlrev_b64 v[31:32], 2, v[27:28]
	v_cvt_f32_f16_e32 v9, v9
	v_cvt_f32_f16_e32 v16, v16
	v_mul_f32_e32 v27, v0, v33
	s_delay_alu instid0(VALU_DEP_3) | instskip(SKIP_1) | instid1(VALU_DEP_4)
	v_mul_f32_e32 v30, v0, v9
	v_add_co_u32 v31, vcc_lo, s28, v31
	v_mul_f32_e32 v28, v0, v16
	v_add_co_ci_u32_e32 v32, vcc_lo, s29, v32, vcc_lo
	global_store_b128 v[31:32], v[27:30], off
.LBB17_52:
	s_or_b32 exec_lo, exec_lo, s0
	s_and_saveexec_b32 s0, s5
	s_cbranch_execz .LBB17_54
; %bb.53:
	s_delay_alu instid0(VALU_DEP_1) | instskip(SKIP_1) | instid1(VALU_DEP_2)
	v_ashrrev_i32_e32 v9, 31, v8
	v_mov_b32_e32 v16, v1
	v_lshlrev_b64 v[8:9], 3, v[8:9]
	s_delay_alu instid0(VALU_DEP_1) | instskip(NEXT) | instid1(VALU_DEP_2)
	v_add_co_u32 v8, vcc_lo, s30, v8
	v_add_co_ci_u32_e32 v9, vcc_lo, s31, v9, vcc_lo
	global_store_b64 v[8:9], v[16:17], off
.LBB17_54:
	s_or_b32 exec_lo, exec_lo, s0
	v_cmp_ne_u32_e32 vcc_lo, 1, v24
	v_mov_b32_e32 v8, 1.0
	s_cbranch_vccnz .LBB17_56
; %bb.55:
	v_div_scale_f32 v0, null, v10, v10, 1.0
	s_delay_alu instid0(VALU_DEP_1) | instskip(SKIP_2) | instid1(VALU_DEP_1)
	v_rcp_f32_e32 v1, v0
	s_waitcnt_depctr 0xfff
	v_fma_f32 v8, -v0, v1, 1.0
	v_fmac_f32_e32 v1, v8, v1
	v_div_scale_f32 v8, vcc_lo, 1.0, v10, 1.0
	s_delay_alu instid0(VALU_DEP_1) | instskip(NEXT) | instid1(VALU_DEP_1)
	v_mul_f32_e32 v9, v8, v1
	v_fma_f32 v16, -v0, v9, v8
	s_delay_alu instid0(VALU_DEP_1) | instskip(NEXT) | instid1(VALU_DEP_1)
	v_fmac_f32_e32 v9, v16, v1
	v_fma_f32 v0, -v0, v9, v8
	s_delay_alu instid0(VALU_DEP_1) | instskip(NEXT) | instid1(VALU_DEP_1)
	v_div_fmas_f32 v0, v0, v1, v9
	v_div_fixup_f32 v8, v0, v10, 1.0
.LBB17_56:
	s_add_i32 s4, s34, 2
	s_delay_alu instid0(SALU_CYCLE_1) | instskip(NEXT) | instid1(VALU_DEP_1)
	v_add_nc_u32_e32 v9, s4, v26
	v_mad_u64_u32 v[0:1], null, s1, v9, s[14:15]
	s_and_saveexec_b32 s0, s2
	s_cbranch_execz .LBB17_58
; %bb.57:
	s_delay_alu instid0(VALU_DEP_1)
	v_mad_u64_u32 v[9:10], null, 0x50, v0, v[104:105]
	v_cvt_f32_f16_e64 v17, v130
	v_mov_b32_e32 v10, 0
	v_lshrrev_b32_e32 v1, 16, v130
	v_lshrrev_b32_e32 v16, 16, v129
	v_cvt_f32_f16_e64 v25, v129
	v_mul_f32_e32 v29, v8, v17
	v_lshlrev_b64 v[9:10], 2, v[9:10]
	v_cvt_f32_f16_e32 v1, v1
	v_cvt_f32_f16_e32 v16, v16
	v_mul_f32_e32 v27, v8, v25
	s_delay_alu instid0(VALU_DEP_3) | instskip(NEXT) | instid1(VALU_DEP_3)
	v_mul_f32_e32 v30, v8, v1
	v_mul_f32_e32 v28, v8, v16
	v_add_co_u32 v8, vcc_lo, s28, v9
	v_add_co_ci_u32_e32 v9, vcc_lo, s29, v10, vcc_lo
	global_store_b128 v[8:9], v[27:30], off
.LBB17_58:
	s_or_b32 exec_lo, exec_lo, s0
	s_and_saveexec_b32 s0, s5
	s_cbranch_execz .LBB17_60
; %bb.59:
	s_delay_alu instid0(VALU_DEP_1) | instskip(SKIP_1) | instid1(VALU_DEP_2)
	v_ashrrev_i32_e32 v1, 31, v0
	v_mov_b32_e32 v17, v2
	v_lshlrev_b64 v[0:1], 3, v[0:1]
	s_delay_alu instid0(VALU_DEP_1) | instskip(NEXT) | instid1(VALU_DEP_2)
	v_add_co_u32 v0, vcc_lo, s30, v0
	v_add_co_ci_u32_e32 v1, vcc_lo, s31, v1, vcc_lo
	global_store_b64 v[0:1], v[17:18], off
.LBB17_60:
	s_or_b32 exec_lo, exec_lo, s0
	v_cmp_ne_u32_e32 vcc_lo, 1, v24
	v_mov_b32_e32 v2, 1.0
	s_cbranch_vccnz .LBB17_62
; %bb.61:
	v_div_scale_f32 v0, null, v11, v11, 1.0
	s_delay_alu instid0(VALU_DEP_1) | instskip(SKIP_2) | instid1(VALU_DEP_1)
	v_rcp_f32_e32 v1, v0
	s_waitcnt_depctr 0xfff
	v_fma_f32 v2, -v0, v1, 1.0
	v_fmac_f32_e32 v1, v2, v1
	v_div_scale_f32 v2, vcc_lo, 1.0, v11, 1.0
	s_delay_alu instid0(VALU_DEP_1) | instskip(NEXT) | instid1(VALU_DEP_1)
	v_mul_f32_e32 v8, v2, v1
	v_fma_f32 v9, -v0, v8, v2
	s_delay_alu instid0(VALU_DEP_1) | instskip(NEXT) | instid1(VALU_DEP_1)
	v_fmac_f32_e32 v8, v9, v1
	v_fma_f32 v0, -v0, v8, v2
	s_delay_alu instid0(VALU_DEP_1) | instskip(NEXT) | instid1(VALU_DEP_1)
	v_div_fmas_f32 v0, v0, v1, v8
	v_div_fixup_f32 v2, v0, v11, 1.0
.LBB17_62:
	s_add_i32 s0, s34, 3
	s_delay_alu instid0(SALU_CYCLE_1) | instskip(NEXT) | instid1(VALU_DEP_1)
	v_add_nc_u32_e32 v8, s0, v26
	v_mad_u64_u32 v[0:1], null, s1, v8, s[14:15]
	s_and_saveexec_b32 s7, s2
	s_cbranch_execz .LBB17_64
; %bb.63:
	s_delay_alu instid0(VALU_DEP_1)
	v_mad_u64_u32 v[8:9], null, 0x50, v0, v[104:105]
	v_lshrrev_b32_e32 v10, 16, v127
	v_cvt_f32_f16_e64 v18, v128
	v_mov_b32_e32 v9, 0
	v_lshrrev_b32_e32 v1, 16, v128
	v_cvt_f32_f16_e32 v26, v127
	v_cvt_f32_f16_e32 v25, v10
	v_mul_f32_e32 v10, v2, v18
	v_lshlrev_b64 v[16:17], 2, v[8:9]
	v_cvt_f32_f16_e32 v1, v1
	v_mul_f32_e32 v8, v2, v26
	v_mul_f32_e32 v9, v2, v25
	s_delay_alu instid0(VALU_DEP_3)
	v_mul_f32_e32 v11, v2, v1
	v_add_co_u32 v1, vcc_lo, s28, v16
	v_add_co_ci_u32_e32 v2, vcc_lo, s29, v17, vcc_lo
	global_store_b128 v[1:2], v[8:11], off
.LBB17_64:
	s_or_b32 exec_lo, exec_lo, s7
	s_and_saveexec_b32 s7, s5
	s_cbranch_execz .LBB17_66
; %bb.65:
	s_delay_alu instid0(VALU_DEP_1) | instskip(SKIP_1) | instid1(VALU_DEP_2)
	v_ashrrev_i32_e32 v1, 31, v0
	v_mov_b32_e32 v18, v3
	v_lshlrev_b64 v[0:1], 3, v[0:1]
	s_delay_alu instid0(VALU_DEP_1) | instskip(NEXT) | instid1(VALU_DEP_2)
	v_add_co_u32 v0, vcc_lo, s30, v0
	v_add_co_ci_u32_e32 v1, vcc_lo, s31, v1, vcc_lo
	global_store_b64 v[0:1], v[18:19], off
.LBB17_66:
	s_or_b32 exec_lo, exec_lo, s7
	v_add_nc_u32_e32 v0, s33, v116
	s_delay_alu instid0(VALU_DEP_1)
	v_cmp_gt_i32_e32 vcc_lo, s38, v0
	s_and_b32 exec_lo, exec_lo, vcc_lo
	s_cbranch_execz .LBB17_94
; %bb.67:
	v_cmp_ne_u32_e32 vcc_lo, 1, v24
	v_mov_b32_e32 v2, 1.0
	s_cbranch_vccnz .LBB17_69
; %bb.68:
	v_div_scale_f32 v0, null, v12, v12, 1.0
	s_delay_alu instid0(VALU_DEP_1) | instskip(SKIP_2) | instid1(VALU_DEP_1)
	v_rcp_f32_e32 v1, v0
	s_waitcnt_depctr 0xfff
	v_fma_f32 v2, -v0, v1, 1.0
	v_fmac_f32_e32 v1, v2, v1
	v_div_scale_f32 v2, vcc_lo, 1.0, v12, 1.0
	s_delay_alu instid0(VALU_DEP_1) | instskip(NEXT) | instid1(VALU_DEP_1)
	v_mul_f32_e32 v3, v2, v1
	v_fma_f32 v8, -v0, v3, v2
	s_delay_alu instid0(VALU_DEP_1) | instskip(NEXT) | instid1(VALU_DEP_1)
	v_fmac_f32_e32 v3, v8, v1
	v_fma_f32 v0, -v0, v3, v2
	s_delay_alu instid0(VALU_DEP_1) | instskip(NEXT) | instid1(VALU_DEP_1)
	v_div_fmas_f32 v0, v0, v1, v3
	v_div_fixup_f32 v2, v0, v12, 1.0
.LBB17_69:
	v_add_nc_u32_e32 v0, s3, v116
	s_delay_alu instid0(VALU_DEP_1) | instskip(NEXT) | instid1(VALU_DEP_1)
	v_mad_u64_u32 v[8:9], null, v0, s39, s[34:35]
	v_mad_u64_u32 v[0:1], null, s1, v8, s[14:15]
	s_and_saveexec_b32 s7, s2
	s_cbranch_execz .LBB17_71
; %bb.70:
	s_delay_alu instid0(VALU_DEP_1)
	v_mad_u64_u32 v[8:9], null, 0x50, v0, v[104:105]
	v_cvt_f32_f16_e32 v10, v126
	v_mov_b32_e32 v9, 0
	v_lshrrev_b32_e32 v1, 16, v126
	v_lshrrev_b32_e32 v3, 16, v125
	v_cvt_f32_f16_e32 v12, v125
	v_mul_f32_e32 v10, v2, v10
	v_lshlrev_b64 v[16:17], 2, v[8:9]
	v_cvt_f32_f16_e32 v1, v1
	v_cvt_f32_f16_e32 v3, v3
	v_mul_f32_e32 v8, v2, v12
	s_delay_alu instid0(VALU_DEP_3) | instskip(SKIP_1) | instid1(VALU_DEP_4)
	v_mul_f32_e32 v11, v2, v1
	v_add_co_u32 v1, vcc_lo, s28, v16
	v_mul_f32_e32 v9, v2, v3
	v_add_co_ci_u32_e32 v2, vcc_lo, s29, v17, vcc_lo
	global_store_b128 v[1:2], v[8:11], off
.LBB17_71:
	s_or_b32 exec_lo, exec_lo, s7
	s_and_saveexec_b32 s7, s5
	s_cbranch_execz .LBB17_73
; %bb.72:
	s_delay_alu instid0(VALU_DEP_1) | instskip(SKIP_1) | instid1(VALU_DEP_2)
	v_ashrrev_i32_e32 v1, 31, v0
	v_mov_b32_e32 v19, v4
	v_lshlrev_b64 v[0:1], 3, v[0:1]
	s_delay_alu instid0(VALU_DEP_1) | instskip(NEXT) | instid1(VALU_DEP_2)
	v_add_co_u32 v0, vcc_lo, s30, v0
	v_add_co_ci_u32_e32 v1, vcc_lo, s31, v1, vcc_lo
	global_store_b64 v[0:1], v[19:20], off
.LBB17_73:
	s_or_b32 exec_lo, exec_lo, s7
	v_lshrrev_b32_e32 v0, 2, v115
	s_delay_alu instid0(VALU_DEP_1) | instskip(NEXT) | instid1(VALU_DEP_1)
	v_add_nc_u32_e32 v1, s33, v0
	v_cmp_gt_i32_e32 vcc_lo, s38, v1
	s_and_b32 exec_lo, exec_lo, vcc_lo
	s_cbranch_execz .LBB17_94
; %bb.74:
	v_cmp_ne_u32_e32 vcc_lo, 1, v24
	v_mov_b32_e32 v2, 1.0
	s_cbranch_vccnz .LBB17_76
; %bb.75:
	v_div_scale_f32 v1, null, v13, v13, 1.0
	s_delay_alu instid0(VALU_DEP_1) | instskip(SKIP_2) | instid1(VALU_DEP_1)
	v_rcp_f32_e32 v2, v1
	s_waitcnt_depctr 0xfff
	v_fma_f32 v3, -v1, v2, 1.0
	v_fmac_f32_e32 v2, v3, v2
	v_div_scale_f32 v3, vcc_lo, 1.0, v13, 1.0
	s_delay_alu instid0(VALU_DEP_1) | instskip(NEXT) | instid1(VALU_DEP_1)
	v_mul_f32_e32 v4, v3, v2
	v_fma_f32 v8, -v1, v4, v3
	s_delay_alu instid0(VALU_DEP_1) | instskip(NEXT) | instid1(VALU_DEP_1)
	v_fmac_f32_e32 v4, v8, v2
	v_fma_f32 v1, -v1, v4, v3
	s_delay_alu instid0(VALU_DEP_1) | instskip(NEXT) | instid1(VALU_DEP_1)
	v_div_fmas_f32 v1, v1, v2, v4
	v_div_fixup_f32 v2, v1, v13, 1.0
.LBB17_76:
	v_add_nc_u32_e32 v0, s3, v0
	s_delay_alu instid0(VALU_DEP_1) | instskip(NEXT) | instid1(VALU_DEP_1)
	v_mad_u64_u32 v[3:4], null, v0, s39, s[6:7]
	v_mad_u64_u32 v[0:1], null, s1, v3, s[14:15]
	s_and_saveexec_b32 s6, s2
	s_cbranch_execz .LBB17_78
; %bb.77:
	v_lshrrev_b32_e32 v1, 16, v124
	s_delay_alu instid0(VALU_DEP_2) | instskip(SKIP_2) | instid1(VALU_DEP_4)
	v_mad_u64_u32 v[3:4], null, 0x50, v0, v[104:105]
	v_lshrrev_b32_e32 v8, 16, v123
	v_cvt_f32_f16_e32 v9, v124
	v_cvt_f32_f16_e32 v1, v1
	v_mov_b32_e32 v4, 0
	v_cvt_f32_f16_e32 v12, v123
	v_cvt_f32_f16_e32 v8, v8
	v_mul_f32_e32 v10, v2, v9
	v_mul_f32_e32 v11, v2, v1
	v_lshlrev_b64 v[3:4], 2, v[3:4]
	s_delay_alu instid0(VALU_DEP_4) | instskip(SKIP_1) | instid1(VALU_DEP_3)
	v_mul_f32_e32 v9, v2, v8
	v_mul_f32_e32 v8, v2, v12
	v_add_co_u32 v1, vcc_lo, s28, v3
	s_delay_alu instid0(VALU_DEP_4)
	v_add_co_ci_u32_e32 v2, vcc_lo, s29, v4, vcc_lo
	global_store_b128 v[1:2], v[8:11], off
.LBB17_78:
	s_or_b32 exec_lo, exec_lo, s6
	s_and_saveexec_b32 s6, s5
	s_cbranch_execz .LBB17_80
; %bb.79:
	s_delay_alu instid0(VALU_DEP_1) | instskip(SKIP_1) | instid1(VALU_DEP_2)
	v_ashrrev_i32_e32 v1, 31, v0
	v_mov_b32_e32 v20, v5
	v_lshlrev_b64 v[0:1], 3, v[0:1]
	s_delay_alu instid0(VALU_DEP_1) | instskip(NEXT) | instid1(VALU_DEP_2)
	v_add_co_u32 v0, vcc_lo, s30, v0
	v_add_co_ci_u32_e32 v1, vcc_lo, s31, v1, vcc_lo
	global_store_b64 v[0:1], v[20:21], off
.LBB17_80:
	s_or_b32 exec_lo, exec_lo, s6
	v_lshrrev_b32_e32 v0, 2, v114
	s_delay_alu instid0(VALU_DEP_1) | instskip(NEXT) | instid1(VALU_DEP_1)
	v_add_nc_u32_e32 v1, s33, v0
	v_cmp_gt_i32_e32 vcc_lo, s38, v1
	s_and_b32 exec_lo, exec_lo, vcc_lo
	s_cbranch_execz .LBB17_94
; %bb.81:
	v_cmp_ne_u32_e32 vcc_lo, 1, v24
	v_mov_b32_e32 v2, 1.0
	s_cbranch_vccnz .LBB17_83
; %bb.82:
	v_div_scale_f32 v1, null, v14, v14, 1.0
	s_delay_alu instid0(VALU_DEP_1) | instskip(SKIP_2) | instid1(VALU_DEP_1)
	v_rcp_f32_e32 v2, v1
	s_waitcnt_depctr 0xfff
	v_fma_f32 v3, -v1, v2, 1.0
	v_fmac_f32_e32 v2, v3, v2
	v_div_scale_f32 v3, vcc_lo, 1.0, v14, 1.0
	s_delay_alu instid0(VALU_DEP_1) | instskip(NEXT) | instid1(VALU_DEP_1)
	v_mul_f32_e32 v4, v3, v2
	v_fma_f32 v5, -v1, v4, v3
	s_delay_alu instid0(VALU_DEP_1) | instskip(NEXT) | instid1(VALU_DEP_1)
	v_fmac_f32_e32 v4, v5, v2
	v_fma_f32 v1, -v1, v4, v3
	s_delay_alu instid0(VALU_DEP_1) | instskip(NEXT) | instid1(VALU_DEP_1)
	v_div_fmas_f32 v1, v1, v2, v4
	v_div_fixup_f32 v2, v1, v14, 1.0
.LBB17_83:
	v_add_nc_u32_e32 v0, s3, v0
	s_delay_alu instid0(VALU_DEP_1) | instskip(NEXT) | instid1(VALU_DEP_1)
	v_mad_u64_u32 v[3:4], null, v0, s39, s[4:5]
	v_mad_u64_u32 v[0:1], null, s1, v3, s[14:15]
	s_and_saveexec_b32 s4, s2
	s_cbranch_execz .LBB17_85
; %bb.84:
	v_lshrrev_b32_e32 v1, 16, v122
	s_delay_alu instid0(VALU_DEP_2) | instskip(SKIP_2) | instid1(VALU_DEP_4)
	v_mad_u64_u32 v[3:4], null, 0x50, v0, v[104:105]
	v_lshrrev_b32_e32 v5, 16, v121
	v_cvt_f32_f16_e32 v10, v122
	v_cvt_f32_f16_e32 v1, v1
	v_mov_b32_e32 v4, 0
	v_cvt_f32_f16_e32 v12, v121
	v_cvt_f32_f16_e32 v11, v5
	s_delay_alu instid0(VALU_DEP_4) | instskip(NEXT) | instid1(VALU_DEP_4)
	v_mul_f32_e32 v5, v2, v1
	v_lshlrev_b64 v[8:9], 2, v[3:4]
	v_mul_f32_e32 v4, v2, v10
	s_delay_alu instid0(VALU_DEP_4) | instskip(SKIP_1) | instid1(VALU_DEP_4)
	v_mul_f32_e32 v3, v2, v11
	v_mul_f32_e32 v2, v2, v12
	v_add_co_u32 v8, vcc_lo, s28, v8
	v_add_co_ci_u32_e32 v9, vcc_lo, s29, v9, vcc_lo
	global_store_b128 v[8:9], v[2:5], off
.LBB17_85:
	s_or_b32 exec_lo, exec_lo, s4
	s_and_saveexec_b32 s4, s5
	s_cbranch_execz .LBB17_87
; %bb.86:
	s_delay_alu instid0(VALU_DEP_1) | instskip(SKIP_1) | instid1(VALU_DEP_2)
	v_ashrrev_i32_e32 v1, 31, v0
	v_mov_b32_e32 v21, v6
	v_lshlrev_b64 v[0:1], 3, v[0:1]
	s_delay_alu instid0(VALU_DEP_1) | instskip(NEXT) | instid1(VALU_DEP_2)
	v_add_co_u32 v0, vcc_lo, s30, v0
	v_add_co_ci_u32_e32 v1, vcc_lo, s31, v1, vcc_lo
	global_store_b64 v[0:1], v[21:22], off
.LBB17_87:
	s_or_b32 exec_lo, exec_lo, s4
	v_lshrrev_b32_e32 v0, 2, v113
	s_delay_alu instid0(VALU_DEP_1) | instskip(NEXT) | instid1(VALU_DEP_1)
	v_add_nc_u32_e32 v1, s33, v0
	v_cmp_gt_i32_e32 vcc_lo, s38, v1
	s_and_b32 exec_lo, exec_lo, vcc_lo
	s_cbranch_execz .LBB17_94
; %bb.88:
	v_cmp_ne_u32_e32 vcc_lo, 1, v24
	v_mov_b32_e32 v2, 1.0
	s_cbranch_vccnz .LBB17_90
; %bb.89:
	v_div_scale_f32 v1, null, v15, v15, 1.0
	s_delay_alu instid0(VALU_DEP_1) | instskip(SKIP_2) | instid1(VALU_DEP_1)
	v_rcp_f32_e32 v2, v1
	s_waitcnt_depctr 0xfff
	v_fma_f32 v3, -v1, v2, 1.0
	v_fmac_f32_e32 v2, v3, v2
	v_div_scale_f32 v3, vcc_lo, 1.0, v15, 1.0
	s_delay_alu instid0(VALU_DEP_1) | instskip(NEXT) | instid1(VALU_DEP_1)
	v_mul_f32_e32 v4, v3, v2
	v_fma_f32 v5, -v1, v4, v3
	s_delay_alu instid0(VALU_DEP_1) | instskip(NEXT) | instid1(VALU_DEP_1)
	v_fmac_f32_e32 v4, v5, v2
	v_fma_f32 v1, -v1, v4, v3
	s_delay_alu instid0(VALU_DEP_1) | instskip(NEXT) | instid1(VALU_DEP_1)
	v_div_fmas_f32 v1, v1, v2, v4
	v_div_fixup_f32 v2, v1, v15, 1.0
.LBB17_90:
	v_add_nc_u32_e32 v0, s3, v0
	s_delay_alu instid0(VALU_DEP_1) | instskip(NEXT) | instid1(VALU_DEP_1)
	v_mad_u64_u32 v[3:4], null, v0, s39, s[0:1]
	v_mad_u64_u32 v[0:1], null, s1, v3, s[14:15]
	s_and_saveexec_b32 s0, s2
	s_cbranch_execz .LBB17_92
; %bb.91:
	v_lshrrev_b32_e32 v1, 16, v119
	s_delay_alu instid0(VALU_DEP_2) | instskip(SKIP_2) | instid1(VALU_DEP_4)
	v_mad_u64_u32 v[3:4], null, 0x50, v0, v[104:105]
	v_lshrrev_b32_e32 v5, 16, v120
	v_cvt_f32_f16_e32 v6, v119
	v_cvt_f32_f16_e32 v1, v1
	v_mov_b32_e32 v4, 0
	v_cvt_f32_f16_e32 v11, v120
	v_cvt_f32_f16_e32 v10, v5
	s_delay_alu instid0(VALU_DEP_4) | instskip(NEXT) | instid1(VALU_DEP_4)
	v_mul_f32_e32 v5, v2, v1
	v_lshlrev_b64 v[8:9], 2, v[3:4]
	v_mul_f32_e32 v4, v2, v6
	s_delay_alu instid0(VALU_DEP_4) | instskip(SKIP_1) | instid1(VALU_DEP_4)
	v_mul_f32_e32 v3, v2, v10
	v_mul_f32_e32 v2, v2, v11
	v_add_co_u32 v8, vcc_lo, s28, v8
	v_add_co_ci_u32_e32 v9, vcc_lo, s29, v9, vcc_lo
	global_store_b128 v[8:9], v[2:5], off
.LBB17_92:
	s_or_b32 exec_lo, exec_lo, s0
	s_delay_alu instid0(SALU_CYCLE_1)
	s_and_b32 exec_lo, exec_lo, s5
	s_cbranch_execz .LBB17_94
; %bb.93:
	s_delay_alu instid0(VALU_DEP_1) | instskip(SKIP_1) | instid1(VALU_DEP_2)
	v_ashrrev_i32_e32 v1, 31, v0
	v_mov_b32_e32 v22, v7
	v_lshlrev_b64 v[0:1], 3, v[0:1]
	s_delay_alu instid0(VALU_DEP_1) | instskip(NEXT) | instid1(VALU_DEP_2)
	v_add_co_u32 v0, vcc_lo, s30, v0
	v_add_co_ci_u32_e32 v1, vcc_lo, s31, v1, vcc_lo
	global_store_b64 v[0:1], v[22:23], off
.LBB17_94:
	s_nop 0
	s_sendmsg sendmsg(MSG_DEALLOC_VGPRS)
	s_endpgm
	.section	.rodata,"a",@progbits
	.p2align	6, 0x0
	.amdhsa_kernel _ZL15flash_attn_tileILi80ELi80ELi16ELi4ELb0EEvPKcS1_S1_S1_S1_PKiPfP15HIP_vector_typeIfLj2EEffffjfiS5_IjLj3EEiiiiiiiiiiiliiliiiiil
		.amdhsa_group_segment_fixed_size 17600
		.amdhsa_private_segment_fixed_size 0
		.amdhsa_kernarg_size 464
		.amdhsa_user_sgpr_count 13
		.amdhsa_user_sgpr_dispatch_ptr 0
		.amdhsa_user_sgpr_queue_ptr 0
		.amdhsa_user_sgpr_kernarg_segment_ptr 1
		.amdhsa_user_sgpr_dispatch_id 0
		.amdhsa_user_sgpr_private_segment_size 0
		.amdhsa_wavefront_size32 1
		.amdhsa_uses_dynamic_stack 0
		.amdhsa_enable_private_segment 0
		.amdhsa_system_sgpr_workgroup_id_x 1
		.amdhsa_system_sgpr_workgroup_id_y 1
		.amdhsa_system_sgpr_workgroup_id_z 1
		.amdhsa_system_sgpr_workgroup_info 0
		.amdhsa_system_vgpr_workitem_id 1
		.amdhsa_next_free_vgpr 208
		.amdhsa_next_free_sgpr 51
		.amdhsa_reserve_vcc 1
		.amdhsa_float_round_mode_32 0
		.amdhsa_float_round_mode_16_64 0
		.amdhsa_float_denorm_mode_32 3
		.amdhsa_float_denorm_mode_16_64 3
		.amdhsa_dx10_clamp 1
		.amdhsa_ieee_mode 1
		.amdhsa_fp16_overflow 0
		.amdhsa_workgroup_processor_mode 1
		.amdhsa_memory_ordered 1
		.amdhsa_forward_progress 0
		.amdhsa_shared_vgpr_count 0
		.amdhsa_exception_fp_ieee_invalid_op 0
		.amdhsa_exception_fp_denorm_src 0
		.amdhsa_exception_fp_ieee_div_zero 0
		.amdhsa_exception_fp_ieee_overflow 0
		.amdhsa_exception_fp_ieee_underflow 0
		.amdhsa_exception_fp_ieee_inexact 0
		.amdhsa_exception_int_div_zero 0
	.end_amdhsa_kernel
	.section	.text._ZL15flash_attn_tileILi80ELi80ELi16ELi4ELb0EEvPKcS1_S1_S1_S1_PKiPfP15HIP_vector_typeIfLj2EEffffjfiS5_IjLj3EEiiiiiiiiiiiliiliiiiil,"axG",@progbits,_ZL15flash_attn_tileILi80ELi80ELi16ELi4ELb0EEvPKcS1_S1_S1_S1_PKiPfP15HIP_vector_typeIfLj2EEffffjfiS5_IjLj3EEiiiiiiiiiiiliiliiiiil,comdat
.Lfunc_end17:
	.size	_ZL15flash_attn_tileILi80ELi80ELi16ELi4ELb0EEvPKcS1_S1_S1_S1_PKiPfP15HIP_vector_typeIfLj2EEffffjfiS5_IjLj3EEiiiiiiiiiiiliiliiiiil, .Lfunc_end17-_ZL15flash_attn_tileILi80ELi80ELi16ELi4ELb0EEvPKcS1_S1_S1_S1_PKiPfP15HIP_vector_typeIfLj2EEffffjfiS5_IjLj3EEiiiiiiiiiiiliiliiiiil
                                        ; -- End function
	.section	.AMDGPU.csdata,"",@progbits
; Kernel info:
; codeLenInByte = 24324
; NumSgprs: 53
; NumVgprs: 208
; ScratchSize: 0
; MemoryBound: 0
; FloatMode: 240
; IeeeMode: 1
; LDSByteSize: 17600 bytes/workgroup (compile time only)
; SGPRBlocks: 6
; VGPRBlocks: 25
; NumSGPRsForWavesPerEU: 53
; NumVGPRsForWavesPerEU: 208
; Occupancy: 7
; WaveLimiterHint : 1
; COMPUTE_PGM_RSRC2:SCRATCH_EN: 0
; COMPUTE_PGM_RSRC2:USER_SGPR: 13
; COMPUTE_PGM_RSRC2:TRAP_HANDLER: 0
; COMPUTE_PGM_RSRC2:TGID_X_EN: 1
; COMPUTE_PGM_RSRC2:TGID_Y_EN: 1
; COMPUTE_PGM_RSRC2:TGID_Z_EN: 1
; COMPUTE_PGM_RSRC2:TIDIG_COMP_CNT: 1
	.section	.text._ZL25flash_attn_mask_to_KV_maxILi16EEvPK7__half2Piiii,"axG",@progbits,_ZL25flash_attn_mask_to_KV_maxILi16EEvPK7__half2Piiii,comdat
	.globl	_ZL25flash_attn_mask_to_KV_maxILi16EEvPK7__half2Piiii ; -- Begin function _ZL25flash_attn_mask_to_KV_maxILi16EEvPK7__half2Piiii
	.p2align	8
	.type	_ZL25flash_attn_mask_to_KV_maxILi16EEvPK7__half2Piiii,@function
_ZL25flash_attn_mask_to_KV_maxILi16EEvPK7__half2Piiii: ; @_ZL25flash_attn_mask_to_KV_maxILi16EEvPK7__half2Piiii
; %bb.0:
	s_load_b128 s[4:7], s[0:1], 0x0
	s_mov_b32 s2, exec_lo
	v_cmpx_gt_u32_e32 32, v0
	s_cbranch_execz .LBB18_2
; %bb.1:
	v_dual_mov_b32 v2, 1 :: v_dual_lshlrev_b32 v1, 2, v0
	ds_store_b32 v1, v2
.LBB18_2:
	s_or_b32 exec_lo, exec_lo, s2
	s_clause 0x1
	s_load_b128 s[8:11], s[0:1], 0x10
	s_load_b32 s1, s[0:1], 0x20
	v_dual_mov_b32 v2, 0 :: v_dual_and_b32 v1, 31, v0
	v_lshrrev_b32_e32 v5, 3, v0
	s_waitcnt lgkmcnt(0)
	s_barrier
	s_delay_alu instid0(VALU_DEP_2) | instskip(SKIP_4) | instid1(SALU_CYCLE_1)
	v_lshlrev_b32_e32 v6, 2, v1
	buffer_gl0_inv
	s_mul_i32 s0, s14, s9
	s_mul_i32 s2, s15, s10
	s_lshl_b32 s0, s0, 4
	s_add_i32 s2, s2, s0
	v_cmp_eq_u32_e64 s0, 0, v1
	s_ashr_i32 s3, s2, 31
	s_delay_alu instid0(SALU_CYCLE_1) | instskip(NEXT) | instid1(SALU_CYCLE_1)
	s_lshl_b64 s[10:11], s[2:3], 2
	s_add_u32 s3, s4, s10
	s_addc_u32 s4, s5, s11
	s_lshl_b32 s5, s8, 8
	s_branch .LBB18_4
.LBB18_3:                               ;   in Loop: Header=BB18_4 Depth=1
	s_or_b32 exec_lo, exec_lo, s10
	s_waitcnt lgkmcnt(0)
	s_barrier
	buffer_gl0_inv
	ds_load_b32 v1, v6
	s_waitcnt lgkmcnt(0)
	s_barrier
	buffer_gl0_inv
	;;#ASMSTART
	;;#ASMEND
	v_cmp_ne_u32_e32 vcc_lo, 0, v1
	s_cmp_lg_u32 vcc_lo, exec_lo
	s_cselect_b32 s8, -1, 0
	s_delay_alu instid0(SALU_CYCLE_1)
	s_and_b32 vcc_lo, exec_lo, s8
	s_cbranch_vccnz .LBB18_68
.LBB18_4:                               ; =>This Inner Loop Header: Depth=1
	s_mov_b32 s2, s5
	s_addk_i32 s5, 0xff00
	s_delay_alu instid0(SALU_CYCLE_1)
	s_cmp_lt_i32 s5, 0
	s_cbranch_scc1 .LBB18_67
; %bb.5:                                ;   in Loop: Header=BB18_4 Depth=1
	s_lshr_b32 s8, s5, 1
	s_mov_b32 s10, 0
	v_add_nc_u32_e32 v1, s8, v0
	s_delay_alu instid0(VALU_DEP_1) | instskip(NEXT) | instid1(VALU_DEP_1)
	v_lshlrev_b64 v[3:4], 2, v[1:2]
	v_add_co_u32 v3, vcc_lo, s3, v3
	s_delay_alu instid0(VALU_DEP_2) | instskip(SKIP_4) | instid1(VALU_DEP_2)
	v_add_co_ci_u32_e32 v4, vcc_lo, s4, v4, vcc_lo
	global_load_b32 v3, v[3:4], off
	s_waitcnt vmcnt(0)
	v_lshrrev_b32_e32 v4, 16, v3
	v_cmp_class_f16_e64 s8, v3, 0x204
	v_and_b32_e32 v4, 0x7fff, v4
	s_delay_alu instid0(VALU_DEP_1) | instskip(NEXT) | instid1(VALU_DEP_3)
	v_cmp_eq_f16_e32 vcc_lo, 0x7c00, v4
	s_and_b32 s11, s8, vcc_lo
	s_delay_alu instid0(SALU_CYCLE_1)
	s_and_saveexec_b32 s8, s11
	s_cbranch_execz .LBB18_65
; %bb.6:                                ;   in Loop: Header=BB18_4 Depth=1
	v_add_nc_u32_e32 v3, s9, v1
	s_mov_b32 s11, 0
	s_delay_alu instid0(VALU_DEP_1) | instskip(NEXT) | instid1(VALU_DEP_1)
	v_ashrrev_i32_e32 v4, 31, v3
	v_lshlrev_b64 v[7:8], 2, v[3:4]
	s_delay_alu instid0(VALU_DEP_1) | instskip(NEXT) | instid1(VALU_DEP_2)
	v_add_co_u32 v7, vcc_lo, s3, v7
	v_add_co_ci_u32_e32 v8, vcc_lo, s4, v8, vcc_lo
	global_load_b32 v1, v[7:8], off
	s_waitcnt vmcnt(0)
	v_cmp_class_f16_e64 s12, v1, 0x204
	s_delay_alu instid0(VALU_DEP_1)
	s_and_saveexec_b32 s10, s12
	s_cbranch_execz .LBB18_64
; %bb.7:                                ;   in Loop: Header=BB18_4 Depth=1
	v_lshrrev_b32_e32 v1, 16, v1
	s_mov_b32 s12, 0
	s_delay_alu instid0(VALU_DEP_1) | instskip(NEXT) | instid1(VALU_DEP_1)
	v_cmp_class_f16_e64 s13, v1, 0x204
	s_and_saveexec_b32 s11, s13
	s_cbranch_execz .LBB18_63
; %bb.8:                                ;   in Loop: Header=BB18_4 Depth=1
	v_add_nc_u32_e32 v3, s9, v3
	s_mov_b32 s13, 0
	s_delay_alu instid0(VALU_DEP_1) | instskip(NEXT) | instid1(VALU_DEP_1)
	v_ashrrev_i32_e32 v4, 31, v3
	v_lshlrev_b64 v[7:8], 2, v[3:4]
	s_delay_alu instid0(VALU_DEP_1) | instskip(NEXT) | instid1(VALU_DEP_2)
	v_add_co_u32 v7, vcc_lo, s3, v7
	v_add_co_ci_u32_e32 v8, vcc_lo, s4, v8, vcc_lo
	global_load_b32 v1, v[7:8], off
	s_waitcnt vmcnt(0)
	v_cmp_class_f16_e64 s16, v1, 0x204
	s_delay_alu instid0(VALU_DEP_1)
	s_and_saveexec_b32 s12, s16
	s_cbranch_execz .LBB18_62
; %bb.9:                                ;   in Loop: Header=BB18_4 Depth=1
	v_lshrrev_b32_e32 v1, 16, v1
	s_mov_b32 s16, 0
	s_delay_alu instid0(VALU_DEP_1) | instskip(NEXT) | instid1(VALU_DEP_1)
	v_cmp_class_f16_e64 s17, v1, 0x204
	s_and_saveexec_b32 s13, s17
	s_cbranch_execz .LBB18_61
; %bb.10:                               ;   in Loop: Header=BB18_4 Depth=1
	v_add_nc_u32_e32 v3, s9, v3
	s_mov_b32 s17, 0
	s_delay_alu instid0(VALU_DEP_1) | instskip(NEXT) | instid1(VALU_DEP_1)
	v_ashrrev_i32_e32 v4, 31, v3
	v_lshlrev_b64 v[7:8], 2, v[3:4]
	s_delay_alu instid0(VALU_DEP_1) | instskip(NEXT) | instid1(VALU_DEP_2)
	v_add_co_u32 v7, vcc_lo, s3, v7
	v_add_co_ci_u32_e32 v8, vcc_lo, s4, v8, vcc_lo
	global_load_b32 v1, v[7:8], off
	s_waitcnt vmcnt(0)
	v_cmp_class_f16_e64 s18, v1, 0x204
	s_delay_alu instid0(VALU_DEP_1)
	s_and_saveexec_b32 s16, s18
	s_cbranch_execz .LBB18_60
; %bb.11:                               ;   in Loop: Header=BB18_4 Depth=1
	v_lshrrev_b32_e32 v1, 16, v1
	s_mov_b32 s18, 0
	s_delay_alu instid0(VALU_DEP_1) | instskip(NEXT) | instid1(VALU_DEP_1)
	v_cmp_class_f16_e64 s19, v1, 0x204
	s_and_saveexec_b32 s17, s19
	s_cbranch_execz .LBB18_59
; %bb.12:                               ;   in Loop: Header=BB18_4 Depth=1
	v_add_nc_u32_e32 v3, s9, v3
	s_mov_b32 s19, 0
	s_delay_alu instid0(VALU_DEP_1) | instskip(NEXT) | instid1(VALU_DEP_1)
	v_ashrrev_i32_e32 v4, 31, v3
	v_lshlrev_b64 v[7:8], 2, v[3:4]
	s_delay_alu instid0(VALU_DEP_1) | instskip(NEXT) | instid1(VALU_DEP_2)
	v_add_co_u32 v7, vcc_lo, s3, v7
	v_add_co_ci_u32_e32 v8, vcc_lo, s4, v8, vcc_lo
	global_load_b32 v1, v[7:8], off
	s_waitcnt vmcnt(0)
	v_cmp_class_f16_e64 s20, v1, 0x204
	s_delay_alu instid0(VALU_DEP_1)
	s_and_saveexec_b32 s18, s20
	s_cbranch_execz .LBB18_58
; %bb.13:                               ;   in Loop: Header=BB18_4 Depth=1
	;; [unrolled: 22-line block ×12, first 2 shown]
	v_lshrrev_b32_e32 v1, 16, v1
	s_mov_b32 s41, 0
	s_delay_alu instid0(VALU_DEP_1) | instskip(NEXT) | instid1(VALU_DEP_1)
	v_cmp_class_f16_e64 s42, v1, 0x204
	s_and_saveexec_b32 s40, s42
	s_cbranch_execz .LBB18_37
; %bb.34:                               ;   in Loop: Header=BB18_4 Depth=1
	v_add_nc_u32_e32 v3, s9, v3
	s_delay_alu instid0(VALU_DEP_1) | instskip(NEXT) | instid1(VALU_DEP_1)
	v_ashrrev_i32_e32 v4, 31, v3
	v_lshlrev_b64 v[3:4], 2, v[3:4]
	s_delay_alu instid0(VALU_DEP_1) | instskip(NEXT) | instid1(VALU_DEP_2)
	v_add_co_u32 v3, vcc_lo, s3, v3
	v_add_co_ci_u32_e32 v4, vcc_lo, s4, v4, vcc_lo
	global_load_b32 v1, v[3:4], off
	s_waitcnt vmcnt(0)
	v_cmp_class_f16_e64 s43, v1, 0x204
	s_delay_alu instid0(VALU_DEP_1)
	s_and_saveexec_b32 s42, s43
; %bb.35:                               ;   in Loop: Header=BB18_4 Depth=1
	v_lshrrev_b32_e32 v1, 16, v1
	s_delay_alu instid0(VALU_DEP_1) | instskip(NEXT) | instid1(VALU_DEP_1)
	v_cmp_class_f16_e64 s41, v1, 0x204
	s_and_b32 s41, s41, exec_lo
; %bb.36:                               ;   in Loop: Header=BB18_4 Depth=1
	s_or_b32 exec_lo, exec_lo, s42
	s_delay_alu instid0(SALU_CYCLE_1)
	s_and_b32 s41, s41, exec_lo
.LBB18_37:                              ;   in Loop: Header=BB18_4 Depth=1
	s_or_b32 exec_lo, exec_lo, s40
	s_delay_alu instid0(SALU_CYCLE_1)
	s_and_b32 s40, s41, exec_lo
.LBB18_38:                              ;   in Loop: Header=BB18_4 Depth=1
	s_or_b32 exec_lo, exec_lo, s39
	s_delay_alu instid0(SALU_CYCLE_1)
	s_and_b32 s39, s40, exec_lo
.LBB18_39:                              ;   in Loop: Header=BB18_4 Depth=1
	s_or_b32 exec_lo, exec_lo, s38
	s_delay_alu instid0(SALU_CYCLE_1)
	s_and_b32 s38, s39, exec_lo
.LBB18_40:                              ;   in Loop: Header=BB18_4 Depth=1
	s_or_b32 exec_lo, exec_lo, s37
	s_delay_alu instid0(SALU_CYCLE_1)
	s_and_b32 s37, s38, exec_lo
.LBB18_41:                              ;   in Loop: Header=BB18_4 Depth=1
	s_or_b32 exec_lo, exec_lo, s36
	s_delay_alu instid0(SALU_CYCLE_1)
	s_and_b32 s36, s37, exec_lo
.LBB18_42:                              ;   in Loop: Header=BB18_4 Depth=1
	s_or_b32 exec_lo, exec_lo, s35
	s_delay_alu instid0(SALU_CYCLE_1)
	s_and_b32 s35, s36, exec_lo
.LBB18_43:                              ;   in Loop: Header=BB18_4 Depth=1
	s_or_b32 exec_lo, exec_lo, s34
	s_delay_alu instid0(SALU_CYCLE_1)
	s_and_b32 s34, s35, exec_lo
.LBB18_44:                              ;   in Loop: Header=BB18_4 Depth=1
	s_or_b32 exec_lo, exec_lo, s33
	s_delay_alu instid0(SALU_CYCLE_1)
	s_and_b32 s33, s34, exec_lo
.LBB18_45:                              ;   in Loop: Header=BB18_4 Depth=1
	s_or_b32 exec_lo, exec_lo, s31
	s_delay_alu instid0(SALU_CYCLE_1)
	s_and_b32 s31, s33, exec_lo
.LBB18_46:                              ;   in Loop: Header=BB18_4 Depth=1
	s_or_b32 exec_lo, exec_lo, s30
	s_delay_alu instid0(SALU_CYCLE_1)
	s_and_b32 s30, s31, exec_lo
.LBB18_47:                              ;   in Loop: Header=BB18_4 Depth=1
	s_or_b32 exec_lo, exec_lo, s29
	s_delay_alu instid0(SALU_CYCLE_1)
	s_and_b32 s29, s30, exec_lo
.LBB18_48:                              ;   in Loop: Header=BB18_4 Depth=1
	s_or_b32 exec_lo, exec_lo, s28
	s_delay_alu instid0(SALU_CYCLE_1)
	s_and_b32 s28, s29, exec_lo
.LBB18_49:                              ;   in Loop: Header=BB18_4 Depth=1
	s_or_b32 exec_lo, exec_lo, s27
	s_delay_alu instid0(SALU_CYCLE_1)
	s_and_b32 s27, s28, exec_lo
.LBB18_50:                              ;   in Loop: Header=BB18_4 Depth=1
	s_or_b32 exec_lo, exec_lo, s26
	s_delay_alu instid0(SALU_CYCLE_1)
	s_and_b32 s26, s27, exec_lo
.LBB18_51:                              ;   in Loop: Header=BB18_4 Depth=1
	s_or_b32 exec_lo, exec_lo, s25
	s_delay_alu instid0(SALU_CYCLE_1)
	s_and_b32 s25, s26, exec_lo
.LBB18_52:                              ;   in Loop: Header=BB18_4 Depth=1
	s_or_b32 exec_lo, exec_lo, s24
	s_delay_alu instid0(SALU_CYCLE_1)
	s_and_b32 s24, s25, exec_lo
.LBB18_53:                              ;   in Loop: Header=BB18_4 Depth=1
	s_or_b32 exec_lo, exec_lo, s23
	s_delay_alu instid0(SALU_CYCLE_1)
	s_and_b32 s23, s24, exec_lo
.LBB18_54:                              ;   in Loop: Header=BB18_4 Depth=1
	s_or_b32 exec_lo, exec_lo, s22
	s_delay_alu instid0(SALU_CYCLE_1)
	s_and_b32 s22, s23, exec_lo
.LBB18_55:                              ;   in Loop: Header=BB18_4 Depth=1
	s_or_b32 exec_lo, exec_lo, s21
	s_delay_alu instid0(SALU_CYCLE_1)
	s_and_b32 s21, s22, exec_lo
.LBB18_56:                              ;   in Loop: Header=BB18_4 Depth=1
	s_or_b32 exec_lo, exec_lo, s20
	s_delay_alu instid0(SALU_CYCLE_1)
	s_and_b32 s20, s21, exec_lo
.LBB18_57:                              ;   in Loop: Header=BB18_4 Depth=1
	s_or_b32 exec_lo, exec_lo, s19
	s_delay_alu instid0(SALU_CYCLE_1)
	s_and_b32 s19, s20, exec_lo
.LBB18_58:                              ;   in Loop: Header=BB18_4 Depth=1
	s_or_b32 exec_lo, exec_lo, s18
	s_delay_alu instid0(SALU_CYCLE_1)
	s_and_b32 s18, s19, exec_lo
.LBB18_59:                              ;   in Loop: Header=BB18_4 Depth=1
	s_or_b32 exec_lo, exec_lo, s17
	s_delay_alu instid0(SALU_CYCLE_1)
	s_and_b32 s17, s18, exec_lo
.LBB18_60:                              ;   in Loop: Header=BB18_4 Depth=1
	s_or_b32 exec_lo, exec_lo, s16
	s_delay_alu instid0(SALU_CYCLE_1)
	s_and_b32 s16, s17, exec_lo
.LBB18_61:                              ;   in Loop: Header=BB18_4 Depth=1
	s_or_b32 exec_lo, exec_lo, s13
	s_delay_alu instid0(SALU_CYCLE_1)
	s_and_b32 s13, s16, exec_lo
.LBB18_62:                              ;   in Loop: Header=BB18_4 Depth=1
	s_or_b32 exec_lo, exec_lo, s12
	s_delay_alu instid0(SALU_CYCLE_1)
	s_and_b32 s12, s13, exec_lo
.LBB18_63:                              ;   in Loop: Header=BB18_4 Depth=1
	s_or_b32 exec_lo, exec_lo, s11
	s_delay_alu instid0(SALU_CYCLE_1)
	s_and_b32 s11, s12, exec_lo
.LBB18_64:                              ;   in Loop: Header=BB18_4 Depth=1
	s_or_b32 exec_lo, exec_lo, s10
	s_delay_alu instid0(SALU_CYCLE_1)
	s_and_b32 s10, s11, exec_lo
.LBB18_65:                              ;   in Loop: Header=BB18_4 Depth=1
	s_or_b32 exec_lo, exec_lo, s8
	v_cndmask_b32_e64 v1, 0, 1, s10
	;;#ASMSTART
	;;#ASMEND
	s_delay_alu instid0(VALU_DEP_1)
	v_cmp_ne_u32_e32 vcc_lo, 0, v1
	s_mov_b32 s8, exec_lo
	s_and_saveexec_b32 s10, s0
	s_cbranch_execz .LBB18_3
; %bb.66:                               ;   in Loop: Header=BB18_4 Depth=1
	s_cmp_eq_u32 vcc_lo, s8
	s_cselect_b32 s8, -1, 0
	s_delay_alu instid0(SALU_CYCLE_1)
	v_cndmask_b32_e64 v1, 0, 1, s8
	ds_store_b32 v5, v1
	s_branch .LBB18_3
.LBB18_67:                              ;   in Loop: Header=BB18_4 Depth=1
                                        ; implicit-def: $sgpr5
	s_cbranch_execz .LBB18_4
.LBB18_68:
	s_mov_b32 s0, exec_lo
	v_cmpx_eq_u32_e32 0, v0
	s_cbranch_execz .LBB18_70
; %bb.69:
	s_mul_i32 s0, s1, s15
	v_dual_mov_b32 v0, 0 :: v_dual_mov_b32 v1, s2
	s_add_i32 s0, s0, s14
	s_delay_alu instid0(SALU_CYCLE_1) | instskip(NEXT) | instid1(SALU_CYCLE_1)
	s_ashr_i32 s1, s0, 31
	s_lshl_b64 s[0:1], s[0:1], 2
	s_delay_alu instid0(SALU_CYCLE_1)
	s_add_u32 s0, s6, s0
	s_addc_u32 s1, s7, s1
	global_store_b32 v0, v1, s[0:1]
.LBB18_70:
	s_nop 0
	s_sendmsg sendmsg(MSG_DEALLOC_VGPRS)
	s_endpgm
	.section	.rodata,"a",@progbits
	.p2align	6, 0x0
	.amdhsa_kernel _ZL25flash_attn_mask_to_KV_maxILi16EEvPK7__half2Piiii
		.amdhsa_group_segment_fixed_size 128
		.amdhsa_private_segment_fixed_size 0
		.amdhsa_kernarg_size 288
		.amdhsa_user_sgpr_count 14
		.amdhsa_user_sgpr_dispatch_ptr 0
		.amdhsa_user_sgpr_queue_ptr 0
		.amdhsa_user_sgpr_kernarg_segment_ptr 1
		.amdhsa_user_sgpr_dispatch_id 0
		.amdhsa_user_sgpr_private_segment_size 0
		.amdhsa_wavefront_size32 1
		.amdhsa_uses_dynamic_stack 0
		.amdhsa_enable_private_segment 0
		.amdhsa_system_sgpr_workgroup_id_x 1
		.amdhsa_system_sgpr_workgroup_id_y 1
		.amdhsa_system_sgpr_workgroup_id_z 0
		.amdhsa_system_sgpr_workgroup_info 0
		.amdhsa_system_vgpr_workitem_id 0
		.amdhsa_next_free_vgpr 9
		.amdhsa_next_free_sgpr 44
		.amdhsa_reserve_vcc 1
		.amdhsa_float_round_mode_32 0
		.amdhsa_float_round_mode_16_64 0
		.amdhsa_float_denorm_mode_32 3
		.amdhsa_float_denorm_mode_16_64 3
		.amdhsa_dx10_clamp 1
		.amdhsa_ieee_mode 1
		.amdhsa_fp16_overflow 0
		.amdhsa_workgroup_processor_mode 1
		.amdhsa_memory_ordered 1
		.amdhsa_forward_progress 0
		.amdhsa_shared_vgpr_count 0
		.amdhsa_exception_fp_ieee_invalid_op 0
		.amdhsa_exception_fp_denorm_src 0
		.amdhsa_exception_fp_ieee_div_zero 0
		.amdhsa_exception_fp_ieee_overflow 0
		.amdhsa_exception_fp_ieee_underflow 0
		.amdhsa_exception_fp_ieee_inexact 0
		.amdhsa_exception_int_div_zero 0
	.end_amdhsa_kernel
	.section	.text._ZL25flash_attn_mask_to_KV_maxILi16EEvPK7__half2Piiii,"axG",@progbits,_ZL25flash_attn_mask_to_KV_maxILi16EEvPK7__half2Piiii,comdat
.Lfunc_end18:
	.size	_ZL25flash_attn_mask_to_KV_maxILi16EEvPK7__half2Piiii, .Lfunc_end18-_ZL25flash_attn_mask_to_KV_maxILi16EEvPK7__half2Piiii
                                        ; -- End function
	.section	.AMDGPU.csdata,"",@progbits
; Kernel info:
; codeLenInByte = 2432
; NumSgprs: 46
; NumVgprs: 9
; ScratchSize: 0
; MemoryBound: 0
; FloatMode: 240
; IeeeMode: 1
; LDSByteSize: 128 bytes/workgroup (compile time only)
; SGPRBlocks: 5
; VGPRBlocks: 1
; NumSGPRsForWavesPerEU: 46
; NumVGPRsForWavesPerEU: 9
; Occupancy: 16
; WaveLimiterHint : 0
; COMPUTE_PGM_RSRC2:SCRATCH_EN: 0
; COMPUTE_PGM_RSRC2:USER_SGPR: 14
; COMPUTE_PGM_RSRC2:TRAP_HANDLER: 0
; COMPUTE_PGM_RSRC2:TGID_X_EN: 1
; COMPUTE_PGM_RSRC2:TGID_Y_EN: 1
; COMPUTE_PGM_RSRC2:TGID_Z_EN: 0
; COMPUTE_PGM_RSRC2:TIDIG_COMP_CNT: 0
	.section	.text._ZL33flash_attn_stream_k_fixup_uniformILi80ELi16ELi4EEvPfPK15HIP_vector_typeIfLj2EEiiiiiiS1_IjLj3EES5_S5_,"axG",@progbits,_ZL33flash_attn_stream_k_fixup_uniformILi80ELi16ELi4EEvPfPK15HIP_vector_typeIfLj2EEiiiiiiS1_IjLj3EES5_S5_,comdat
	.globl	_ZL33flash_attn_stream_k_fixup_uniformILi80ELi16ELi4EEvPfPK15HIP_vector_typeIfLj2EEiiiiiiS1_IjLj3EES5_S5_ ; -- Begin function _ZL33flash_attn_stream_k_fixup_uniformILi80ELi16ELi4EEvPfPK15HIP_vector_typeIfLj2EEiiiiiiS1_IjLj3EES5_S5_
	.p2align	8
	.type	_ZL33flash_attn_stream_k_fixup_uniformILi80ELi16ELi4EEvPfPK15HIP_vector_typeIfLj2EEiiiiiiS1_IjLj3EES5_S5_,@function
_ZL33flash_attn_stream_k_fixup_uniformILi80ELi16ELi4EEvPfPK15HIP_vector_typeIfLj2EEiiiiiiS1_IjLj3EES5_S5_: ; @_ZL33flash_attn_stream_k_fixup_uniformILi80ELi16ELi4EEvPfPK15HIP_vector_typeIfLj2EEiiiiiiS1_IjLj3EES5_S5_
; %bb.0:
	s_clause 0x1
	s_load_b256 s[4:11], s[0:1], 0x1c
	s_load_b128 s[16:19], s[0:1], 0x3c
	s_waitcnt lgkmcnt(0)
	s_mul_hi_u32 s2, s7, s13
	s_delay_alu instid0(SALU_CYCLE_1) | instskip(NEXT) | instid1(SALU_CYCLE_1)
	s_add_i32 s2, s13, s2
	s_lshr_b32 s2, s2, s8
	s_delay_alu instid0(SALU_CYCLE_1) | instskip(SKIP_2) | instid1(SALU_CYCLE_1)
	s_mul_i32 s3, s2, s9
	s_load_b64 s[8:9], s[0:1], 0x10
	s_sub_i32 s3, s13, s3
	s_mul_hi_u32 s7, s3, s10
	s_delay_alu instid0(SALU_CYCLE_1) | instskip(NEXT) | instid1(SALU_CYCLE_1)
	s_add_i32 s7, s3, s7
	s_lshr_b32 s7, s7, s11
	s_delay_alu instid0(SALU_CYCLE_1) | instskip(NEXT) | instid1(SALU_CYCLE_1)
	s_mul_i32 s10, s7, s16
	s_sub_i32 s3, s3, s10
	s_delay_alu instid0(SALU_CYCLE_1) | instskip(NEXT) | instid1(SALU_CYCLE_1)
	s_mul_hi_u32 s10, s3, s17
	s_add_i32 s10, s3, s10
	s_delay_alu instid0(SALU_CYCLE_1) | instskip(NEXT) | instid1(SALU_CYCLE_1)
	s_lshr_b32 s11, s10, s18
	s_mul_i32 s10, s11, s19
	s_lshl_b32 s11, s11, 2
	s_sub_i32 s10, s3, s10
	s_delay_alu instid0(SALU_CYCLE_1) | instskip(NEXT) | instid1(SALU_CYCLE_1)
	s_lshl_b32 s3, s10, 4
	s_add_i32 s3, s3, s14
	s_waitcnt lgkmcnt(0)
	s_cmp_lt_i32 s3, s8
	s_cselect_b32 s3, -1, 0
	s_add_i32 s11, s11, s15
	s_delay_alu instid0(SALU_CYCLE_1) | instskip(SKIP_1) | instid1(SALU_CYCLE_1)
	s_cmp_lt_i32 s11, s5
	s_cselect_b32 s12, -1, 0
	s_and_b32 s3, s3, s12
	s_delay_alu instid0(SALU_CYCLE_1)
	s_and_not1_b32 vcc_lo, exec_lo, s3
	s_cbranch_vccnz .LBB19_6
; %bb.1:
	s_mul_i32 s8, s2, s8
	s_mul_i32 s7, s7, s5
	s_add_i32 s8, s8, s14
	s_add_i32 s5, s11, s7
	s_mul_i32 s8, s8, s9
	s_load_b128 s[0:3], s[0:1], 0x0
	s_mul_i32 s7, s9, s10
	s_add_i32 s5, s5, s8
	s_mulk_i32 s7, 0x500
	s_mulk_i32 s5, 0x50
	s_lshl_b32 s9, s14, 2
	v_add3_u32 v1, s5, s7, v0
	s_mul_i32 s5, s13, s6
	s_delay_alu instid0(SALU_CYCLE_1) | instskip(NEXT) | instid1(VALU_DEP_1)
	s_add_i32 s10, s5, s6
	v_ashrrev_i32_e32 v2, 31, v1
	s_delay_alu instid0(VALU_DEP_1) | instskip(SKIP_1) | instid1(VALU_DEP_1)
	v_lshlrev_b64 v[1:2], 2, v[1:2]
	s_waitcnt lgkmcnt(0)
	v_add_co_u32 v1, vcc_lo, s0, v1
	s_delay_alu instid0(VALU_DEP_2) | instskip(SKIP_4) | instid1(SALU_CYCLE_1)
	v_add_co_ci_u32_e32 v2, vcc_lo, s1, v2, vcc_lo
	s_add_i32 s0, s9, s15
	s_lshl_b32 s1, s10, 6
	global_load_b32 v5, v[1:2], off
	s_add_i32 s0, s0, s1
	s_sub_i32 s0, s0, 64
	s_delay_alu instid0(SALU_CYCLE_1) | instskip(NEXT) | instid1(SALU_CYCLE_1)
	s_ashr_i32 s1, s0, 31
	s_lshl_b64 s[0:1], s[0:1], 3
	s_delay_alu instid0(SALU_CYCLE_1)
	s_add_u32 s0, s2, s0
	s_addc_u32 s1, s3, s1
	s_add_i32 s7, s10, -2
	s_load_b32 s11, s[0:1], 0x4
	s_cmp_lt_i32 s7, s5
	s_cbranch_scc1 .LBB19_4
; %bb.2:
	s_load_b32 s12, s[0:1], 0x0
	s_lshl_b32 s16, s4, 8
	s_mulk_i32 s14, 0x140
	s_ashr_i32 s17, s16, 31
	s_waitcnt lgkmcnt(0)
	v_mov_b32_e32 v6, s11
	s_lshl_b64 s[0:1], s[16:17], 2
	s_delay_alu instid0(SALU_CYCLE_1)
	s_add_u32 s7, s2, s0
	s_addc_u32 s8, s3, s1
	s_add_i32 s13, s13, 1
	s_lshl_b32 s4, s4, 6
	s_mul_i32 s0, s6, s13
	s_mul_i32 s6, s15, 0x50
	s_lshl_b32 s1, s0, 6
	s_mulk_i32 s0, 0x1400
	s_add_i32 s6, s6, s14
	s_add_i32 s1, s15, s1
	;; [unrolled: 1-line block ×4, first 2 shown]
	v_add3_u32 v3, s6, v0, 0xffffd800
	v_mov_b32_e32 v0, s12
	s_add_i32 s0, s0, s9
	s_add_i32 s4, s10, -1
	s_addk_i32 s0, 0xff80
.LBB19_3:                               ; =>This Inner Loop Header: Depth=1
	s_delay_alu instid0(VALU_DEP_2) | instskip(SKIP_1) | instid1(SALU_CYCLE_1)
	v_ashrrev_i32_e32 v4, 31, v3
	s_ashr_i32 s1, s0, 31
	s_lshl_b64 s[10:11], s[0:1], 3
	s_delay_alu instid0(SALU_CYCLE_1) | instskip(NEXT) | instid1(VALU_DEP_1)
	s_add_u32 s10, s2, s10
	v_lshlrev_b64 v[7:8], 2, v[3:4]
	s_addc_u32 s11, s3, s11
	s_add_i32 s4, s4, -1
	s_sub_i32 s0, s0, 64
	s_cmp_le_i32 s4, s5
	s_load_b64 s[10:11], s[10:11], 0x0
	v_add_co_u32 v7, vcc_lo, s7, v7
	v_add_co_ci_u32_e32 v8, vcc_lo, s8, v8, vcc_lo
	global_load_b32 v4, v[7:8], off
	v_max_f32_e32 v7, v0, v0
	s_waitcnt lgkmcnt(0)
	v_max_f32_e64 v8, s10, s10
	s_delay_alu instid0(VALU_DEP_1) | instskip(NEXT) | instid1(VALU_DEP_1)
	v_max_f32_e32 v7, v7, v8
	v_sub_f32_e32 v8, s10, v7
	s_delay_alu instid0(VALU_DEP_1) | instskip(NEXT) | instid1(VALU_DEP_1)
	v_dual_sub_f32 v0, v0, v7 :: v_dual_mul_f32 v9, 0x3fb8aa3b, v8
	v_fma_f32 v10, 0x3fb8aa3b, v8, -v9
	v_rndne_f32_e32 v11, v9
	s_delay_alu instid0(VALU_DEP_3) | instskip(NEXT) | instid1(VALU_DEP_2)
	v_mul_f32_e32 v12, 0x3fb8aa3b, v0
	v_dual_fmac_f32 v10, 0x32a5705f, v8 :: v_dual_sub_f32 v9, v9, v11
	v_cvt_i32_f32_e32 v11, v11
	s_delay_alu instid0(VALU_DEP_3) | instskip(SKIP_1) | instid1(VALU_DEP_4)
	v_fma_f32 v13, 0x3fb8aa3b, v0, -v12
	v_rndne_f32_e32 v14, v12
	v_add_f32_e32 v9, v9, v10
	v_cmp_ngt_f32_e32 vcc_lo, 0xc2ce8ed0, v8
	s_delay_alu instid0(VALU_DEP_3) | instskip(NEXT) | instid1(VALU_DEP_3)
	v_sub_f32_e32 v10, v12, v14
	v_exp_f32_e32 v9, v9
	s_waitcnt_depctr 0xfff
	v_ldexp_f32 v9, v9, v11
	v_cvt_i32_f32_e32 v11, v14
	s_delay_alu instid0(VALU_DEP_2) | instskip(SKIP_1) | instid1(VALU_DEP_2)
	v_cndmask_b32_e32 v9, 0, v9, vcc_lo
	v_cmp_nlt_f32_e32 vcc_lo, 0x42b17218, v8
	v_cndmask_b32_e32 v9, 0x7f800000, v9, vcc_lo
	v_cmp_ngt_f32_e32 vcc_lo, 0xc2ce8ed0, v0
	v_fmac_f32_e32 v13, 0x32a5705f, v0
	s_delay_alu instid0(VALU_DEP_1) | instskip(NEXT) | instid1(VALU_DEP_1)
	v_add_f32_e32 v10, v10, v13
	v_exp_f32_e32 v10, v10
	s_waitcnt_depctr 0xfff
	v_ldexp_f32 v10, v10, v11
	s_delay_alu instid0(VALU_DEP_1)
	v_dual_mov_b32 v11, v6 :: v_dual_cndmask_b32 v10, 0, v10
	v_cmp_le_f32_e32 vcc_lo, 0xc1a00000, v8
	s_waitcnt vmcnt(1)
	v_dual_cndmask_b32 v8, 0, v9 :: v_dual_mov_b32 v9, v5
	v_cmp_nlt_f32_e32 vcc_lo, 0x42b17218, v0
	v_cndmask_b32_e32 v5, 0x7f800000, v10, vcc_lo
	s_delay_alu instid0(VALU_DEP_3) | instskip(SKIP_2) | instid1(VALU_DEP_3)
	v_mul_f32_e32 v10, s11, v8
	v_cmp_le_f32_e32 vcc_lo, 0xc1a00000, v0
	v_mov_b32_e32 v0, v7
	v_mov_b32_e32 v6, v10
	s_waitcnt vmcnt(0)
	v_dual_cndmask_b32 v12, 0, v5 :: v_dual_mul_f32 v5, v4, v8
	s_delay_alu instid0(VALU_DEP_1) | instskip(NEXT) | instid1(VALU_DEP_2)
	v_dual_fmac_f32 v6, v11, v12 :: v_dual_add_nc_u32 v3, 0xffffec00, v3
	v_fmac_f32_e32 v5, v9, v12
	s_cbranch_scc0 .LBB19_3
	s_branch .LBB19_5
.LBB19_4:
	s_waitcnt lgkmcnt(0)
	v_mov_b32_e32 v6, s11
.LBB19_5:
	s_waitcnt vmcnt(0)
	s_delay_alu instid0(VALU_DEP_1) | instskip(NEXT) | instid1(VALU_DEP_1)
	v_div_scale_f32 v0, null, v6, v6, v5
	v_rcp_f32_e32 v3, v0
	s_waitcnt_depctr 0xfff
	v_fma_f32 v4, -v0, v3, 1.0
	s_delay_alu instid0(VALU_DEP_1) | instskip(SKIP_1) | instid1(VALU_DEP_1)
	v_fmac_f32_e32 v3, v4, v3
	v_div_scale_f32 v4, vcc_lo, v5, v6, v5
	v_mul_f32_e32 v7, v4, v3
	s_delay_alu instid0(VALU_DEP_1) | instskip(NEXT) | instid1(VALU_DEP_1)
	v_fma_f32 v8, -v0, v7, v4
	v_fmac_f32_e32 v7, v8, v3
	s_delay_alu instid0(VALU_DEP_1) | instskip(NEXT) | instid1(VALU_DEP_1)
	v_fma_f32 v0, -v0, v7, v4
	v_div_fmas_f32 v0, v0, v3, v7
	s_delay_alu instid0(VALU_DEP_1)
	v_div_fixup_f32 v0, v0, v6, v5
	global_store_b32 v[1:2], v0, off
.LBB19_6:
	s_nop 0
	s_sendmsg sendmsg(MSG_DEALLOC_VGPRS)
	s_endpgm
	.section	.rodata,"a",@progbits
	.p2align	6, 0x0
	.amdhsa_kernel _ZL33flash_attn_stream_k_fixup_uniformILi80ELi16ELi4EEvPfPK15HIP_vector_typeIfLj2EEiiiiiiS1_IjLj3EES5_S5_
		.amdhsa_group_segment_fixed_size 0
		.amdhsa_private_segment_fixed_size 0
		.amdhsa_kernarg_size 76
		.amdhsa_user_sgpr_count 13
		.amdhsa_user_sgpr_dispatch_ptr 0
		.amdhsa_user_sgpr_queue_ptr 0
		.amdhsa_user_sgpr_kernarg_segment_ptr 1
		.amdhsa_user_sgpr_dispatch_id 0
		.amdhsa_user_sgpr_private_segment_size 0
		.amdhsa_wavefront_size32 1
		.amdhsa_uses_dynamic_stack 0
		.amdhsa_enable_private_segment 0
		.amdhsa_system_sgpr_workgroup_id_x 1
		.amdhsa_system_sgpr_workgroup_id_y 1
		.amdhsa_system_sgpr_workgroup_id_z 1
		.amdhsa_system_sgpr_workgroup_info 0
		.amdhsa_system_vgpr_workitem_id 0
		.amdhsa_next_free_vgpr 15
		.amdhsa_next_free_sgpr 20
		.amdhsa_reserve_vcc 1
		.amdhsa_float_round_mode_32 0
		.amdhsa_float_round_mode_16_64 0
		.amdhsa_float_denorm_mode_32 3
		.amdhsa_float_denorm_mode_16_64 3
		.amdhsa_dx10_clamp 1
		.amdhsa_ieee_mode 1
		.amdhsa_fp16_overflow 0
		.amdhsa_workgroup_processor_mode 1
		.amdhsa_memory_ordered 1
		.amdhsa_forward_progress 0
		.amdhsa_shared_vgpr_count 0
		.amdhsa_exception_fp_ieee_invalid_op 0
		.amdhsa_exception_fp_denorm_src 0
		.amdhsa_exception_fp_ieee_div_zero 0
		.amdhsa_exception_fp_ieee_overflow 0
		.amdhsa_exception_fp_ieee_underflow 0
		.amdhsa_exception_fp_ieee_inexact 0
		.amdhsa_exception_int_div_zero 0
	.end_amdhsa_kernel
	.section	.text._ZL33flash_attn_stream_k_fixup_uniformILi80ELi16ELi4EEvPfPK15HIP_vector_typeIfLj2EEiiiiiiS1_IjLj3EES5_S5_,"axG",@progbits,_ZL33flash_attn_stream_k_fixup_uniformILi80ELi16ELi4EEvPfPK15HIP_vector_typeIfLj2EEiiiiiiS1_IjLj3EES5_S5_,comdat
.Lfunc_end19:
	.size	_ZL33flash_attn_stream_k_fixup_uniformILi80ELi16ELi4EEvPfPK15HIP_vector_typeIfLj2EEiiiiiiS1_IjLj3EES5_S5_, .Lfunc_end19-_ZL33flash_attn_stream_k_fixup_uniformILi80ELi16ELi4EEvPfPK15HIP_vector_typeIfLj2EEiiiiiiS1_IjLj3EES5_S5_
                                        ; -- End function
	.section	.AMDGPU.csdata,"",@progbits
; Kernel info:
; codeLenInByte = 992
; NumSgprs: 22
; NumVgprs: 15
; ScratchSize: 0
; MemoryBound: 0
; FloatMode: 240
; IeeeMode: 1
; LDSByteSize: 0 bytes/workgroup (compile time only)
; SGPRBlocks: 2
; VGPRBlocks: 1
; NumSGPRsForWavesPerEU: 22
; NumVGPRsForWavesPerEU: 15
; Occupancy: 16
; WaveLimiterHint : 0
; COMPUTE_PGM_RSRC2:SCRATCH_EN: 0
; COMPUTE_PGM_RSRC2:USER_SGPR: 13
; COMPUTE_PGM_RSRC2:TRAP_HANDLER: 0
; COMPUTE_PGM_RSRC2:TGID_X_EN: 1
; COMPUTE_PGM_RSRC2:TGID_Y_EN: 1
; COMPUTE_PGM_RSRC2:TGID_Z_EN: 1
; COMPUTE_PGM_RSRC2:TIDIG_COMP_CNT: 0
	.section	.text._ZL33flash_attn_stream_k_fixup_generalILi80ELi16ELi4EEvPfPK15HIP_vector_typeIfLj2EEiiiiS1_IjLj3EES5_S5_S5_,"axG",@progbits,_ZL33flash_attn_stream_k_fixup_generalILi80ELi16ELi4EEvPfPK15HIP_vector_typeIfLj2EEiiiiS1_IjLj3EES5_S5_S5_,comdat
	.globl	_ZL33flash_attn_stream_k_fixup_generalILi80ELi16ELi4EEvPfPK15HIP_vector_typeIfLj2EEiiiiS1_IjLj3EES5_S5_S5_ ; -- Begin function _ZL33flash_attn_stream_k_fixup_generalILi80ELi16ELi4EEvPfPK15HIP_vector_typeIfLj2EEiiiiS1_IjLj3EES5_S5_S5_
	.p2align	8
	.type	_ZL33flash_attn_stream_k_fixup_generalILi80ELi16ELi4EEvPfPK15HIP_vector_typeIfLj2EEiiiiS1_IjLj3EES5_S5_S5_,@function
_ZL33flash_attn_stream_k_fixup_generalILi80ELi16ELi4EEvPfPK15HIP_vector_typeIfLj2EEiiiiS1_IjLj3EES5_S5_S5_: ; @_ZL33flash_attn_stream_k_fixup_generalILi80ELi16ELi4EEvPfPK15HIP_vector_typeIfLj2EEiiiiS1_IjLj3EES5_S5_S5_
; %bb.0:
	s_clause 0x1
	s_load_b128 s[4:7], s[0:1], 0x10
	s_load_b32 s20, s[0:1], 0x50
	s_mov_b32 s2, 0
	s_waitcnt lgkmcnt(0)
	s_mul_hi_i32 s3, s7, s13
	s_mul_i32 s12, s7, s13
	s_cmp_lg_u64 s[2:3], 0
	s_cbranch_scc0 .LBB20_21
; %bb.1:
	v_cvt_f32_ubyte0_e32 v1, 0
	v_cvt_f32_u32_e32 v2, s20
	s_sub_u32 s10, 0, s20
	s_subb_u32 s11, 0, 0
	s_delay_alu instid0(VALU_DEP_1) | instskip(NEXT) | instid1(VALU_DEP_1)
	v_fmamk_f32 v1, v1, 0x4f800000, v2
	v_rcp_f32_e32 v1, v1
	s_waitcnt_depctr 0xfff
	v_mul_f32_e32 v1, 0x5f7ffffc, v1
	s_delay_alu instid0(VALU_DEP_1) | instskip(NEXT) | instid1(VALU_DEP_1)
	v_mul_f32_e32 v2, 0x2f800000, v1
	v_trunc_f32_e32 v2, v2
	s_delay_alu instid0(VALU_DEP_1) | instskip(SKIP_1) | instid1(VALU_DEP_2)
	v_fmamk_f32 v1, v2, 0xcf800000, v1
	v_cvt_u32_f32_e32 v2, v2
	v_cvt_u32_f32_e32 v1, v1
	s_delay_alu instid0(VALU_DEP_2) | instskip(NEXT) | instid1(VALU_DEP_2)
	v_readfirstlane_b32 s8, v2
	v_readfirstlane_b32 s9, v1
	s_delay_alu instid0(VALU_DEP_2) | instskip(NEXT) | instid1(VALU_DEP_1)
	s_mul_i32 s16, s10, s8
	s_mul_hi_u32 s18, s10, s9
	s_mul_i32 s17, s11, s9
	s_add_i32 s16, s18, s16
	s_mul_i32 s19, s10, s9
	s_add_i32 s16, s16, s17
	s_mul_hi_u32 s18, s9, s19
	s_mul_hi_u32 s21, s8, s19
	s_mul_i32 s17, s8, s19
	s_mul_hi_u32 s19, s9, s16
	s_mul_i32 s9, s9, s16
	s_mul_hi_u32 s22, s8, s16
	s_add_u32 s9, s18, s9
	s_addc_u32 s18, 0, s19
	s_add_u32 s9, s9, s17
	s_mul_i32 s16, s8, s16
	s_addc_u32 s9, s18, s21
	s_addc_u32 s17, s22, 0
	s_add_u32 s9, s9, s16
	s_addc_u32 s16, 0, s17
	v_add_co_u32 v1, s9, v1, s9
	s_delay_alu instid0(VALU_DEP_1) | instskip(SKIP_1) | instid1(VALU_DEP_1)
	s_cmp_lg_u32 s9, 0
	s_addc_u32 s8, s8, s16
	v_readfirstlane_b32 s9, v1
	s_mul_i32 s16, s10, s8
	s_delay_alu instid0(VALU_DEP_1)
	s_mul_hi_u32 s17, s10, s9
	s_mul_i32 s11, s11, s9
	s_add_i32 s16, s17, s16
	s_mul_i32 s10, s10, s9
	s_add_i32 s16, s16, s11
	s_mul_hi_u32 s17, s8, s10
	s_mul_i32 s18, s8, s10
	s_mul_hi_u32 s10, s9, s10
	s_mul_hi_u32 s19, s9, s16
	s_mul_i32 s9, s9, s16
	s_mul_hi_u32 s11, s8, s16
	s_add_u32 s9, s10, s9
	s_addc_u32 s10, 0, s19
	s_add_u32 s9, s9, s18
	s_mul_i32 s16, s8, s16
	s_addc_u32 s9, s10, s17
	s_addc_u32 s10, s11, 0
	s_add_u32 s9, s9, s16
	s_addc_u32 s10, 0, s10
	v_add_co_u32 v1, s9, v1, s9
	s_delay_alu instid0(VALU_DEP_1) | instskip(SKIP_2) | instid1(SALU_CYCLE_1)
	s_cmp_lg_u32 s9, 0
	s_addc_u32 s16, s8, s10
	s_ashr_i32 s8, s3, 31
	s_add_u32 s10, s12, s8
	s_addc_u32 s11, s3, s8
	v_readfirstlane_b32 s3, v1
	s_mov_b32 s9, s8
	s_delay_alu instid0(SALU_CYCLE_1) | instskip(NEXT) | instid1(SALU_CYCLE_1)
	s_xor_b64 s[10:11], s[10:11], s[8:9]
	s_mul_i32 s18, s10, s16
	s_delay_alu instid0(VALU_DEP_1)
	s_mul_hi_u32 s19, s10, s3
	s_mul_hi_u32 s17, s10, s16
	;; [unrolled: 1-line block ×3, first 2 shown]
	s_mul_i32 s3, s11, s3
	s_add_u32 s18, s19, s18
	s_addc_u32 s17, 0, s17
	s_mul_hi_u32 s21, s11, s16
	s_add_u32 s3, s18, s3
	s_mul_i32 s16, s11, s16
	s_addc_u32 s3, s17, s22
	s_addc_u32 s17, s21, 0
	s_add_u32 s3, s3, s16
	s_addc_u32 s16, 0, s17
	s_mul_i32 s18, s20, s3
	s_add_u32 s17, s3, 1
	v_sub_co_u32 v1, s10, s10, s18
	s_mul_hi_u32 s18, s20, s3
	s_addc_u32 s19, s16, 0
	s_mul_i32 s21, s20, s16
	s_delay_alu instid0(VALU_DEP_1)
	v_sub_co_u32 v2, s22, v1, s20
	s_add_u32 s23, s3, 2
	s_addc_u32 s24, s16, 0
	s_add_i32 s18, s18, s21
	s_cmp_lg_u32 s10, 0
	v_readfirstlane_b32 s10, v2
	s_subb_u32 s11, s11, s18
	s_cmp_lg_u32 s22, 0
	s_subb_u32 s18, s11, 0
	s_delay_alu instid0(VALU_DEP_1) | instskip(SKIP_4) | instid1(SALU_CYCLE_1)
	s_cmp_ge_u32 s10, s20
	s_cselect_b32 s10, -1, 0
	s_cmp_eq_u32 s18, 0
	v_readfirstlane_b32 s18, v1
	s_cselect_b32 s10, s10, -1
	s_cmp_lg_u32 s10, 0
	s_cselect_b32 s10, s23, s17
	s_cselect_b32 s17, s24, s19
	s_cmp_ge_u32 s18, s20
	s_cselect_b32 s18, -1, 0
	s_cmp_eq_u32 s11, 0
	s_cselect_b32 s11, s18, -1
	s_delay_alu instid0(SALU_CYCLE_1) | instskip(SKIP_2) | instid1(SALU_CYCLE_1)
	s_cmp_lg_u32 s11, 0
	s_cselect_b32 s11, s17, s16
	s_cselect_b32 s10, s10, s3
	s_xor_b64 s[10:11], s[10:11], s[8:9]
	s_delay_alu instid0(SALU_CYCLE_1)
	s_sub_u32 s16, s10, s8
	s_load_b128 s[8:11], s[0:1], 0x44
	s_and_not1_b32 vcc_lo, exec_lo, s2
	s_cbranch_vccnz .LBB20_3
.LBB20_2:
	v_cvt_f32_u32_e32 v1, s20
	s_sub_i32 s3, 0, s20
	s_delay_alu instid0(VALU_DEP_1) | instskip(SKIP_2) | instid1(VALU_DEP_1)
	v_rcp_iflag_f32_e32 v1, v1
	s_waitcnt_depctr 0xfff
	v_mul_f32_e32 v1, 0x4f7ffffe, v1
	v_cvt_u32_f32_e32 v1, v1
	s_delay_alu instid0(VALU_DEP_1) | instskip(NEXT) | instid1(VALU_DEP_1)
	v_readfirstlane_b32 s2, v1
	s_mul_i32 s3, s3, s2
	s_delay_alu instid0(SALU_CYCLE_1) | instskip(NEXT) | instid1(SALU_CYCLE_1)
	s_mul_hi_u32 s3, s2, s3
	s_add_i32 s2, s2, s3
	s_delay_alu instid0(SALU_CYCLE_1) | instskip(NEXT) | instid1(SALU_CYCLE_1)
	s_mul_hi_u32 s2, s12, s2
	s_mul_i32 s3, s2, s20
	s_waitcnt lgkmcnt(0)
	s_add_i32 s11, s2, 1
	s_sub_i32 s3, s12, s3
	s_delay_alu instid0(SALU_CYCLE_1)
	s_sub_i32 s12, s3, s20
	s_cmp_ge_u32 s3, s20
	s_cselect_b32 s2, s11, s2
	s_cselect_b32 s3, s12, s3
	s_add_i32 s11, s2, 1
	s_cmp_ge_u32 s3, s20
	s_cselect_b32 s16, s11, s2
.LBB20_3:
	s_waitcnt lgkmcnt(0)
	s_add_i32 s11, s13, 1
	s_mov_b32 s2, 0
	s_mul_hi_i32 s3, s7, s11
	s_mul_i32 s11, s7, s11
	s_cmp_lg_u64 s[2:3], 0
	s_cbranch_scc0 .LBB20_22
; %bb.4:
	v_cvt_f32_ubyte0_e32 v1, 0
	v_cvt_f32_u32_e32 v2, s20
	s_sub_u32 s18, 0, s20
	s_subb_u32 s19, 0, 0
	s_delay_alu instid0(VALU_DEP_1) | instskip(NEXT) | instid1(VALU_DEP_1)
	v_fmamk_f32 v1, v1, 0x4f800000, v2
	v_rcp_f32_e32 v1, v1
	s_waitcnt_depctr 0xfff
	v_mul_f32_e32 v1, 0x5f7ffffc, v1
	s_delay_alu instid0(VALU_DEP_1) | instskip(NEXT) | instid1(VALU_DEP_1)
	v_mul_f32_e32 v2, 0x2f800000, v1
	v_trunc_f32_e32 v2, v2
	s_delay_alu instid0(VALU_DEP_1) | instskip(SKIP_1) | instid1(VALU_DEP_2)
	v_fmamk_f32 v1, v2, 0xcf800000, v1
	v_cvt_u32_f32_e32 v2, v2
	v_cvt_u32_f32_e32 v1, v1
	s_delay_alu instid0(VALU_DEP_2) | instskip(NEXT) | instid1(VALU_DEP_2)
	v_readfirstlane_b32 s12, v2
	v_readfirstlane_b32 s17, v1
	s_delay_alu instid0(VALU_DEP_2) | instskip(NEXT) | instid1(VALU_DEP_1)
	s_mul_i32 s21, s18, s12
	s_mul_hi_u32 s23, s18, s17
	s_mul_i32 s22, s19, s17
	s_add_i32 s21, s23, s21
	s_mul_i32 s24, s18, s17
	s_add_i32 s21, s21, s22
	s_mul_hi_u32 s23, s17, s24
	s_mul_hi_u32 s25, s12, s24
	s_mul_i32 s22, s12, s24
	s_mul_hi_u32 s24, s17, s21
	s_mul_i32 s17, s17, s21
	s_mul_hi_u32 s26, s12, s21
	s_add_u32 s17, s23, s17
	s_addc_u32 s23, 0, s24
	s_add_u32 s17, s17, s22
	s_mul_i32 s21, s12, s21
	s_addc_u32 s17, s23, s25
	s_addc_u32 s22, s26, 0
	s_add_u32 s17, s17, s21
	s_addc_u32 s21, 0, s22
	v_add_co_u32 v1, s17, v1, s17
	s_delay_alu instid0(VALU_DEP_1) | instskip(SKIP_1) | instid1(VALU_DEP_1)
	s_cmp_lg_u32 s17, 0
	s_addc_u32 s12, s12, s21
	v_readfirstlane_b32 s17, v1
	s_mul_i32 s21, s18, s12
	s_delay_alu instid0(VALU_DEP_1)
	s_mul_hi_u32 s22, s18, s17
	s_mul_i32 s19, s19, s17
	s_add_i32 s21, s22, s21
	s_mul_i32 s18, s18, s17
	s_add_i32 s21, s21, s19
	s_mul_hi_u32 s22, s12, s18
	s_mul_i32 s23, s12, s18
	s_mul_hi_u32 s18, s17, s18
	s_mul_hi_u32 s24, s17, s21
	s_mul_i32 s17, s17, s21
	s_mul_hi_u32 s19, s12, s21
	s_add_u32 s17, s18, s17
	s_addc_u32 s18, 0, s24
	s_add_u32 s17, s17, s23
	s_mul_i32 s21, s12, s21
	s_addc_u32 s17, s18, s22
	s_addc_u32 s18, s19, 0
	s_add_u32 s17, s17, s21
	s_addc_u32 s18, 0, s18
	v_add_co_u32 v1, s17, v1, s17
	s_delay_alu instid0(VALU_DEP_1) | instskip(SKIP_2) | instid1(SALU_CYCLE_1)
	s_cmp_lg_u32 s17, 0
	s_addc_u32 s12, s12, s18
	s_ashr_i32 s18, s3, 31
	s_add_u32 s22, s11, s18
	s_addc_u32 s23, s3, s18
	v_readfirstlane_b32 s3, v1
	s_mov_b32 s19, s18
	s_delay_alu instid0(SALU_CYCLE_1) | instskip(NEXT) | instid1(SALU_CYCLE_1)
	s_xor_b64 s[22:23], s[22:23], s[18:19]
	s_mul_i32 s21, s22, s12
	s_delay_alu instid0(VALU_DEP_1)
	s_mul_hi_u32 s24, s22, s3
	s_mul_hi_u32 s17, s22, s12
	s_mul_hi_u32 s26, s23, s3
	s_mul_i32 s3, s23, s3
	s_add_u32 s21, s24, s21
	s_addc_u32 s17, 0, s17
	s_mul_hi_u32 s25, s23, s12
	s_add_u32 s3, s21, s3
	s_mul_i32 s12, s23, s12
	s_addc_u32 s3, s17, s26
	s_addc_u32 s17, s25, 0
	s_add_u32 s3, s3, s12
	s_addc_u32 s12, 0, s17
	s_mul_i32 s21, s20, s3
	s_add_u32 s17, s3, 1
	v_sub_co_u32 v1, s21, s22, s21
	s_mul_hi_u32 s22, s20, s3
	s_addc_u32 s24, s12, 0
	s_mul_i32 s25, s20, s12
	s_delay_alu instid0(VALU_DEP_1)
	v_sub_co_u32 v2, s26, v1, s20
	s_add_u32 s27, s3, 2
	s_addc_u32 s28, s12, 0
	s_add_i32 s22, s22, s25
	s_cmp_lg_u32 s21, 0
	v_readfirstlane_b32 s21, v2
	s_subb_u32 s22, s23, s22
	s_cmp_lg_u32 s26, 0
	s_subb_u32 s23, s22, 0
	s_delay_alu instid0(VALU_DEP_1) | instskip(SKIP_4) | instid1(SALU_CYCLE_1)
	s_cmp_ge_u32 s21, s20
	s_cselect_b32 s21, -1, 0
	s_cmp_eq_u32 s23, 0
	v_readfirstlane_b32 s23, v1
	s_cselect_b32 s21, s21, -1
	s_cmp_lg_u32 s21, 0
	s_cselect_b32 s17, s27, s17
	s_cselect_b32 s21, s28, s24
	s_cmp_ge_u32 s23, s20
	s_cselect_b32 s23, -1, 0
	s_cmp_eq_u32 s22, 0
	s_cselect_b32 s22, s23, -1
	s_delay_alu instid0(SALU_CYCLE_1) | instskip(SKIP_2) | instid1(SALU_CYCLE_1)
	s_cmp_lg_u32 s22, 0
	s_cselect_b32 s23, s21, s12
	s_cselect_b32 s22, s17, s3
	s_xor_b64 s[22:23], s[22:23], s[18:19]
	s_delay_alu instid0(SALU_CYCLE_1)
	s_sub_u32 s18, s22, s18
	s_and_not1_b32 vcc_lo, exec_lo, s2
	s_cbranch_vccnz .LBB20_6
.LBB20_5:
	v_cvt_f32_u32_e32 v1, s20
	s_sub_i32 s3, 0, s20
	s_delay_alu instid0(VALU_DEP_1) | instskip(SKIP_2) | instid1(VALU_DEP_1)
	v_rcp_iflag_f32_e32 v1, v1
	s_waitcnt_depctr 0xfff
	v_mul_f32_e32 v1, 0x4f7ffffe, v1
	v_cvt_u32_f32_e32 v1, v1
	s_delay_alu instid0(VALU_DEP_1) | instskip(NEXT) | instid1(VALU_DEP_1)
	v_readfirstlane_b32 s2, v1
	s_mul_i32 s3, s3, s2
	s_delay_alu instid0(SALU_CYCLE_1) | instskip(NEXT) | instid1(SALU_CYCLE_1)
	s_mul_hi_u32 s3, s2, s3
	s_add_i32 s2, s2, s3
	s_delay_alu instid0(SALU_CYCLE_1) | instskip(NEXT) | instid1(SALU_CYCLE_1)
	s_mul_hi_u32 s2, s11, s2
	s_mul_i32 s3, s2, s20
	s_delay_alu instid0(SALU_CYCLE_1)
	s_sub_i32 s3, s11, s3
	s_add_i32 s11, s2, 1
	s_sub_i32 s12, s3, s20
	s_cmp_ge_u32 s3, s20
	s_cselect_b32 s2, s11, s2
	s_cselect_b32 s3, s12, s3
	s_add_i32 s11, s2, 1
	s_cmp_ge_u32 s3, s20
	s_cselect_b32 s18, s11, s2
.LBB20_6:
	s_delay_alu instid0(SALU_CYCLE_1) | instskip(SKIP_3) | instid1(SALU_CYCLE_1)
	s_cmp_eq_u32 s16, s18
	s_mul_hi_u32 s2, s16, s8
	s_cselect_b32 s3, -1, 0
	s_add_i32 s2, s2, s16
	s_lshr_b32 s11, s2, s9
	s_delay_alu instid0(SALU_CYCLE_1) | instskip(NEXT) | instid1(SALU_CYCLE_1)
	s_mul_i32 s2, s11, s10
	s_cmp_eq_u32 s2, s16
	s_mul_hi_u32 s2, s18, s8
	s_cselect_b32 s12, -1, 0
	s_add_i32 s2, s2, s18
	s_delay_alu instid0(SALU_CYCLE_1) | instskip(NEXT) | instid1(SALU_CYCLE_1)
	s_lshr_b32 s2, s2, s9
	s_cmp_eq_u32 s11, s2
	s_mul_i32 s2, s2, s10
	s_cselect_b32 s17, -1, 0
	s_cmp_lg_u32 s2, s18
	s_cselect_b32 s2, -1, 0
	s_or_b32 s3, s3, s12
	s_and_b32 s2, s17, s2
	s_delay_alu instid0(SALU_CYCLE_1) | instskip(NEXT) | instid1(SALU_CYCLE_1)
	s_or_b32 s2, s3, s2
	s_and_b32 vcc_lo, exec_lo, s2
	s_cbranch_vccnz .LBB20_24
; %bb.7:
	s_load_b256 s[24:31], s[0:1], 0x20
	s_waitcnt lgkmcnt(0)
	s_mul_hi_u32 s2, s16, s24
	s_delay_alu instid0(SALU_CYCLE_1) | instskip(NEXT) | instid1(SALU_CYCLE_1)
	s_add_i32 s2, s2, s16
	s_lshr_b32 s17, s2, s25
	s_load_b32 s2, s[0:1], 0x40
	s_mul_i32 s3, s17, s26
	s_delay_alu instid0(SALU_CYCLE_1) | instskip(NEXT) | instid1(SALU_CYCLE_1)
	s_sub_i32 s3, s16, s3
	s_mul_hi_u32 s12, s3, s27
	s_delay_alu instid0(SALU_CYCLE_1) | instskip(NEXT) | instid1(SALU_CYCLE_1)
	s_add_i32 s12, s3, s12
	s_lshr_b32 s19, s12, s28
	s_delay_alu instid0(SALU_CYCLE_1) | instskip(NEXT) | instid1(SALU_CYCLE_1)
	s_mul_i32 s12, s19, s29
	s_sub_i32 s3, s3, s12
	s_delay_alu instid0(SALU_CYCLE_1) | instskip(NEXT) | instid1(SALU_CYCLE_1)
	s_mul_hi_u32 s12, s3, s30
	s_add_i32 s12, s3, s12
	s_delay_alu instid0(SALU_CYCLE_1)
	s_lshr_b32 s12, s12, s31
	s_waitcnt lgkmcnt(0)
	s_mul_i32 s2, s12, s2
	s_lshl_b32 s21, s12, 2
	s_sub_i32 s2, s3, s2
	s_mov_b32 s12, 0
	s_mul_hi_u32 s3, s2, s8
	s_delay_alu instid0(SALU_CYCLE_1) | instskip(NEXT) | instid1(SALU_CYCLE_1)
	s_add_i32 s2, s2, s3
	s_lshr_b32 s18, s2, s9
	s_delay_alu instid0(SALU_CYCLE_1) | instskip(NEXT) | instid1(SALU_CYCLE_1)
	s_lshl_b32 s2, s18, 4
	s_add_i32 s2, s2, s14
	s_delay_alu instid0(SALU_CYCLE_1) | instskip(SKIP_2) | instid1(SALU_CYCLE_1)
	s_cmp_lt_i32 s2, s4
	s_cselect_b32 s2, -1, 0
	s_add_i32 s21, s21, s15
	s_cmp_lt_i32 s21, s6
	s_cselect_b32 s3, -1, 0
	s_delay_alu instid0(SALU_CYCLE_1) | instskip(NEXT) | instid1(SALU_CYCLE_1)
	s_and_b32 s2, s2, s3
	s_and_not1_b32 vcc_lo, exec_lo, s2
	s_cbranch_vccnz .LBB20_24
; %bb.8:
	s_load_b128 s[0:3], s[0:1], 0x0
	s_lshl_b32 s22, s20, 8
	s_mov_b32 s23, s12
	s_lshl_b32 s24, s14, 2
	s_lshl_b64 s[22:23], s[22:23], 2
	s_mul_i32 s19, s19, s6
	s_mul_i32 s4, s17, s4
	s_add_i32 s6, s24, s15
	v_cvt_f32_ubyte0_e32 v3, 0
	v_cvt_f32_u32_e32 v4, s20
	s_waitcnt lgkmcnt(0)
	s_add_u32 s15, s2, s22
	s_addc_u32 s17, s3, s23
	s_add_i32 s4, s4, s14
	s_add_i32 s14, s21, s19
	s_mul_i32 s4, s4, s5
	s_mul_i32 s5, s5, s18
	s_add_i32 s4, s14, s4
	s_mulk_i32 s5, 0x500
	s_mulk_i32 s4, 0x50
	s_delay_alu instid0(SALU_CYCLE_1) | instskip(NEXT) | instid1(VALU_DEP_1)
	v_add3_u32 v1, s5, s4, v0
	v_ashrrev_i32_e32 v2, 31, v1
	s_delay_alu instid0(VALU_DEP_1) | instskip(NEXT) | instid1(VALU_DEP_1)
	v_lshlrev_b64 v[1:2], 2, v[1:2]
	v_add_co_u32 v1, vcc_lo, s0, v1
	s_delay_alu instid0(VALU_DEP_2) | instskip(SKIP_1) | instid1(SALU_CYCLE_1)
	v_add_co_ci_u32_e32 v2, vcc_lo, s1, v2, vcc_lo
	s_lshl_b32 s0, s13, 6
	s_add_i32 s0, s6, s0
	global_load_b32 v5, v[1:2], off
	s_ashr_i32 s1, s0, 31
	s_delay_alu instid0(SALU_CYCLE_1) | instskip(NEXT) | instid1(SALU_CYCLE_1)
	s_lshl_b64 s[0:1], s[0:1], 3
	s_add_u32 s0, s2, s0
	s_addc_u32 s1, s3, s1
	s_add_i32 s18, s13, -1
	s_load_b64 s[0:1], s[0:1], 0x0
	v_fmac_f32_e32 v4, 0x4f800000, v3
	s_sub_i32 s14, 0, s20
	s_delay_alu instid0(VALU_DEP_1)
	v_rcp_f32_e32 v3, v4
	s_waitcnt_depctr 0xfff
	v_mul_f32_e32 v6, 0x5f7ffffc, v3
	v_cvt_f32_u32_e32 v3, s20
	s_waitcnt lgkmcnt(0)
	v_mov_b32_e32 v8, s0
	s_delay_alu instid0(VALU_DEP_3) | instskip(NEXT) | instid1(VALU_DEP_3)
	v_mul_f32_e32 v4, 0x2f800000, v6
	v_rcp_iflag_f32_e32 v7, v3
	s_delay_alu instid0(VALU_DEP_1) | instskip(SKIP_1) | instid1(VALU_DEP_2)
	v_trunc_f32_e32 v9, v4
	v_mad_u64_u32 v[3:4], null, 0x50, s6, v[0:1]
	v_fmac_f32_e32 v6, 0xcf800000, v9
	s_waitcnt_depctr 0xfff
	v_dual_mul_f32 v10, 0x4f7ffffe, v7 :: v_dual_mov_b32 v7, s1
	v_cvt_u32_f32_e32 v4, v9
	v_cvt_u32_f32_e32 v0, v6
	s_delay_alu instid0(VALU_DEP_3)
	v_cvt_u32_f32_e32 v6, v10
.LBB20_9:                               ; =>This Inner Loop Header: Depth=1
	s_mul_hi_i32 s13, s18, s7
	s_mul_i32 s4, s18, s7
	s_cmp_lg_u64 s[12:13], 0
	s_mov_b32 s5, -1
                                        ; implicit-def: $sgpr0_sgpr1
	s_cbranch_scc0 .LBB20_11
; %bb.10:                               ;   in Loop: Header=BB20_9 Depth=1
	v_readfirstlane_b32 s0, v0
	v_readfirstlane_b32 s1, v4
	s_sub_u32 s5, 0, s20
	s_subb_u32 s19, 0, 0
	s_delay_alu instid0(VALU_DEP_2) | instskip(NEXT) | instid1(VALU_DEP_1)
	s_mul_hi_u32 s21, s5, s0
	s_mul_i32 s22, s5, s1
	s_mul_i32 s23, s19, s0
	s_add_i32 s21, s21, s22
	s_mul_i32 s22, s5, s0
	s_add_i32 s21, s21, s23
	s_mul_hi_u32 s23, s0, s22
	s_mul_i32 s24, s0, s21
	s_mul_hi_u32 s0, s0, s21
	s_add_u32 s23, s23, s24
	s_mul_i32 s25, s1, s22
	s_addc_u32 s0, 0, s0
	s_mul_hi_u32 s22, s1, s22
	s_mul_hi_u32 s24, s1, s21
	s_add_u32 s23, s23, s25
	s_addc_u32 s0, s0, s22
	s_mul_i32 s21, s1, s21
	s_addc_u32 s22, s24, 0
	s_add_u32 s0, s0, s21
	s_addc_u32 s21, 0, s22
	v_add_co_u32 v9, s0, v0, s0
	s_delay_alu instid0(VALU_DEP_1) | instskip(SKIP_1) | instid1(VALU_DEP_1)
	s_cmp_lg_u32 s0, 0
	s_addc_u32 s1, s1, s21
	v_readfirstlane_b32 s0, v9
	s_mul_i32 s21, s5, s1
	s_delay_alu instid0(VALU_DEP_1)
	s_mul_hi_u32 s22, s5, s0
	s_mul_i32 s19, s19, s0
	s_add_i32 s21, s22, s21
	s_mul_i32 s5, s5, s0
	s_add_i32 s21, s21, s19
	s_mul_hi_u32 s19, s1, s5
	s_mul_i32 s23, s1, s5
	s_mul_i32 s24, s0, s21
	s_mul_hi_u32 s5, s0, s5
	s_mul_hi_u32 s0, s0, s21
	s_add_u32 s5, s5, s24
	s_addc_u32 s0, 0, s0
	s_mul_hi_u32 s22, s1, s21
	s_add_u32 s5, s5, s23
	s_addc_u32 s0, s0, s19
	s_mul_i32 s5, s1, s21
	s_addc_u32 s19, s22, 0
	s_add_u32 s0, s0, s5
	s_addc_u32 s5, 0, s19
	v_add_co_u32 v9, s0, v9, s0
	s_delay_alu instid0(VALU_DEP_1) | instskip(SKIP_2) | instid1(SALU_CYCLE_1)
	s_cmp_lg_u32 s0, 0
	s_addc_u32 s5, s1, s5
	s_ashr_i32 s0, s13, 31
	s_add_u32 s22, s4, s0
	s_addc_u32 s23, s13, s0
	v_readfirstlane_b32 s13, v9
	s_mov_b32 s1, s0
	s_delay_alu instid0(SALU_CYCLE_1) | instskip(NEXT) | instid1(SALU_CYCLE_1)
	s_xor_b64 s[22:23], s[22:23], s[0:1]
	s_mul_i32 s19, s22, s5
	s_delay_alu instid0(VALU_DEP_1)
	s_mul_hi_u32 s21, s22, s13
	s_mul_hi_u32 s24, s22, s5
	s_add_u32 s19, s21, s19
	s_mul_i32 s25, s23, s13
	s_addc_u32 s21, 0, s24
	s_mul_hi_u32 s13, s23, s13
	s_mul_hi_u32 s24, s23, s5
	s_add_u32 s19, s19, s25
	s_addc_u32 s13, s21, s13
	s_mul_i32 s5, s23, s5
	s_addc_u32 s19, s24, 0
	s_add_u32 s5, s13, s5
	s_addc_u32 s13, 0, s19
	s_mul_i32 s21, s20, s5
	s_add_u32 s19, s5, 1
	v_sub_co_u32 v9, s21, s22, s21
	s_addc_u32 s22, s13, 0
	s_mul_i32 s25, s20, s13
	s_mul_hi_u32 s27, s20, s5
	s_delay_alu instid0(VALU_DEP_1)
	v_sub_co_u32 v10, s26, v9, s20
	s_add_u32 s24, s5, 2
	s_addc_u32 s28, s13, 0
	s_add_i32 s27, s27, s25
	s_cmp_lg_u32 s21, 0
	v_readfirstlane_b32 s21, v10
	s_subb_u32 s23, s23, s27
	s_cmp_lg_u32 s26, 0
	s_subb_u32 s25, s23, 0
	s_delay_alu instid0(VALU_DEP_1) | instskip(SKIP_4) | instid1(SALU_CYCLE_1)
	s_cmp_ge_u32 s21, s20
	s_cselect_b32 s21, -1, 0
	s_cmp_eq_u32 s25, 0
	v_readfirstlane_b32 s25, v9
	s_cselect_b32 s21, s21, -1
	s_cmp_lg_u32 s21, 0
	s_cselect_b32 s19, s24, s19
	s_cselect_b32 s21, s28, s22
	s_cmp_ge_u32 s25, s20
	s_cselect_b32 s22, -1, 0
	s_cmp_eq_u32 s23, 0
	s_cselect_b32 s22, s22, -1
	s_delay_alu instid0(SALU_CYCLE_1) | instskip(SKIP_4) | instid1(SALU_CYCLE_1)
	s_cmp_lg_u32 s22, 0
	s_cselect_b32 s23, s21, s13
	s_cselect_b32 s22, s19, s5
	s_mov_b32 s5, 0
	s_xor_b64 s[22:23], s[22:23], s[0:1]
	s_sub_u32 s0, s22, s0
.LBB20_11:                              ;   in Loop: Header=BB20_9 Depth=1
	s_and_not1_b32 vcc_lo, exec_lo, s5
	s_cbranch_vccnz .LBB20_13
; %bb.12:                               ;   in Loop: Header=BB20_9 Depth=1
	v_readfirstlane_b32 s0, v6
	s_delay_alu instid0(VALU_DEP_1) | instskip(NEXT) | instid1(SALU_CYCLE_1)
	s_mul_i32 s1, s14, s0
	s_mul_hi_u32 s1, s0, s1
	s_delay_alu instid0(SALU_CYCLE_1) | instskip(NEXT) | instid1(SALU_CYCLE_1)
	s_add_i32 s0, s0, s1
	s_mul_hi_u32 s0, s4, s0
	s_delay_alu instid0(SALU_CYCLE_1) | instskip(NEXT) | instid1(SALU_CYCLE_1)
	s_mul_i32 s1, s0, s20
	s_sub_i32 s1, s4, s1
	s_add_i32 s4, s0, 1
	s_sub_i32 s5, s1, s20
	s_cmp_ge_u32 s1, s20
	s_cselect_b32 s0, s4, s0
	s_cselect_b32 s1, s5, s1
	s_add_i32 s4, s0, 1
	s_cmp_ge_u32 s1, s20
	s_cselect_b32 s0, s4, s0
.LBB20_13:                              ;   in Loop: Header=BB20_9 Depth=1
	s_delay_alu instid0(SALU_CYCLE_1)
	s_cmp_lg_u32 s16, s0
	s_cbranch_scc0 .LBB20_17
; %bb.14:                               ;   in Loop: Header=BB20_9 Depth=1
	s_add_i32 s1, s18, s20
	s_mov_b32 s5, s12
	s_lshl_b32 s1, s1, 6
	s_mov_b32 s19, s16
	s_add_i32 s4, s1, s6
	s_mul_hi_u32 s1, s0, s8
	s_lshl_b64 s[4:5], s[4:5], 3
	s_delay_alu instid0(SALU_CYCLE_1) | instskip(SKIP_2) | instid1(SALU_CYCLE_1)
	s_add_u32 s4, s2, s4
	s_addc_u32 s5, s3, s5
	s_add_i32 s1, s1, s0
	s_lshr_b32 s1, s1, s9
	s_delay_alu instid0(SALU_CYCLE_1) | instskip(NEXT) | instid1(SALU_CYCLE_1)
	s_mul_i32 s13, s1, s10
	s_cmp_eq_u32 s13, s0
	s_cselect_b32 s13, -1, 0
	s_cmp_lt_u32 s1, s11
	s_cselect_b32 s1, -1, 0
	s_delay_alu instid0(SALU_CYCLE_1)
	s_or_b32 s1, s1, s13
	s_mov_b32 s13, -1
	s_and_b32 vcc_lo, exec_lo, s1
	s_mov_b32 s1, s18
	s_cbranch_vccnz .LBB20_16
; %bb.15:                               ;   in Loop: Header=BB20_9 Depth=1
	s_add_i32 s1, s18, -1
	s_mov_b32 s13, 0
	s_mov_b32 s19, s0
.LBB20_16:                              ;   in Loop: Header=BB20_9 Depth=1
	v_mad_u64_u32 v[9:10], null, 0x1400, s18, v[3:4]
	s_load_b64 s[4:5], s[4:5], 0x0
	s_delay_alu instid0(VALU_DEP_1) | instskip(NEXT) | instid1(VALU_DEP_1)
	v_ashrrev_i32_e32 v10, 31, v9
	v_lshlrev_b64 v[9:10], 2, v[9:10]
	s_delay_alu instid0(VALU_DEP_1) | instskip(NEXT) | instid1(VALU_DEP_2)
	v_add_co_u32 v9, vcc_lo, s15, v9
	v_add_co_ci_u32_e32 v10, vcc_lo, s17, v10, vcc_lo
	s_waitcnt lgkmcnt(0)
	v_max_f32_e64 v11, s4, s4
	global_load_b32 v10, v[9:10], off
	v_max_f32_e32 v9, v8, v8
	s_delay_alu instid0(VALU_DEP_1) | instskip(NEXT) | instid1(VALU_DEP_1)
	v_max_f32_e32 v9, v9, v11
	v_sub_f32_e32 v12, v8, v9
	s_delay_alu instid0(VALU_DEP_1) | instskip(NEXT) | instid1(VALU_DEP_1)
	v_dual_mul_f32 v14, 0x3fb8aa3b, v12 :: v_dual_sub_f32 v11, s4, v9
	v_rndne_f32_e32 v18, v14
	s_delay_alu instid0(VALU_DEP_2) | instskip(SKIP_2) | instid1(VALU_DEP_4)
	v_mul_f32_e32 v13, 0x3fb8aa3b, v11
	v_fma_f32 v17, 0x3fb8aa3b, v12, -v14
	v_cmp_ngt_f32_e32 vcc_lo, 0xc2ce8ed0, v11
	v_sub_f32_e32 v14, v14, v18
	s_delay_alu instid0(VALU_DEP_4) | instskip(SKIP_2) | instid1(VALU_DEP_3)
	v_fma_f32 v15, 0x3fb8aa3b, v11, -v13
	v_rndne_f32_e32 v16, v13
	v_fmac_f32_e32 v17, 0x32a5705f, v12
	v_fmac_f32_e32 v15, 0x32a5705f, v11
	s_delay_alu instid0(VALU_DEP_2) | instskip(NEXT) | instid1(VALU_DEP_1)
	v_dual_sub_f32 v13, v13, v16 :: v_dual_add_f32 v14, v14, v17
	v_add_f32_e32 v13, v13, v15
	s_delay_alu instid0(VALU_DEP_2) | instskip(SKIP_2) | instid1(VALU_DEP_3)
	v_exp_f32_e32 v14, v14
	v_cvt_i32_f32_e32 v15, v16
	v_cvt_i32_f32_e32 v16, v18
	v_exp_f32_e32 v13, v13
	s_waitcnt_depctr 0xfff
	v_ldexp_f32 v14, v14, v16
	v_ldexp_f32 v13, v13, v15
	s_delay_alu instid0(VALU_DEP_1) | instskip(SKIP_1) | instid1(VALU_DEP_4)
	v_cndmask_b32_e32 v13, 0, v13, vcc_lo
	v_cmp_ngt_f32_e32 vcc_lo, 0xc2ce8ed0, v12
	v_cndmask_b32_e32 v14, 0, v14, vcc_lo
	v_cmp_nlt_f32_e32 vcc_lo, 0x42b17218, v11
	s_delay_alu instid0(VALU_DEP_4) | instskip(SKIP_1) | instid1(VALU_DEP_4)
	v_cndmask_b32_e32 v13, 0x7f800000, v13, vcc_lo
	v_cmp_nlt_f32_e32 vcc_lo, 0x42b17218, v12
	v_cndmask_b32_e32 v14, 0x7f800000, v14, vcc_lo
	v_cmp_le_f32_e32 vcc_lo, 0xc1a00000, v11
	s_delay_alu instid0(VALU_DEP_4) | instskip(SKIP_1) | instid1(VALU_DEP_4)
	v_cndmask_b32_e32 v11, 0, v13, vcc_lo
	v_cmp_le_f32_e32 vcc_lo, 0xc1a00000, v12
	v_cndmask_b32_e32 v12, 0, v14, vcc_lo
	s_waitcnt vmcnt(0)
	s_delay_alu instid0(VALU_DEP_3) | instskip(NEXT) | instid1(VALU_DEP_1)
	v_mul_f32_e32 v10, v10, v11
	v_dual_mul_f32 v11, s5, v11 :: v_dual_fmac_f32 v10, v5, v12
	s_delay_alu instid0(VALU_DEP_1)
	v_fmac_f32_e32 v11, v7, v12
	s_cbranch_execz .LBB20_18
	s_branch .LBB20_19
.LBB20_17:                              ;   in Loop: Header=BB20_9 Depth=1
                                        ; implicit-def: $sgpr13
                                        ; implicit-def: $vgpr10
                                        ; implicit-def: $vgpr9
                                        ; implicit-def: $vgpr11
                                        ; implicit-def: $sgpr1
                                        ; implicit-def: $sgpr19
.LBB20_18:                              ;   in Loop: Header=BB20_9 Depth=1
	s_waitcnt vmcnt(0)
	v_dual_mov_b32 v11, v7 :: v_dual_mov_b32 v10, v5
	v_mov_b32_e32 v9, v8
	s_add_i32 s1, s18, -1
	s_mov_b32 s13, 0
	s_mov_b32 s19, s16
.LBB20_19:                              ;   in Loop: Header=BB20_9 Depth=1
	s_and_not1_b32 vcc_lo, exec_lo, s13
	s_cbranch_vccz .LBB20_23
; %bb.20:                               ;   in Loop: Header=BB20_9 Depth=1
	v_dual_mov_b32 v7, v11 :: v_dual_mov_b32 v8, v9
	s_waitcnt vmcnt(0)
	v_mov_b32_e32 v5, v10
	s_mov_b32 s16, s19
	s_mov_b32 s18, s1
	s_branch .LBB20_9
.LBB20_21:
                                        ; implicit-def: $sgpr16_sgpr17
	s_load_b128 s[8:11], s[0:1], 0x44
	s_branch .LBB20_2
.LBB20_22:
                                        ; implicit-def: $sgpr18_sgpr19
	s_branch .LBB20_5
.LBB20_23:
	v_div_scale_f32 v0, null, v11, v11, v10
	s_delay_alu instid0(VALU_DEP_1) | instskip(SKIP_2) | instid1(VALU_DEP_1)
	v_rcp_f32_e32 v3, v0
	s_waitcnt_depctr 0xfff
	v_fma_f32 v4, -v0, v3, 1.0
	v_fmac_f32_e32 v3, v4, v3
	v_div_scale_f32 v4, vcc_lo, v10, v11, v10
	s_waitcnt vmcnt(0)
	s_delay_alu instid0(VALU_DEP_1) | instskip(NEXT) | instid1(VALU_DEP_1)
	v_mul_f32_e32 v5, v4, v3
	v_fma_f32 v6, -v0, v5, v4
	s_delay_alu instid0(VALU_DEP_1) | instskip(NEXT) | instid1(VALU_DEP_1)
	v_fmac_f32_e32 v5, v6, v3
	v_fma_f32 v0, -v0, v5, v4
	s_delay_alu instid0(VALU_DEP_1) | instskip(NEXT) | instid1(VALU_DEP_1)
	v_div_fmas_f32 v0, v0, v3, v5
	v_div_fixup_f32 v0, v0, v11, v10
	global_store_b32 v[1:2], v0, off
.LBB20_24:
	s_nop 0
	s_sendmsg sendmsg(MSG_DEALLOC_VGPRS)
	s_endpgm
	.section	.rodata,"a",@progbits
	.p2align	6, 0x0
	.amdhsa_kernel _ZL33flash_attn_stream_k_fixup_generalILi80ELi16ELi4EEvPfPK15HIP_vector_typeIfLj2EEiiiiS1_IjLj3EES5_S5_S5_
		.amdhsa_group_segment_fixed_size 0
		.amdhsa_private_segment_fixed_size 0
		.amdhsa_kernarg_size 336
		.amdhsa_user_sgpr_count 13
		.amdhsa_user_sgpr_dispatch_ptr 0
		.amdhsa_user_sgpr_queue_ptr 0
		.amdhsa_user_sgpr_kernarg_segment_ptr 1
		.amdhsa_user_sgpr_dispatch_id 0
		.amdhsa_user_sgpr_private_segment_size 0
		.amdhsa_wavefront_size32 1
		.amdhsa_uses_dynamic_stack 0
		.amdhsa_enable_private_segment 0
		.amdhsa_system_sgpr_workgroup_id_x 1
		.amdhsa_system_sgpr_workgroup_id_y 1
		.amdhsa_system_sgpr_workgroup_id_z 1
		.amdhsa_system_sgpr_workgroup_info 0
		.amdhsa_system_vgpr_workitem_id 0
		.amdhsa_next_free_vgpr 19
		.amdhsa_next_free_sgpr 32
		.amdhsa_reserve_vcc 1
		.amdhsa_float_round_mode_32 0
		.amdhsa_float_round_mode_16_64 0
		.amdhsa_float_denorm_mode_32 3
		.amdhsa_float_denorm_mode_16_64 3
		.amdhsa_dx10_clamp 1
		.amdhsa_ieee_mode 1
		.amdhsa_fp16_overflow 0
		.amdhsa_workgroup_processor_mode 1
		.amdhsa_memory_ordered 1
		.amdhsa_forward_progress 0
		.amdhsa_shared_vgpr_count 0
		.amdhsa_exception_fp_ieee_invalid_op 0
		.amdhsa_exception_fp_denorm_src 0
		.amdhsa_exception_fp_ieee_div_zero 0
		.amdhsa_exception_fp_ieee_overflow 0
		.amdhsa_exception_fp_ieee_underflow 0
		.amdhsa_exception_fp_ieee_inexact 0
		.amdhsa_exception_int_div_zero 0
	.end_amdhsa_kernel
	.section	.text._ZL33flash_attn_stream_k_fixup_generalILi80ELi16ELi4EEvPfPK15HIP_vector_typeIfLj2EEiiiiS1_IjLj3EES5_S5_S5_,"axG",@progbits,_ZL33flash_attn_stream_k_fixup_generalILi80ELi16ELi4EEvPfPK15HIP_vector_typeIfLj2EEiiiiS1_IjLj3EES5_S5_S5_,comdat
.Lfunc_end20:
	.size	_ZL33flash_attn_stream_k_fixup_generalILi80ELi16ELi4EEvPfPK15HIP_vector_typeIfLj2EEiiiiS1_IjLj3EES5_S5_S5_, .Lfunc_end20-_ZL33flash_attn_stream_k_fixup_generalILi80ELi16ELi4EEvPfPK15HIP_vector_typeIfLj2EEiiiiS1_IjLj3EES5_S5_S5_
                                        ; -- End function
	.section	.AMDGPU.csdata,"",@progbits
; Kernel info:
; codeLenInByte = 3224
; NumSgprs: 34
; NumVgprs: 19
; ScratchSize: 0
; MemoryBound: 0
; FloatMode: 240
; IeeeMode: 1
; LDSByteSize: 0 bytes/workgroup (compile time only)
; SGPRBlocks: 4
; VGPRBlocks: 2
; NumSGPRsForWavesPerEU: 34
; NumVGPRsForWavesPerEU: 19
; Occupancy: 16
; WaveLimiterHint : 0
; COMPUTE_PGM_RSRC2:SCRATCH_EN: 0
; COMPUTE_PGM_RSRC2:USER_SGPR: 13
; COMPUTE_PGM_RSRC2:TRAP_HANDLER: 0
; COMPUTE_PGM_RSRC2:TGID_X_EN: 1
; COMPUTE_PGM_RSRC2:TGID_Y_EN: 1
; COMPUTE_PGM_RSRC2:TGID_Z_EN: 1
; COMPUTE_PGM_RSRC2:TIDIG_COMP_CNT: 0
	.section	.text._ZL15flash_attn_tileILi80ELi80ELi8ELi4ELb0EEvPKcS1_S1_S1_S1_PKiPfP15HIP_vector_typeIfLj2EEffffjfiS5_IjLj3EEiiiiiiiiiiiliiliiiiil,"axG",@progbits,_ZL15flash_attn_tileILi80ELi80ELi8ELi4ELb0EEvPKcS1_S1_S1_S1_PKiPfP15HIP_vector_typeIfLj2EEffffjfiS5_IjLj3EEiiiiiiiiiiiliiliiiiil,comdat
	.globl	_ZL15flash_attn_tileILi80ELi80ELi8ELi4ELb0EEvPKcS1_S1_S1_S1_PKiPfP15HIP_vector_typeIfLj2EEffffjfiS5_IjLj3EEiiiiiiiiiiiliiliiiiil ; -- Begin function _ZL15flash_attn_tileILi80ELi80ELi8ELi4ELb0EEvPKcS1_S1_S1_S1_PKiPfP15HIP_vector_typeIfLj2EEffffjfiS5_IjLj3EEiiiiiiiiiiiliiliiiiil
	.p2align	8
	.type	_ZL15flash_attn_tileILi80ELi80ELi8ELi4ELb0EEvPKcS1_S1_S1_S1_PKiPfP15HIP_vector_typeIfLj2EEffffjfiS5_IjLj3EEiiiiiiiiiiiliiliiiiil,@function
_ZL15flash_attn_tileILi80ELi80ELi8ELi4ELb0EEvPKcS1_S1_S1_S1_PKiPfP15HIP_vector_typeIfLj2EEffffjfiS5_IjLj3EEiiiiiiiiiiiliiliiiiil: ; @_ZL15flash_attn_tileILi80ELi80ELi8ELi4ELb0EEvPKcS1_S1_S1_S1_PKiPfP15HIP_vector_typeIfLj2EEffffjfiS5_IjLj3EEiiiiiiiiiiiliiliiiiil
; %bb.0:
	s_clause 0x1
	s_load_b128 s[36:39], s[0:1], 0x5c
	s_load_b64 s[34:35], s[0:1], 0x80
	s_mov_b64 s[40:41], 0
	s_waitcnt lgkmcnt(0)
	s_ashr_i32 s2, s39, 31
	s_delay_alu instid0(SALU_CYCLE_1) | instskip(NEXT) | instid1(SALU_CYCLE_1)
	s_lshr_b32 s2, s2, 30
	s_add_i32 s2, s39, s2
	s_delay_alu instid0(SALU_CYCLE_1) | instskip(NEXT) | instid1(SALU_CYCLE_1)
	s_ashr_i32 s2, s2, 2
	v_cvt_f32_u32_e32 v1, s2
	s_sub_i32 s4, 0, s2
	s_delay_alu instid0(VALU_DEP_1) | instskip(SKIP_2) | instid1(VALU_DEP_1)
	v_rcp_iflag_f32_e32 v1, v1
	s_waitcnt_depctr 0xfff
	v_mul_f32_e32 v1, 0x4f7ffffe, v1
	v_cvt_u32_f32_e32 v1, v1
	s_delay_alu instid0(VALU_DEP_1) | instskip(NEXT) | instid1(VALU_DEP_1)
	v_readfirstlane_b32 s3, v1
	s_mul_i32 s4, s4, s3
	s_delay_alu instid0(SALU_CYCLE_1) | instskip(NEXT) | instid1(SALU_CYCLE_1)
	s_mul_hi_u32 s4, s3, s4
	s_add_i32 s3, s3, s4
	s_delay_alu instid0(SALU_CYCLE_1) | instskip(NEXT) | instid1(SALU_CYCLE_1)
	s_mul_hi_u32 s3, s15, s3
	s_mul_i32 s4, s3, s2
	s_add_i32 s5, s3, 1
	s_sub_i32 s4, s15, s4
	s_delay_alu instid0(SALU_CYCLE_1)
	s_sub_i32 s6, s4, s2
	s_cmp_ge_u32 s4, s2
	s_cselect_b32 s3, s5, s3
	s_cselect_b32 s4, s6, s4
	s_add_i32 s5, s3, 1
	s_cmp_ge_u32 s4, s2
	s_cselect_b32 s33, s5, s3
	s_abs_i32 s2, s35
	s_abs_i32 s5, s39
	v_cvt_f32_u32_e32 v1, s2
	s_sub_i32 s4, 0, s2
	s_xor_b32 s6, s39, s35
	s_delay_alu instid0(SALU_CYCLE_1) | instskip(NEXT) | instid1(VALU_DEP_1)
	s_ashr_i32 s6, s6, 31
	v_rcp_iflag_f32_e32 v1, v1
	s_waitcnt_depctr 0xfff
	v_mul_f32_e32 v1, 0x4f7ffffe, v1
	s_delay_alu instid0(VALU_DEP_1) | instskip(NEXT) | instid1(VALU_DEP_1)
	v_cvt_u32_f32_e32 v1, v1
	v_readfirstlane_b32 s3, v1
	s_delay_alu instid0(VALU_DEP_1) | instskip(NEXT) | instid1(SALU_CYCLE_1)
	s_mul_i32 s4, s4, s3
	s_mul_hi_u32 s4, s3, s4
	s_delay_alu instid0(SALU_CYCLE_1) | instskip(SKIP_2) | instid1(SALU_CYCLE_1)
	s_add_i32 s3, s3, s4
	s_lshl_b32 s4, s15, 2
	s_mul_hi_u32 s3, s5, s3
	s_mul_i32 s7, s3, s2
	s_delay_alu instid0(SALU_CYCLE_1)
	s_sub_i32 s5, s5, s7
	s_add_i32 s7, s3, 1
	s_sub_i32 s8, s5, s2
	s_cmp_ge_u32 s5, s2
	s_cselect_b32 s3, s7, s3
	s_cselect_b32 s5, s8, s5
	s_add_i32 s7, s3, 1
	s_cmp_ge_u32 s5, s2
	s_mul_i32 s5, s33, s39
	s_cselect_b32 s2, s7, s3
	s_delay_alu instid0(SALU_CYCLE_1) | instskip(NEXT) | instid1(SALU_CYCLE_1)
	s_xor_b32 s2, s2, s6
	s_sub_i32 s9, s2, s6
	s_clause 0x1
	s_load_b512 s[16:31], s[0:1], 0x0
	s_load_b64 s[2:3], s[0:1], 0xb8
	s_abs_i32 s8, s9
	s_delay_alu instid0(SALU_CYCLE_1) | instskip(NEXT) | instid1(VALU_DEP_1)
	v_cvt_f32_u32_e32 v1, s8
	v_rcp_iflag_f32_e32 v1, v1
	s_waitcnt_depctr 0xfff
	v_mul_f32_e32 v1, 0x4f7ffffe, v1
	s_waitcnt lgkmcnt(0)
	s_cmp_eq_u64 s[22:23], 0
	s_delay_alu instid0(VALU_DEP_1) | instskip(NEXT) | instid1(VALU_DEP_1)
	v_cvt_u32_f32_e32 v1, v1
	v_readfirstlane_b32 s10, v1
	s_cbranch_scc1 .LBB21_2
; %bb.1:
	s_abs_i32 s2, s2
	s_abs_i32 s11, s33
	v_cvt_f32_u32_e32 v1, s2
	s_sub_i32 s7, 0, s2
	s_delay_alu instid0(VALU_DEP_1) | instskip(SKIP_2) | instid1(VALU_DEP_1)
	v_rcp_iflag_f32_e32 v1, v1
	s_waitcnt_depctr 0xfff
	v_mul_f32_e32 v1, 0x4f7ffffe, v1
	v_cvt_u32_f32_e32 v1, v1
	s_delay_alu instid0(VALU_DEP_1) | instskip(NEXT) | instid1(VALU_DEP_1)
	v_readfirstlane_b32 s6, v1
	s_mul_i32 s7, s7, s6
	s_delay_alu instid0(SALU_CYCLE_1) | instskip(NEXT) | instid1(SALU_CYCLE_1)
	s_mul_hi_u32 s7, s6, s7
	s_add_i32 s12, s6, s7
	s_load_b64 s[6:7], s[0:1], 0xc8
	s_mul_hi_u32 s12, s11, s12
	s_delay_alu instid0(SALU_CYCLE_1) | instskip(NEXT) | instid1(SALU_CYCLE_1)
	s_mul_i32 s12, s12, s2
	s_sub_i32 s11, s11, s12
	s_ashr_i32 s12, s33, 31
	s_sub_i32 s15, s11, s2
	s_cmp_ge_u32 s11, s2
	s_cselect_b32 s11, s15, s11
	s_delay_alu instid0(SALU_CYCLE_1) | instskip(SKIP_2) | instid1(SALU_CYCLE_1)
	s_sub_i32 s15, s11, s2
	s_cmp_ge_u32 s11, s2
	s_cselect_b32 s2, s15, s11
	s_xor_b32 s2, s2, s12
	s_delay_alu instid0(SALU_CYCLE_1)
	s_sub_i32 s2, s2, s12
	s_waitcnt lgkmcnt(0)
	s_mul_i32 s7, s2, s7
	s_mul_hi_u32 s11, s2, s6
	s_ashr_i32 s12, s2, 31
	s_add_i32 s7, s11, s7
	s_mul_i32 s12, s12, s6
	s_mul_i32 s2, s2, s6
	s_add_i32 s7, s7, s12
	s_add_u32 s40, s22, s2
	s_addc_u32 s41, s23, s7
.LBB21_2:
	v_bfe_u32 v4, v0, 10, 10
	v_and_b32_e32 v69, 0x3ff, v0
	s_sub_i32 s22, s4, s5
	s_delay_alu instid0(VALU_DEP_2) | instskip(NEXT) | instid1(VALU_DEP_2)
	v_lshl_add_u32 v70, s13, 3, v4
	v_cmp_gt_u32_e64 s2, 20, v69
	v_lshlrev_b32_e32 v68, 2, v69
	s_delay_alu instid0(VALU_DEP_3) | instskip(NEXT) | instid1(VALU_DEP_1)
	v_mul_hi_u32 v1, s36, v70
	v_add_nc_u32_e32 v1, v70, v1
	s_delay_alu instid0(VALU_DEP_1) | instskip(NEXT) | instid1(VALU_DEP_1)
	v_lshrrev_b32_e32 v1, s37, v1
	v_mul_lo_u32 v1, v1, s38
	s_delay_alu instid0(VALU_DEP_1)
	v_sub_nc_u32_e32 v5, v70, v1
	s_and_saveexec_b32 s11, s2
	s_cbranch_execz .LBB21_4
; %bb.3:
	s_load_b128 s[4:7], s[0:1], 0x70
	v_lshlrev_b32_e32 v20, 1, v69
	v_mul_u32_u24_e32 v21, 0xa0, v4
	s_waitcnt lgkmcnt(0)
	s_mul_i32 s6, s33, s6
	s_mul_i32 s7, s22, s5
	s_ashr_i32 s12, s6, 31
	s_add_u32 s6, s16, s6
	s_addc_u32 s12, s17, s12
	s_ashr_i32 s15, s7, 31
	s_add_u32 s6, s6, s7
	s_addc_u32 s12, s12, s15
	s_ashr_i32 s7, s4, 31
	s_delay_alu instid0(SALU_CYCLE_1) | instskip(SKIP_2) | instid1(VALU_DEP_1)
	v_alignbit_b32 v2, s7, s4, 2
	s_lshr_b32 s4, s7, 2
	s_ashr_i32 s7, s5, 31
	v_mad_u64_u32 v[0:1], null, v2, v5, 0
	s_delay_alu instid0(VALU_DEP_1) | instskip(SKIP_1) | instid1(VALU_DEP_2)
	v_mad_u64_u32 v[2:3], null, s4, v5, v[1:2]
	v_alignbit_b32 v3, s7, s5, 2
	v_dual_mov_b32 v1, v2 :: v_dual_lshlrev_b32 v2, 2, v68
	s_delay_alu instid0(VALU_DEP_1) | instskip(NEXT) | instid1(VALU_DEP_1)
	v_lshlrev_b64 v[0:1], 2, v[0:1]
	v_add_co_u32 v0, vcc_lo, s6, v0
	s_delay_alu instid0(VALU_DEP_2) | instskip(SKIP_1) | instid1(VALU_DEP_2)
	v_add_co_ci_u32_e32 v1, vcc_lo, s12, v1, vcc_lo
	s_mov_b32 s6, s5
	v_add_co_u32 v6, vcc_lo, v0, v2
	s_delay_alu instid0(VALU_DEP_2) | instskip(SKIP_3) | instid1(VALU_DEP_1)
	v_add_co_ci_u32_e32 v7, vcc_lo, 0, v1, vcc_lo
	s_and_b32 s12, s5, -4
	s_lshr_b64 s[4:5], s[6:7], 2
	s_lshr_b32 s6, s7, 2
	v_mad_u64_u32 v[14:15], null, v3, 12, v[6:7]
	s_lshl_b64 s[4:5], s[4:5], 3
	global_load_b128 v[0:3], v[6:7], off
	v_mov_b32_e32 v8, v15
	s_delay_alu instid0(VALU_DEP_1) | instskip(SKIP_3) | instid1(VALU_DEP_4)
	v_mad_u64_u32 v[10:11], null, s6, 12, v[8:9]
	v_add_co_u32 v8, vcc_lo, v6, s12
	v_add_co_ci_u32_e32 v9, vcc_lo, s7, v7, vcc_lo
	v_add_co_u32 v11, vcc_lo, v6, s4
	v_mov_b32_e32 v15, v10
	v_add_co_ci_u32_e32 v12, vcc_lo, s5, v7, vcc_lo
	s_clause 0x2
	global_load_b128 v[6:9], v[8:9], off
	global_load_b128 v[10:13], v[11:12], off
	global_load_b128 v[14:17], v[14:15], off
	s_load_b32 s4, s[0:1], 0x40
	s_waitcnt vmcnt(3) lgkmcnt(0)
	v_fma_mixlo_f16 v18, v0, s4, 0
	v_fma_mixlo_f16 v19, v2, s4, 0
	v_add_lshl_u32 v0, v21, v20, 2
	s_delay_alu instid0(VALU_DEP_3) | instskip(NEXT) | instid1(VALU_DEP_3)
	v_fma_mixhi_f16 v18, v1, s4, 0
	v_fma_mixhi_f16 v19, v3, s4, 0
	s_waitcnt vmcnt(2)
	v_fma_mixlo_f16 v2, v8, s4, 0
	v_fma_mixlo_f16 v1, v6, s4, 0
	s_waitcnt vmcnt(1)
	v_fma_mixlo_f16 v20, v10, s4, 0
	v_fma_mixlo_f16 v21, v12, s4, 0
	s_waitcnt vmcnt(0)
	v_fma_mixlo_f16 v8, v14, s4, 0
	v_fma_mixhi_f16 v2, v9, s4, 0
	v_fma_mixlo_f16 v9, v16, s4, 0
	v_fma_mixhi_f16 v1, v7, s4, 0
	v_fma_mixhi_f16 v21, v13, s4, 0
	;; [unrolled: 1-line block ×5, first 2 shown]
	ds_store_2addr_b64 v0, v[18:19], v[1:2] offset1:20
	ds_store_2addr_b64 v0, v[20:21], v[8:9] offset0:40 offset1:60
.LBB21_4:
	s_or_b32 exec_lo, exec_lo, s11
	s_cmp_eq_u64 s[26:27], 0
	s_waitcnt lgkmcnt(0)
	s_barrier
	buffer_gl0_inv
	s_cbranch_scc1 .LBB21_6
; %bb.5:
	s_load_b32 s4, s[0:1], 0xd0
	s_mov_b32 s5, 0
	s_waitcnt lgkmcnt(0)
	s_mul_i32 s4, s4, s33
	s_delay_alu instid0(SALU_CYCLE_1) | instskip(NEXT) | instid1(SALU_CYCLE_1)
	s_add_i32 s4, s4, s13
	s_lshl_b64 s[4:5], s[4:5], 2
	s_delay_alu instid0(SALU_CYCLE_1)
	s_add_u32 s4, s26, s4
	s_addc_u32 s5, s27, s5
	s_load_b32 s34, s[4:5], 0x0
.LBB21_6:
	v_mbcnt_lo_u32_b32 v84, -1, 0
	s_lshl_b32 s23, s14, 5
	s_waitcnt lgkmcnt(0)
	s_cmp_lt_i32 s23, s34
	s_cbranch_scc1 .LBB21_8
; %bb.7:
	v_mbcnt_lo_u32_b32 v6, -1, 0
	v_mov_b32_e32 v87, 32
	s_mov_b32 s4, 0
	s_mov_b32 s5, 0xfeffffff
	s_delay_alu instid0(VALU_DEP_2)
	v_xor_b32_e32 v105, 16, v6
	v_xor_b32_e32 v106, 8, v6
	;; [unrolled: 1-line block ×5, first 2 shown]
	s_branch .LBB21_9
.LBB21_8:
	s_mov_b32 s4, -1
                                        ; implicit-def: $sgpr5
                                        ; implicit-def: $vgpr6
                                        ; implicit-def: $vgpr87
                                        ; implicit-def: $vgpr105
                                        ; implicit-def: $vgpr106
                                        ; implicit-def: $vgpr107
                                        ; implicit-def: $vgpr108
                                        ; implicit-def: $vgpr109
.LBB21_9:
	s_delay_alu instid0(SALU_CYCLE_1) | instskip(SKIP_2) | instid1(VALU_DEP_3)
	v_cndmask_b32_e64 v0, 0, 1, s4
	v_dual_mov_b32 v3, s5 :: v_dual_mov_b32 v110, s4
	v_dual_mov_b32 v88, s4 :: v_dual_mov_b32 v1, s5
	v_cmp_ne_u32_e32 vcc_lo, 1, v0
	v_dual_mov_b32 v2, s5 :: v_dual_mov_b32 v111, s4
	v_dual_mov_b32 v0, s5 :: v_dual_mov_b32 v113, s4
	;; [unrolled: 1-line block ×6, first 2 shown]
	s_cbranch_vccnz .LBB21_30
; %bb.10:
	s_clause 0x1
	s_load_b128 s[4:7], s[0:1], 0x98
	s_load_b64 s[12:13], s[0:1], 0x8c
	s_sub_i32 s11, 0, s8
	s_abs_i32 s15, s22
	s_mul_i32 s11, s11, s10
	s_ashr_i32 s35, s22, 31
	s_mul_hi_u32 s11, s10, s11
	s_ashr_i32 s9, s9, 31
	s_add_i32 s10, s10, s11
	s_ashr_i32 s11, s3, 1
	s_mul_hi_u32 s3, s15, s10
	s_ashr_i32 s10, s33, 31
	s_load_b64 s[16:17], s[0:1], 0xa8
	s_mul_i32 s36, s3, s8
	v_lshrrev_b32_e32 v0, 2, v69
	v_dual_mov_b32 v80, 0 :: v_dual_and_b32 v9, 12, v68
	v_lshrrev_b32_e32 v7, 1, v69
	v_mov_b32_e32 v87, 32
	s_delay_alu instid0(VALU_DEP_4)
	v_lshl_add_u32 v3, v4, 3, v0
	s_waitcnt lgkmcnt(0)
	s_ashr_i32 s26, s6, 2
	s_mul_i32 s5, s33, s5
	s_mul_hi_u32 s6, s33, s4
	s_ashr_i32 s27, s12, 2
	s_mul_i32 s12, s10, s4
	s_add_i32 s5, s6, s5
	s_mul_i32 s4, s33, s4
	s_add_i32 s5, s5, s12
	s_add_u32 s4, s18, s4
	s_addc_u32 s5, s19, s5
	s_xor_b32 s6, s35, s9
	s_sub_i32 s9, s15, s36
	s_add_i32 s12, s3, 1
	s_sub_i32 s15, s9, s8
	s_cmp_ge_u32 s9, s8
	s_mul_i32 s10, s10, s16
	s_cselect_b32 s3, s12, s3
	s_cselect_b32 s9, s15, s9
	s_add_i32 s12, s3, 1
	s_cmp_ge_u32 s9, s8
	s_mul_i32 s8, s33, s17
	s_cselect_b32 s3, s12, s3
	s_mul_hi_u32 s9, s33, s16
	s_xor_b32 s3, s3, s6
	s_mul_i32 s12, s33, s16
	s_sub_i32 s3, s3, s6
	v_mul_lo_u32 v2, s27, v3
	s_mul_i32 s6, s3, s13
	s_mul_i32 s3, s3, s7
	s_ashr_i32 s13, s6, 31
	s_add_u32 s18, s4, s6
	s_addc_u32 s19, s5, s13
	s_add_i32 s4, s9, s8
	v_lshlrev_b32_e32 v6, 2, v9
	s_add_i32 s4, s4, s10
	s_add_u32 s5, s20, s12
	s_addc_u32 s6, s21, s4
	s_ashr_i32 s7, s3, 31
	s_add_u32 s20, s5, s3
	v_cmp_gt_u32_e64 s3, 32, v3
	v_mul_u32_u24_e32 v3, 0x60, v3
	v_lshl_add_u32 v1, v4, 5, v69
	v_mul_u32_u24_e32 v91, 0x280, v4
	v_lshl_add_u32 v94, v4, 8, 0x20c0
	v_and_b32_e32 v95, 4, v68
	v_add3_u32 v93, v3, v6, 0x1400
	v_lshl_add_u32 v6, v4, 4, v7
	v_lshrrev_b32_e32 v7, 3, v69
	v_mul_lo_u32 v0, s27, v1
	v_mad_u64_u32 v[71:72], null, v5, s11, v[69:70]
	s_delay_alu instid0(VALU_DEP_4) | instskip(NEXT) | instid1(VALU_DEP_4)
	v_mul_u32_u24_e32 v8, 0xa0, v6
	v_lshl_add_u32 v4, v4, 2, v7
	v_mul_lo_u32 v5, s26, v6
	v_dual_mov_b32 v82, 0 :: v_dual_and_b32 v97, 28, v68
	s_movk_i32 s4, 0x1440
	s_delay_alu instid0(VALU_DEP_3)
	v_mul_lo_u32 v7, s26, v4
	v_mul_u32_u24_e32 v10, 0xa0, v4
	v_cmp_gt_u32_e64 s5, 16, v4
	v_mov_b32_e32 v4, 0xfeffffff
	v_lshl_or_b32 v8, v95, 2, v8
	v_cmp_gt_u32_e32 vcc_lo, 32, v1
	v_mad_u32_u24 v92, 0x60, v1, s4
	v_ashrrev_i32_e32 v1, 31, v0
	v_ashrrev_i32_e32 v3, 31, v2
	v_cmp_gt_u32_e64 s4, 16, v6
	v_dual_mov_b32 v83, 0 :: v_dual_add_nc_u32 v98, 0x1480, v8
	v_ashrrev_i32_e32 v6, 31, v5
	v_ashrrev_i32_e32 v8, 31, v7
	v_dual_mov_b32 v86, 0 :: v_dual_lshlrev_b32 v11, 2, v97
	v_lshlrev_b64 v[72:73], 2, v[0:1]
	v_lshlrev_b64 v[74:75], 2, v[2:3]
	;; [unrolled: 1-line block ×4, first 2 shown]
	v_mul_u32_u24_e32 v90, 0x60, v69
	v_dual_mov_b32 v81, 0 :: v_dual_lshlrev_b32 v96, 3, v69
	v_add3_u32 v99, v10, v11, 0x1400
	v_dual_mov_b32 v85, 0 :: v_dual_lshlrev_b32 v100, 2, v9
	v_dual_mov_b32 v89, 0 :: v_dual_mov_b32 v88, 0
	v_dual_mov_b32 v6, 0xfeffffff :: v_dual_mov_b32 v7, 0xfeffffff
	;; [unrolled: 1-line block ×4, first 2 shown]
	v_mov_b32_e32 v101, 0
	s_addc_u32 s21, s6, s7
	s_add_u32 s16, s0, 0xd0
	s_addc_u32 s17, s1, 0
.LBB21_11:                              ; =>This Inner Loop Header: Depth=1
	s_mul_hi_i32 s7, s23, s27
	s_mul_i32 s6, s23, s27
	s_delay_alu instid0(SALU_CYCLE_1) | instskip(NEXT) | instid1(SALU_CYCLE_1)
	s_lshl_b64 s[8:9], s[6:7], 2
	s_add_u32 s7, s18, s8
	s_addc_u32 s8, s19, s9
	s_and_saveexec_b32 s9, vcc_lo
	s_cbranch_execz .LBB21_13
; %bb.12:                               ;   in Loop: Header=BB21_11 Depth=1
	v_add_co_u32 v0, s6, s7, v72
	s_delay_alu instid0(VALU_DEP_1)
	v_add_co_ci_u32_e64 v1, s6, s8, v73, s6
	global_load_b128 v[0:3], v[0:1], off offset:64
	s_waitcnt vmcnt(0)
	ds_store_b128 v92, v[0:3]
.LBB21_13:                              ;   in Loop: Header=BB21_11 Depth=1
	s_or_b32 exec_lo, exec_lo, s9
	s_and_saveexec_b32 s9, s3
	s_cbranch_execz .LBB21_15
; %bb.14:                               ;   in Loop: Header=BB21_11 Depth=1
	v_add_co_u32 v0, s6, s7, v74
	s_delay_alu instid0(VALU_DEP_1) | instskip(NEXT) | instid1(VALU_DEP_2)
	v_add_co_ci_u32_e64 v1, s6, s8, v75, s6
	v_add_co_u32 v0, s6, v0, v100
	s_delay_alu instid0(VALU_DEP_1)
	v_add_co_ci_u32_e64 v1, s6, 0, v1, s6
	global_load_b128 v[0:3], v[0:1], off
	s_waitcnt vmcnt(0)
	ds_store_b128 v93, v[0:3]
.LBB21_15:                              ;   in Loop: Header=BB21_11 Depth=1
	s_or_b32 exec_lo, exec_lo, s9
	s_waitcnt lgkmcnt(0)
	s_barrier
	buffer_gl0_inv
	ds_load_b128 v[8:11], v90 offset:5120
	ds_load_b128 v[12:15], v91
	ds_load_b128 v[16:19], v91 offset:160
	ds_load_b128 v[20:23], v91 offset:320
	;; [unrolled: 1-line block ×3, first 2 shown]
	v_dual_mov_b32 v0, 0 :: v_dual_mov_b32 v1, 0
	v_dual_mov_b32 v2, 0 :: v_dual_mov_b32 v3, 0
	s_waitcnt lgkmcnt(3)
	;;#ASMSTART
	v_dot2_f32_f16 v0, v8, v12, v0
	;;#ASMEND
	;;#ASMSTART
	v_dot2_f32_f16 v0, v9, v13, v0
	;;#ASMEND
	;;#ASMSTART
	v_dot2_f32_f16 v0, v10, v14, v0
	;;#ASMEND
	;;#ASMSTART
	v_dot2_f32_f16 v0, v11, v15, v0
	;;#ASMEND
	s_waitcnt lgkmcnt(2)
	;;#ASMSTART
	v_dot2_f32_f16 v1, v8, v16, v1
	;;#ASMEND
	;;#ASMSTART
	v_dot2_f32_f16 v1, v9, v17, v1
	;;#ASMEND
	;;#ASMSTART
	v_dot2_f32_f16 v1, v10, v18, v1
	;;#ASMEND
	;;#ASMSTART
	v_dot2_f32_f16 v1, v11, v19, v1
	;;#ASMEND
	s_waitcnt lgkmcnt(1)
	;;#ASMSTART
	v_dot2_f32_f16 v2, v8, v20, v2
	;;#ASMEND
	;;#ASMSTART
	v_dot2_f32_f16 v2, v9, v21, v2
	;;#ASMEND
	;;#ASMSTART
	v_dot2_f32_f16 v2, v10, v22, v2
	;;#ASMEND
	;;#ASMSTART
	v_dot2_f32_f16 v2, v11, v23, v2
	;;#ASMEND
	s_waitcnt lgkmcnt(0)
	;;#ASMSTART
	v_dot2_f32_f16 v3, v8, v24, v3
	;;#ASMEND
	;;#ASMSTART
	v_dot2_f32_f16 v3, v9, v25, v3
	;;#ASMEND
	;;#ASMSTART
	v_dot2_f32_f16 v3, v10, v26, v3
	;;#ASMEND
	;;#ASMSTART
	v_dot2_f32_f16 v3, v11, v27, v3
	;;#ASMEND
	ds_load_b128 v[8:11], v90 offset:5136
	ds_load_b128 v[12:15], v91 offset:16
	ds_load_b128 v[16:19], v91 offset:176
	ds_load_b128 v[20:23], v91 offset:336
	ds_load_b128 v[24:27], v91 offset:496
	s_waitcnt lgkmcnt(3)
	;;#ASMSTART
	v_dot2_f32_f16 v0, v8, v12, v0
	;;#ASMEND
	;;#ASMSTART
	v_dot2_f32_f16 v0, v9, v13, v0
	;;#ASMEND
	;;#ASMSTART
	v_dot2_f32_f16 v0, v10, v14, v0
	;;#ASMEND
	;;#ASMSTART
	v_dot2_f32_f16 v0, v11, v15, v0
	;;#ASMEND
	s_waitcnt lgkmcnt(2)
	;;#ASMSTART
	v_dot2_f32_f16 v1, v8, v16, v1
	;;#ASMEND
	;;#ASMSTART
	v_dot2_f32_f16 v1, v9, v17, v1
	;;#ASMEND
	;;#ASMSTART
	v_dot2_f32_f16 v1, v10, v18, v1
	;;#ASMEND
	;;#ASMSTART
	v_dot2_f32_f16 v1, v11, v19, v1
	;;#ASMEND
	s_waitcnt lgkmcnt(1)
	;;#ASMSTART
	v_dot2_f32_f16 v2, v8, v20, v2
	;;#ASMEND
	;;#ASMSTART
	v_dot2_f32_f16 v2, v9, v21, v2
	;;#ASMEND
	;;#ASMSTART
	v_dot2_f32_f16 v2, v10, v22, v2
	;;#ASMEND
	;;#ASMSTART
	v_dot2_f32_f16 v2, v11, v23, v2
	;;#ASMEND
	s_waitcnt lgkmcnt(0)
	;;#ASMSTART
	v_dot2_f32_f16 v3, v8, v24, v3
	;;#ASMEND
	;;#ASMSTART
	v_dot2_f32_f16 v3, v9, v25, v3
	;;#ASMEND
	;;#ASMSTART
	v_dot2_f32_f16 v3, v10, v26, v3
	;;#ASMEND
	;;#ASMSTART
	v_dot2_f32_f16 v3, v11, v27, v3
	;;#ASMEND
	ds_load_b128 v[8:11], v90 offset:5152
	ds_load_b128 v[12:15], v91 offset:32
	ds_load_b128 v[16:19], v91 offset:192
	ds_load_b128 v[20:23], v91 offset:352
	ds_load_b128 v[24:27], v91 offset:512
	;; [unrolled: 57-line block ×4, first 2 shown]
	s_waitcnt lgkmcnt(3)
	;;#ASMSTART
	v_dot2_f32_f16 v0, v8, v12, v0
	;;#ASMEND
	;;#ASMSTART
	v_dot2_f32_f16 v0, v9, v13, v0
	;;#ASMEND
	;;#ASMSTART
	v_dot2_f32_f16 v0, v10, v14, v0
	;;#ASMEND
	;;#ASMSTART
	v_dot2_f32_f16 v0, v11, v15, v0
	;;#ASMEND
	s_waitcnt lgkmcnt(2)
	;;#ASMSTART
	v_dot2_f32_f16 v1, v8, v16, v1
	;;#ASMEND
	;;#ASMSTART
	v_dot2_f32_f16 v1, v9, v17, v1
	;;#ASMEND
	;;#ASMSTART
	v_dot2_f32_f16 v1, v10, v18, v1
	;;#ASMEND
	;;#ASMSTART
	v_dot2_f32_f16 v1, v11, v19, v1
	;;#ASMEND
	;; [unrolled: 13-line block ×4, first 2 shown]
	s_barrier
	buffer_gl0_inv
	s_and_saveexec_b32 s9, vcc_lo
	s_cbranch_execz .LBB21_17
; %bb.16:                               ;   in Loop: Header=BB21_11 Depth=1
	v_add_co_u32 v8, s6, s7, v72
	s_delay_alu instid0(VALU_DEP_1)
	v_add_co_ci_u32_e64 v9, s6, s8, v73, s6
	global_load_b128 v[8:11], v[8:9], off offset:144
	s_waitcnt vmcnt(0)
	ds_store_b128 v92, v[8:11]
.LBB21_17:                              ;   in Loop: Header=BB21_11 Depth=1
	s_or_b32 exec_lo, exec_lo, s9
	s_and_saveexec_b32 s9, s3
	s_cbranch_execz .LBB21_19
; %bb.18:                               ;   in Loop: Header=BB21_11 Depth=1
	v_add_co_u32 v8, s6, s7, v74
	s_delay_alu instid0(VALU_DEP_1) | instskip(NEXT) | instid1(VALU_DEP_2)
	v_add_co_ci_u32_e64 v9, s6, s8, v75, s6
	v_add_co_u32 v8, s6, v8, v100
	s_delay_alu instid0(VALU_DEP_1)
	v_add_co_ci_u32_e64 v9, s6, 0, v9, s6
	global_load_b128 v[8:11], v[8:9], off offset:80
	s_waitcnt vmcnt(0)
	ds_store_b128 v93, v[8:11]
.LBB21_19:                              ;   in Loop: Header=BB21_11 Depth=1
	s_or_b32 exec_lo, exec_lo, s9
	s_waitcnt lgkmcnt(0)
	s_barrier
	buffer_gl0_inv
	ds_load_b128 v[8:11], v90 offset:5120
	ds_load_b128 v[12:15], v91 offset:80
	;; [unrolled: 1-line block ×5, first 2 shown]
	v_xor_b32_e32 v105, 16, v84
	v_xor_b32_e32 v106, 8, v84
	;; [unrolled: 1-line block ×5, first 2 shown]
	s_mul_hi_i32 s37, s23, s26
	s_mul_i32 s36, s23, s26
	s_waitcnt lgkmcnt(3)
	;;#ASMSTART
	v_dot2_f32_f16 v0, v8, v12, v0
	;;#ASMEND
	;;#ASMSTART
	v_dot2_f32_f16 v0, v9, v13, v0
	;;#ASMEND
	;;#ASMSTART
	v_dot2_f32_f16 v0, v10, v14, v0
	;;#ASMEND
	;;#ASMSTART
	v_dot2_f32_f16 v0, v11, v15, v0
	;;#ASMEND
	s_waitcnt lgkmcnt(2)
	;;#ASMSTART
	v_dot2_f32_f16 v1, v8, v16, v1
	;;#ASMEND
	;;#ASMSTART
	v_dot2_f32_f16 v1, v9, v17, v1
	;;#ASMEND
	;;#ASMSTART
	v_dot2_f32_f16 v1, v10, v18, v1
	;;#ASMEND
	;;#ASMSTART
	v_dot2_f32_f16 v1, v11, v19, v1
	;;#ASMEND
	;; [unrolled: 13-line block ×4, first 2 shown]
	ds_load_b128 v[8:11], v90 offset:5136
	ds_load_b128 v[12:15], v91 offset:96
	;; [unrolled: 1-line block ×5, first 2 shown]
	s_lshl_b64 s[36:37], s[36:37], 2
	s_waitcnt lgkmcnt(3)
	;;#ASMSTART
	v_dot2_f32_f16 v0, v8, v12, v0
	;;#ASMEND
	;;#ASMSTART
	v_dot2_f32_f16 v0, v9, v13, v0
	;;#ASMEND
	;;#ASMSTART
	v_dot2_f32_f16 v0, v10, v14, v0
	;;#ASMEND
	;;#ASMSTART
	v_dot2_f32_f16 v0, v11, v15, v0
	;;#ASMEND
	s_waitcnt lgkmcnt(2)
	;;#ASMSTART
	v_dot2_f32_f16 v1, v8, v16, v1
	;;#ASMEND
	;;#ASMSTART
	v_dot2_f32_f16 v1, v9, v17, v1
	;;#ASMEND
	;;#ASMSTART
	v_dot2_f32_f16 v1, v10, v18, v1
	;;#ASMEND
	;;#ASMSTART
	v_dot2_f32_f16 v1, v11, v19, v1
	;;#ASMEND
	;; [unrolled: 13-line block ×4, first 2 shown]
	ds_load_b128 v[8:11], v90 offset:5152
	ds_load_b128 v[12:15], v91 offset:112
	ds_load_b128 v[16:19], v91 offset:272
	ds_load_b128 v[20:23], v91 offset:432
	ds_load_b128 v[24:27], v91 offset:592
	s_add_u32 s35, s20, s36
	s_addc_u32 s36, s21, s37
	s_waitcnt lgkmcnt(3)
	;;#ASMSTART
	v_dot2_f32_f16 v0, v8, v12, v0
	;;#ASMEND
	;;#ASMSTART
	v_dot2_f32_f16 v0, v9, v13, v0
	;;#ASMEND
	;;#ASMSTART
	v_dot2_f32_f16 v0, v10, v14, v0
	;;#ASMEND
	;;#ASMSTART
	v_dot2_f32_f16 v0, v11, v15, v0
	;;#ASMEND
	s_waitcnt lgkmcnt(2)
	;;#ASMSTART
	v_dot2_f32_f16 v1, v8, v16, v1
	;;#ASMEND
	;;#ASMSTART
	v_dot2_f32_f16 v1, v9, v17, v1
	;;#ASMEND
	;;#ASMSTART
	v_dot2_f32_f16 v1, v10, v18, v1
	;;#ASMEND
	;;#ASMSTART
	v_dot2_f32_f16 v1, v11, v19, v1
	;;#ASMEND
	;; [unrolled: 13-line block ×4, first 2 shown]
	ds_load_b128 v[8:11], v90 offset:5168
	ds_load_b128 v[12:15], v91 offset:128
	;; [unrolled: 1-line block ×5, first 2 shown]
	s_waitcnt lgkmcnt(3)
	;;#ASMSTART
	v_dot2_f32_f16 v0, v8, v12, v0
	;;#ASMEND
	;;#ASMSTART
	v_dot2_f32_f16 v0, v9, v13, v0
	;;#ASMEND
	;;#ASMSTART
	v_dot2_f32_f16 v0, v10, v14, v0
	;;#ASMEND
	;;#ASMSTART
	v_dot2_f32_f16 v0, v11, v15, v0
	;;#ASMEND
	s_waitcnt lgkmcnt(2)
	;;#ASMSTART
	v_dot2_f32_f16 v1, v8, v16, v1
	;;#ASMEND
	;;#ASMSTART
	v_dot2_f32_f16 v1, v9, v17, v1
	;;#ASMEND
	;;#ASMSTART
	v_dot2_f32_f16 v1, v10, v18, v1
	;;#ASMEND
	;;#ASMSTART
	v_dot2_f32_f16 v1, v11, v19, v1
	;;#ASMEND
	;; [unrolled: 13-line block ×4, first 2 shown]
	ds_load_b128 v[8:11], v90 offset:5184
	ds_load_b128 v[12:15], v91 offset:144
	v_add_nc_u32_e32 v24, s23, v71
	ds_load_b128 v[16:19], v91 offset:304
	ds_load_b128 v[20:23], v91 offset:464
	v_lshlrev_b32_e32 v121, 2, v95
	v_ashrrev_i32_e32 v25, 31, v24
	s_delay_alu instid0(VALU_DEP_1)
	v_lshlrev_b64 v[28:29], 1, v[24:25]
	ds_load_b128 v[24:27], v91 offset:624
	s_waitcnt lgkmcnt(3)
	;;#ASMSTART
	v_dot2_f32_f16 v0, v8, v12, v0
	;;#ASMEND
	;;#ASMSTART
	v_dot2_f32_f16 v0, v9, v13, v0
	;;#ASMEND
	;; [unrolled: 3-line block ×4, first 2 shown]
	s_waitcnt lgkmcnt(2)
	;;#ASMSTART
	v_dot2_f32_f16 v1, v8, v16, v1
	;;#ASMEND
	;;#ASMSTART
	v_dot2_f32_f16 v1, v9, v17, v1
	;;#ASMEND
	v_add_co_u32 v28, s6, s40, v28
	;;#ASMSTART
	v_dot2_f32_f16 v1, v10, v18, v1
	;;#ASMEND
	;;#ASMSTART
	v_dot2_f32_f16 v1, v11, v19, v1
	;;#ASMEND
	s_waitcnt lgkmcnt(1)
	;;#ASMSTART
	v_dot2_f32_f16 v2, v8, v20, v2
	;;#ASMEND
	v_add_co_ci_u32_e64 v29, s6, s41, v29, s6
	;;#ASMSTART
	v_dot2_f32_f16 v2, v9, v21, v2
	;;#ASMEND
	;;#ASMSTART
	v_dot2_f32_f16 v2, v10, v22, v2
	;;#ASMEND
	;; [unrolled: 3-line block ×3, first 2 shown]
	s_waitcnt lgkmcnt(0)
	;;#ASMSTART
	v_dot2_f32_f16 v3, v8, v24, v3
	;;#ASMEND
	;;#ASMSTART
	v_dot2_f32_f16 v3, v9, v25, v3
	;;#ASMEND
	;; [unrolled: 3-line block ×4, first 2 shown]
	flat_load_u16 v8, v[28:29]
	v_cmp_gt_i32_e64 s6, 32, v105
	v_dual_max_f32 v10, v4, v4 :: v_dual_max_f32 v11, v5, v5
	v_max_f32_e32 v9, v6, v6
	s_waitcnt vmcnt(0) lgkmcnt(0)
	s_barrier
	buffer_gl0_inv
	v_cvt_f32_f16_e32 v8, v8
	s_delay_alu instid0(VALU_DEP_1) | instskip(SKIP_3) | instid1(VALU_DEP_4)
	v_dual_max_f32 v12, v7, v7 :: v_dual_add_f32 v13, v0, v8
	v_cndmask_b32_e64 v0, v84, v105, s6
	v_add_f32_e32 v14, v1, v8
	v_cmp_gt_i32_e64 s6, 32, v106
	v_add_f32_e32 v1, 0x40051340, v13
	v_add_f32_e32 v15, v3, v8
	;; [unrolled: 1-line block ×3, first 2 shown]
	v_lshlrev_b32_e32 v0, 2, v0
	s_delay_alu instid0(VALU_DEP_4) | instskip(NEXT) | instid1(VALU_DEP_3)
	v_dual_add_f32 v2, 0x40051340, v14 :: v_dual_max_f32 v1, v10, v1
	v_dual_add_f32 v3, 0x40051340, v15 :: v_dual_add_f32 v16, 0x40051340, v8
	ds_bpermute_b32 v10, v0, v1
	v_dual_max_f32 v3, v11, v3 :: v_dual_max_f32 v2, v9, v2
	v_max_f32_e32 v9, v12, v16
	v_cndmask_b32_e64 v16, v84, v106, s6
	v_cmp_gt_i32_e64 s6, 32, v107
	ds_bpermute_b32 v12, v0, v3
	ds_bpermute_b32 v11, v0, v2
	;; [unrolled: 1-line block ×3, first 2 shown]
	s_waitcnt lgkmcnt(1)
	v_dual_max_f32 v10, v10, v10 :: v_dual_max_f32 v11, v11, v11
	s_delay_alu instid0(VALU_DEP_1) | instskip(SKIP_2) | instid1(VALU_DEP_1)
	v_dual_max_f32 v1, v1, v10 :: v_dual_lshlrev_b32 v16, 2, v16
	s_waitcnt lgkmcnt(0)
	v_max_f32_e32 v0, v0, v0
	v_max_f32_e32 v0, v9, v0
	ds_bpermute_b32 v9, v16, v1
	s_waitcnt lgkmcnt(0)
	v_dual_max_f32 v12, v12, v12 :: v_dual_max_f32 v9, v9, v9
	s_delay_alu instid0(VALU_DEP_1) | instskip(NEXT) | instid1(VALU_DEP_2)
	v_dual_max_f32 v2, v2, v11 :: v_dual_max_f32 v3, v3, v12
	v_max_f32_e32 v1, v1, v9
	ds_bpermute_b32 v10, v16, v2
	ds_bpermute_b32 v11, v16, v3
	s_waitcnt lgkmcnt(0)
	v_max_f32_e32 v11, v11, v11
	s_delay_alu instid0(VALU_DEP_1) | instskip(SKIP_3) | instid1(VALU_DEP_2)
	v_max_f32_e32 v3, v3, v11
	ds_bpermute_b32 v12, v16, v0
	v_cndmask_b32_e64 v16, v84, v107, s6
	v_cmp_gt_i32_e64 s6, 32, v108
	v_lshlrev_b32_e32 v16, 2, v16
	ds_bpermute_b32 v9, v16, v1
	ds_bpermute_b32 v11, v16, v3
	v_max_f32_e32 v10, v10, v10
	s_waitcnt lgkmcnt(1)
	v_dual_max_f32 v12, v12, v12 :: v_dual_max_f32 v9, v9, v9
	s_waitcnt lgkmcnt(0)
	s_delay_alu instid0(VALU_DEP_2) | instskip(NEXT) | instid1(VALU_DEP_2)
	v_dual_max_f32 v11, v11, v11 :: v_dual_max_f32 v2, v2, v10
	v_dual_max_f32 v0, v0, v12 :: v_dual_max_f32 v1, v1, v9
	s_delay_alu instid0(VALU_DEP_2) | instskip(SKIP_4) | instid1(VALU_DEP_2)
	v_max_f32_e32 v3, v3, v11
	ds_bpermute_b32 v10, v16, v2
	ds_bpermute_b32 v12, v16, v0
	v_cndmask_b32_e64 v16, v84, v108, s6
	v_cmp_gt_i32_e64 s6, 32, v109
	v_lshlrev_b32_e32 v16, 2, v16
	ds_bpermute_b32 v9, v16, v1
	s_waitcnt lgkmcnt(0)
	v_max_f32_e32 v9, v9, v9
	ds_bpermute_b32 v11, v16, v3
	v_max_f32_e32 v10, v10, v10
	v_dual_max_f32 v12, v12, v12 :: v_dual_max_f32 v1, v1, v9
	s_delay_alu instid0(VALU_DEP_1) | instskip(SKIP_3) | instid1(VALU_DEP_1)
	v_max_f32_e32 v0, v0, v12
	ds_bpermute_b32 v12, v16, v0
	s_waitcnt lgkmcnt(1)
	v_dual_max_f32 v11, v11, v11 :: v_dual_max_f32 v2, v2, v10
	v_max_f32_e32 v3, v3, v11
	ds_bpermute_b32 v10, v16, v2
	v_cndmask_b32_e64 v16, v84, v109, s6
	s_waitcnt lgkmcnt(1)
	v_max_f32_e32 v12, v12, v12
	s_waitcnt lgkmcnt(0)
	v_max_f32_e32 v10, v10, v10
	s_delay_alu instid0(VALU_DEP_1) | instskip(SKIP_4) | instid1(VALU_DEP_1)
	v_max_f32_e32 v2, v2, v10
	v_lshlrev_b32_e32 v16, 2, v16
	ds_bpermute_b32 v11, v16, v3
	s_waitcnt lgkmcnt(0)
	v_max_f32_e32 v11, v11, v11
	v_max_f32_e32 v3, v3, v11
	;; [unrolled: 1-line block ×3, first 2 shown]
	ds_bpermute_b32 v0, v16, v1
	v_sub_f32_e32 v118, v5, v3
	s_delay_alu instid0(VALU_DEP_1) | instskip(SKIP_3) | instid1(VALU_DEP_1)
	v_cmp_ngt_f32_e64 s13, 0xc2ce8ed0, v118
	v_cmp_nlt_f32_e64 s12, 0x42b17218, v118
	s_waitcnt lgkmcnt(0)
	v_max_f32_e32 v0, v0, v0
	v_max_f32_e32 v0, v1, v0
	s_delay_alu instid0(VALU_DEP_1)
	v_sub_f32_e32 v119, v4, v0
	ds_bpermute_b32 v10, v16, v2
	v_sub_f32_e32 v4, v13, v0
	v_cmp_ngt_f32_e64 s6, 0xc2ce8ed0, v119
	v_cmp_nlt_f32_e64 s7, 0x42b17218, v119
	s_waitcnt lgkmcnt(0)
	s_delay_alu instid0(VALU_DEP_3) | instskip(NEXT) | instid1(VALU_DEP_1)
	v_dual_mul_f32 v5, 0x3fb8aa3b, v4 :: v_dual_max_f32 v10, v10, v10
	v_max_f32_e32 v1, v2, v10
	ds_bpermute_b32 v12, v16, v9
	v_sub_f32_e32 v120, v6, v1
	v_sub_f32_e32 v6, v15, v3
	v_rndne_f32_e32 v15, v5
	s_delay_alu instid0(VALU_DEP_2) | instskip(NEXT) | instid1(VALU_DEP_1)
	v_mul_f32_e32 v10, 0x3fb8aa3b, v6
	v_fma_f32 v17, 0x3fb8aa3b, v6, -v10
	s_waitcnt lgkmcnt(0)
	s_delay_alu instid0(VALU_DEP_1) | instskip(NEXT) | instid1(VALU_DEP_1)
	v_dual_max_f32 v12, v12, v12 :: v_dual_fmac_f32 v17, 0x32a5705f, v6
	v_max_f32_e32 v2, v9, v12
	v_add_nc_u32_e32 v16, v94, v96
	v_sub_f32_e32 v9, v14, v1
	s_delay_alu instid0(VALU_DEP_3) | instskip(SKIP_1) | instid1(VALU_DEP_3)
	v_sub_f32_e32 v117, v7, v2
	v_sub_f32_e32 v7, v8, v2
	v_cmp_ngt_f32_e64 s10, 0xc2ce8ed0, v9
	s_delay_alu instid0(VALU_DEP_3) | instskip(NEXT) | instid1(VALU_DEP_3)
	v_cmp_nlt_f32_e64 s11, 0x42b17218, v117
	v_mul_f32_e32 v11, 0x3fb8aa3b, v7
	s_delay_alu instid0(VALU_DEP_1) | instskip(SKIP_2) | instid1(VALU_DEP_3)
	v_rndne_f32_e32 v20, v11
	v_mul_f32_e32 v8, 0x3fb8aa3b, v9
	v_fma_f32 v19, 0x3fb8aa3b, v7, -v11
	v_sub_f32_e32 v11, v11, v20
	s_delay_alu instid0(VALU_DEP_3) | instskip(SKIP_1) | instid1(VALU_DEP_4)
	v_fma_f32 v12, 0x3fb8aa3b, v9, -v8
	v_rndne_f32_e32 v13, v8
	v_fmac_f32_e32 v19, 0x32a5705f, v7
	v_fma_f32 v14, 0x3fb8aa3b, v4, -v5
	s_delay_alu instid0(VALU_DEP_4) | instskip(NEXT) | instid1(VALU_DEP_3)
	v_dual_sub_f32 v5, v5, v15 :: v_dual_fmac_f32 v12, 0x32a5705f, v9
	v_dual_sub_f32 v8, v8, v13 :: v_dual_add_f32 v11, v11, v19
	v_rndne_f32_e32 v18, v10
	s_delay_alu instid0(VALU_DEP_4) | instskip(SKIP_1) | instid1(VALU_DEP_4)
	v_fmac_f32_e32 v14, 0x32a5705f, v4
	v_cmp_ngt_f32_e64 s8, 0xc2ce8ed0, v120
	v_add_f32_e32 v8, v8, v12
	v_cvt_i32_f32_e32 v12, v13
	v_sub_f32_e32 v10, v10, v18
	v_add_f32_e32 v5, v5, v14
	v_cvt_i32_f32_e32 v13, v15
	v_exp_f32_e32 v8, v8
	v_exp_f32_e32 v11, v11
	v_add_f32_e32 v10, v10, v17
	v_exp_f32_e32 v5, v5
	v_cvt_i32_f32_e32 v14, v18
	v_cvt_i32_f32_e32 v15, v20
	v_cmp_nlt_f32_e64 s9, 0x42b17218, v120
	v_exp_f32_e32 v10, v10
	v_ldexp_f32 v8, v8, v12
	s_delay_alu instid0(TRANS32_DEP_3) | instid1(VALU_DEP_3)
	v_ldexp_f32 v11, v11, v15
	s_delay_alu instid0(TRANS32_DEP_2) | instskip(NEXT) | instid1(VALU_DEP_3)
	v_ldexp_f32 v5, v5, v13
	v_cndmask_b32_e64 v8, 0, v8, s10
	v_cmp_ngt_f32_e64 s10, 0xc2ce8ed0, v4
	s_waitcnt_depctr 0xfff
	v_ldexp_f32 v10, v10, v14
	v_cndmask_b32_e64 v5, 0, v5, s10
	v_cmp_ngt_f32_e64 s10, 0xc2ce8ed0, v6
	s_delay_alu instid0(VALU_DEP_1) | instskip(SKIP_1) | instid1(VALU_DEP_1)
	v_cndmask_b32_e64 v10, 0, v10, s10
	v_cmp_ngt_f32_e64 s10, 0xc2ce8ed0, v7
	v_cndmask_b32_e64 v11, 0, v11, s10
	v_cmp_nlt_f32_e64 s10, 0x42b17218, v9
	s_delay_alu instid0(VALU_DEP_1) | instskip(SKIP_1) | instid1(VALU_DEP_1)
	v_cndmask_b32_e64 v111, 0x7f800000, v8, s10
	v_cmp_nlt_f32_e64 s10, 0x42b17218, v6
	v_cndmask_b32_e64 v110, 0x7f800000, v10, s10
	v_cmp_nlt_f32_e64 s10, 0x42b17218, v7
	s_delay_alu instid0(VALU_DEP_1) | instskip(SKIP_2) | instid1(VALU_DEP_3)
	v_cndmask_b32_e64 v112, 0x7f800000, v11, s10
	v_cmp_nlt_f32_e64 s10, 0x42b17218, v4
	v_cvt_f16_f32_e32 v4, v111
	v_cvt_f16_f32_e32 v6, v112
	s_delay_alu instid0(VALU_DEP_3) | instskip(SKIP_2) | instid1(VALU_DEP_3)
	v_cndmask_b32_e64 v113, 0x7f800000, v5, s10
	v_cvt_f16_f32_e32 v5, v110
	v_cmp_ngt_f32_e64 s10, 0xc2ce8ed0, v117
	v_cvt_f16_f32_e32 v7, v113
	s_delay_alu instid0(VALU_DEP_3) | instskip(NEXT) | instid1(VALU_DEP_2)
	v_pack_b32_f16 v5, v6, v5
	v_pack_b32_f16 v4, v7, v4
	ds_store_b64 v16, v[4:5]
	s_and_saveexec_b32 s37, s4
	s_cbranch_execz .LBB21_21
; %bb.20:                               ;   in Loop: Header=BB21_11 Depth=1
	v_add_co_u32 v4, s15, s35, v76
	s_delay_alu instid0(VALU_DEP_1) | instskip(NEXT) | instid1(VALU_DEP_2)
	v_add_co_ci_u32_e64 v5, s15, s36, v77, s15
	v_add_co_u32 v4, s15, v4, v121
	s_delay_alu instid0(VALU_DEP_1)
	v_add_co_ci_u32_e64 v5, s15, 0, v5, s15
	global_load_b128 v[4:7], v[4:5], off offset:128
	s_waitcnt vmcnt(0)
	ds_store_b128 v98, v[4:7]
.LBB21_21:                              ;   in Loop: Header=BB21_11 Depth=1
	s_or_b32 exec_lo, exec_lo, s37
	v_lshlrev_b32_e32 v122, 2, v97
	s_and_saveexec_b32 s37, s5
	s_cbranch_execz .LBB21_23
; %bb.22:                               ;   in Loop: Header=BB21_11 Depth=1
	v_add_co_u32 v4, s15, s35, v78
	s_delay_alu instid0(VALU_DEP_1) | instskip(NEXT) | instid1(VALU_DEP_2)
	v_add_co_ci_u32_e64 v5, s15, s36, v79, s15
	v_add_co_u32 v4, s15, v4, v122
	s_delay_alu instid0(VALU_DEP_1)
	v_add_co_ci_u32_e64 v5, s15, 0, v5, s15
	global_load_b128 v[4:7], v[4:5], off
	s_waitcnt vmcnt(0)
	ds_store_b128 v99, v[4:7]
.LBB21_23:                              ;   in Loop: Header=BB21_11 Depth=1
	s_or_b32 exec_lo, exec_lo, s37
	v_add_nc_u32_e32 v116, 0x1000, v96
	v_add_nc_u32_e32 v115, 0x1400, v96
	s_waitcnt lgkmcnt(0)
	s_barrier
	buffer_gl0_inv
	ds_load_2addr_b64 v[56:59], v116 offset0:128 offset1:148
	ds_load_b128 v[60:63], v94
	ds_load_b128 v[48:51], v94 offset:16
	v_add_nc_u32_e32 v114, 0x1800, v96
	ds_load_b128 v[44:47], v94 offset:32
	ds_load_b128 v[36:39], v94 offset:48
	ds_load_2addr_b64 v[64:67], v116 offset0:168 offset1:188
	ds_load_2addr_b64 v[52:55], v116 offset0:208 offset1:228
	;; [unrolled: 1-line block ×5, first 2 shown]
	ds_load_b128 v[32:35], v94 offset:64
	ds_load_b128 v[24:27], v94 offset:80
	ds_load_2addr_b64 v[12:15], v114 offset0:112 offset1:132
	ds_load_2addr_b64 v[4:7], v114 offset0:152 offset1:172
	ds_load_b128 v[16:19], v94 offset:96
	ds_load_b128 v[8:11], v94 offset:112
	s_or_b32 s15, s23, 16
	s_waitcnt lgkmcnt(0)
	s_mul_hi_i32 s37, s15, s26
	s_mul_i32 s36, s15, s26
	s_barrier
	s_lshl_b64 s[36:37], s[36:37], 2
	buffer_gl0_inv
	s_add_u32 s35, s20, s36
	s_addc_u32 s36, s21, s37
	s_and_saveexec_b32 s37, s4
	s_cbranch_execz .LBB21_25
; %bb.24:                               ;   in Loop: Header=BB21_11 Depth=1
	v_add_co_u32 v123, s15, s35, v76
	s_delay_alu instid0(VALU_DEP_1) | instskip(NEXT) | instid1(VALU_DEP_2)
	v_add_co_ci_u32_e64 v124, s15, s36, v77, s15
	v_add_co_u32 v123, s15, v123, v121
	s_delay_alu instid0(VALU_DEP_1)
	v_add_co_ci_u32_e64 v124, s15, 0, v124, s15
	global_load_b128 v[123:126], v[123:124], off offset:128
	s_waitcnt vmcnt(0)
	ds_store_b128 v98, v[123:126]
.LBB21_25:                              ;   in Loop: Header=BB21_11 Depth=1
	s_or_b32 exec_lo, exec_lo, s37
	s_and_saveexec_b32 s37, s5
	s_cbranch_execz .LBB21_27
; %bb.26:                               ;   in Loop: Header=BB21_11 Depth=1
	v_add_co_u32 v121, s15, s35, v78
	s_delay_alu instid0(VALU_DEP_1) | instskip(NEXT) | instid1(VALU_DEP_2)
	v_add_co_ci_u32_e64 v123, s15, s36, v79, s15
	v_add_co_u32 v121, s15, v121, v122
	s_delay_alu instid0(VALU_DEP_1)
	v_add_co_ci_u32_e64 v122, s15, 0, v123, s15
	global_load_b128 v[121:124], v[121:122], off
	s_waitcnt vmcnt(0)
	ds_store_b128 v99, v[121:124]
.LBB21_27:                              ;   in Loop: Header=BB21_11 Depth=1
	s_or_b32 exec_lo, exec_lo, s37
	v_dual_mul_f32 v121, 0x3fb8aa3b, v119 :: v_dual_mul_f32 v122, 0x3fb8aa3b, v120
	v_mul_f32_e32 v127, 0x3fb8aa3b, v118
	s_waitcnt lgkmcnt(0)
	s_barrier
	s_delay_alu instid0(VALU_DEP_2) | instskip(SKIP_4) | instid1(VALU_DEP_4)
	v_fma_f32 v124, 0x3fb8aa3b, v119, -v121
	v_rndne_f32_e32 v125, v121
	v_fma_f32 v126, 0x3fb8aa3b, v120, -v122
	v_rndne_f32_e32 v128, v122
	v_mul_f32_e32 v123, 0x3fb8aa3b, v117
	v_dual_fmac_f32 v124, 0x32a5705f, v119 :: v_dual_sub_f32 v119, v121, v125
	v_fma_f32 v129, 0x3fb8aa3b, v118, -v127
	v_rndne_f32_e32 v130, v127
	v_sub_f32_e32 v122, v122, v128
	v_rndne_f32_e32 v121, v123
	v_fmac_f32_e32 v126, 0x32a5705f, v120
	v_fma_f32 v120, 0x3fb8aa3b, v117, -v123
	v_fmac_f32_e32 v129, 0x32a5705f, v118
	buffer_gl0_inv
	v_fmac_f32_e32 v120, 0x32a5705f, v117
	v_sub_f32_e32 v117, v123, v121
	v_sub_f32_e32 v118, v127, v130
	v_dual_add_f32 v119, v119, v124 :: v_dual_add_f32 v122, v122, v126
	v_cvt_i32_f32_e32 v123, v128
	s_delay_alu instid0(VALU_DEP_3) | instskip(NEXT) | instid1(VALU_DEP_3)
	v_dual_add_f32 v117, v117, v120 :: v_dual_add_f32 v118, v118, v129
	v_exp_f32_e32 v119, v119
	s_delay_alu instid0(VALU_DEP_3) | instskip(SKIP_1) | instid1(VALU_DEP_2)
	v_exp_f32_e32 v120, v122
	v_cvt_i32_f32_e32 v122, v125
	v_exp_f32_e32 v117, v117
	v_exp_f32_e32 v118, v118
	v_cvt_i32_f32_e32 v121, v121
	v_cvt_i32_f32_e32 v124, v130
	v_ldexp_f32 v119, v119, v122
	s_delay_alu instid0(TRANS32_DEP_3)
	v_ldexp_f32 v120, v120, v123
	s_waitcnt_depctr 0xfff
	v_ldexp_f32 v117, v117, v121
	v_ldexp_f32 v118, v118, v124
	v_cndmask_b32_e64 v119, 0, v119, s6
	v_cndmask_b32_e64 v120, 0, v120, s8
	s_delay_alu instid0(VALU_DEP_4) | instskip(NEXT) | instid1(VALU_DEP_4)
	v_cndmask_b32_e64 v117, 0, v117, s10
	v_cndmask_b32_e64 v118, 0, v118, s13
	s_delay_alu instid0(VALU_DEP_4) | instskip(NEXT) | instid1(VALU_DEP_4)
	v_cndmask_b32_e64 v119, 0x7f800000, v119, s7
	v_cndmask_b32_e64 v120, 0x7f800000, v120, s9
	s_delay_alu instid0(VALU_DEP_4) | instskip(NEXT) | instid1(VALU_DEP_4)
	v_cndmask_b32_e64 v117, 0x7f800000, v117, s11
	v_cndmask_b32_e64 v118, 0x7f800000, v118, s12
	s_delay_alu instid0(VALU_DEP_4) | instskip(NEXT) | instid1(VALU_DEP_4)
	v_fmac_f32_e32 v113, v103, v119
	v_fmac_f32_e32 v111, v104, v120
	v_cvt_f16_f32_e32 v103, v119
	v_cvt_f16_f32_e32 v104, v120
	v_fmac_f32_e32 v110, v101, v118
	v_fmac_f32_e32 v112, v102, v117
	v_cvt_f16_f32_e32 v102, v117
	v_cvt_f16_f32_e32 v101, v118
	v_pk_mul_f16 v117, v56, v60 op_sel_hi:[1,0]
	v_pk_mul_f16 v89, v103, v89 op_sel_hi:[0,1]
	;; [unrolled: 1-line block ×4, first 2 shown]
	v_pk_mul_f16 v118, v56, v60 op_sel:[0,1]
	v_pk_mul_f16 v119, v56, v61 op_sel_hi:[1,0]
	v_pk_mul_f16 v81, v101, v81 op_sel_hi:[0,1]
	;; [unrolled: 1-line block ×3, first 2 shown]
	v_pk_fma_f16 v88, v103, v88, v117 op_sel_hi:[0,1,1]
	v_pk_fma_f16 v85, v104, v85, v118 op_sel_hi:[0,1,1]
	;; [unrolled: 1-line block ×3, first 2 shown]
	v_pk_fma_f16 v56, v56, v61, v81 op_sel:[0,1,0]
	v_pk_fma_f16 v81, v57, v60, v89 op_sel_hi:[1,0,1]
	v_pk_fma_f16 v60, v57, v60, v86 op_sel:[0,1,0]
	v_pk_fma_f16 v83, v57, v61, v83 op_sel_hi:[1,0,1]
	;; [unrolled: 2-line block ×55, first 2 shown]
	ds_load_2addr_b64 v[12:15], v116 offset0:128 offset1:148
	ds_load_b128 v[16:19], v94 offset:128
	v_pk_fma_f16 v21, v4, v8, v21 op_sel:[0,1,0]
	v_pk_fma_f16 v23, v4, v9, v23 op_sel_hi:[1,0,1]
	v_pk_fma_f16 v4, v4, v9, v24 op_sel:[0,1,0]
	v_pk_fma_f16 v20, v5, v8, v20 op_sel_hi:[1,0,1]
	;; [unrolled: 2-line block ×7, first 2 shown]
	v_pk_fma_f16 v35, v7, v11, v5 op_sel:[0,1,0]
	ds_load_b128 v[4:7], v94 offset:144
	ds_load_2addr_b64 v[8:11], v116 offset0:168 offset1:188
	ds_load_b128 v[20:23], v94 offset:160
	ds_load_b128 v[24:27], v94 offset:176
	s_waitcnt lgkmcnt(4)
	v_pk_fma_f16 v28, v12, v16, v28 op_sel_hi:[1,0,1]
	v_pk_fma_f16 v29, v12, v16, v29 op_sel:[0,1,0]
	v_pk_fma_f16 v30, v12, v17, v30 op_sel_hi:[1,0,1]
	v_pk_fma_f16 v12, v12, v17, v31 op_sel:[0,1,0]
	;; [unrolled: 2-line block ×7, first 2 shown]
	ds_load_2addr_b64 v[28:31], v116 offset0:208 offset1:228
	v_pk_fma_f16 v18, v15, v19, v32 op_sel_hi:[1,0,1]
	v_pk_fma_f16 v13, v15, v19, v13 op_sel:[0,1,0]
	s_waitcnt lgkmcnt(3)
	v_pk_fma_f16 v15, v8, v4, v17 op_sel_hi:[1,0,1]
	v_pk_fma_f16 v17, v8, v4, v33 op_sel:[0,1,0]
	v_pk_fma_f16 v19, v8, v5, v34 op_sel_hi:[1,0,1]
	v_pk_fma_f16 v8, v8, v5, v12 op_sel:[0,1,0]
	;; [unrolled: 2-line block ×7, first 2 shown]
	v_pk_fma_f16 v6, v11, v7, v14 op_sel_hi:[1,0,1]
	ds_load_2addr_b64 v[12:15], v115 offset0:120 offset1:140
	v_pk_fma_f16 v5, v11, v7, v5 op_sel:[0,1,0]
	s_waitcnt lgkmcnt(1)
	v_pk_fma_f16 v7, v28, v20, v9 op_sel_hi:[1,0,1]
	v_pk_fma_f16 v9, v28, v20, v16 op_sel:[0,1,0]
	v_pk_fma_f16 v11, v28, v21, v17 op_sel_hi:[1,0,1]
	v_pk_fma_f16 v8, v28, v21, v8 op_sel:[0,1,0]
	;; [unrolled: 2-line block ×7, first 2 shown]
	v_pk_fma_f16 v28, v31, v23, v6 op_sel_hi:[1,0,1]
	ds_load_2addr_b64 v[4:7], v114 offset0:32 offset1:52
	ds_load_b128 v[8:11], v94 offset:192
	v_pk_fma_f16 v16, v31, v23, v16 op_sel:[0,1,0]
	s_waitcnt lgkmcnt(2)
	v_pk_fma_f16 v17, v12, v24, v17 op_sel_hi:[1,0,1]
	v_pk_fma_f16 v18, v12, v24, v18 op_sel:[0,1,0]
	v_pk_fma_f16 v19, v12, v25, v19 op_sel_hi:[1,0,1]
	v_pk_fma_f16 v12, v12, v25, v20 op_sel:[0,1,0]
	;; [unrolled: 2-line block ×7, first 2 shown]
	v_pk_fma_f16 v29, v15, v27, v22 op_sel_hi:[1,0,1]
	ds_load_2addr_b64 v[16:19], v114 offset0:72 offset1:92
	ds_load_b128 v[20:23], v94 offset:208
	v_pk_fma_f16 v13, v15, v27, v13 op_sel:[0,1,0]
	s_waitcnt lgkmcnt(2)
	v_pk_fma_f16 v15, v4, v8, v24 op_sel_hi:[1,0,1]
	v_pk_fma_f16 v24, v4, v8, v25 op_sel:[0,1,0]
	v_pk_fma_f16 v25, v4, v9, v28 op_sel_hi:[1,0,1]
	v_pk_fma_f16 v4, v4, v9, v12 op_sel:[0,1,0]
	;; [unrolled: 2-line block ×7, first 2 shown]
	ds_load_2addr_b64 v[12:15], v114 offset0:112 offset1:132
	ds_load_b128 v[24:27], v94 offset:224
	v_pk_fma_f16 v10, v7, v11, v28 op_sel_hi:[1,0,1]
	v_pk_fma_f16 v5, v7, v11, v5 op_sel:[0,1,0]
	s_waitcnt lgkmcnt(2)
	v_pk_fma_f16 v7, v16, v20, v9 op_sel_hi:[1,0,1]
	v_pk_fma_f16 v9, v16, v20, v29 op_sel:[0,1,0]
	v_pk_fma_f16 v11, v16, v21, v30 op_sel_hi:[1,0,1]
	v_pk_fma_f16 v4, v16, v21, v4 op_sel:[0,1,0]
	;; [unrolled: 2-line block ×8, first 2 shown]
	ds_load_b128 v[4:7], v94 offset:240
	ds_load_2addr_b64 v[8:11], v114 offset0:152 offset1:172
	s_waitcnt lgkmcnt(0)
	s_barrier
	buffer_gl0_inv
	s_load_b32 s6, s[16:17], 0x4
	v_pk_fma_f16 v16, v12, v24, v16 op_sel_hi:[1,0,1]
	v_pk_fma_f16 v17, v12, v24, v17 op_sel:[0,1,0]
	v_pk_fma_f16 v20, v12, v25, v20 op_sel_hi:[1,0,1]
	v_pk_fma_f16 v12, v12, v25, v18 op_sel:[0,1,0]
	;; [unrolled: 2-line block ×12, first 2 shown]
	s_waitcnt lgkmcnt(0)
	s_lshl_b32 s6, s6, 5
	v_pk_fma_f16 v88, v10, v6, v15 op_sel_hi:[1,0,1]
	v_pk_fma_f16 v85, v10, v6, v16 op_sel:[0,1,0]
	v_pk_fma_f16 v82, v10, v7, v17 op_sel_hi:[1,0,1]
	v_pk_fma_f16 v81, v10, v7, v8 op_sel:[0,1,0]
	;; [unrolled: 2-line block ×4, first 2 shown]
	s_add_i32 s23, s6, s23
	s_delay_alu instid0(SALU_CYCLE_1)
	s_cmp_ge_i32 s23, s34
	s_cbranch_scc1 .LBB21_29
; %bb.28:                               ;   in Loop: Header=BB21_11 Depth=1
	v_dual_mov_b32 v4, v0 :: v_dual_mov_b32 v7, v2
	v_dual_mov_b32 v6, v1 :: v_dual_mov_b32 v5, v3
	;; [unrolled: 1-line block ×4, first 2 shown]
	s_branch .LBB21_11
.LBB21_29:
	v_mov_b32_e32 v6, v84
.LBB21_30:
	v_cmp_lt_i32_e32 vcc_lo, v105, v87
	s_cmp_lg_u64 s[24:25], 0
	s_cselect_b32 s3, -1, 0
	s_cmp_eq_u32 s14, 0
	v_cndmask_b32_e32 v4, v6, v105, vcc_lo
	v_cmp_lt_i32_e32 vcc_lo, v106, v87
	s_cselect_b32 s4, -1, 0
	s_delay_alu instid0(SALU_CYCLE_1) | instskip(NEXT) | instid1(VALU_DEP_2)
	s_and_b32 s3, s4, s3
	v_dual_cndmask_b32 v9, v6, v106 :: v_dual_lshlrev_b32 v4, 2, v4
	v_cmp_lt_i32_e32 vcc_lo, v107, v87
	ds_bpermute_b32 v8, v4, v112
	ds_bpermute_b32 v5, v4, v113
	;; [unrolled: 1-line block ×4, first 2 shown]
	s_waitcnt lgkmcnt(3)
	v_dual_add_f32 v8, v112, v8 :: v_dual_lshlrev_b32 v9, 2, v9
	s_waitcnt lgkmcnt(2)
	v_add_f32_e32 v5, v113, v5
	s_waitcnt lgkmcnt(0)
	v_dual_add_f32 v7, v111, v7 :: v_dual_add_f32 v4, v110, v4
	ds_bpermute_b32 v12, v9, v8
	ds_bpermute_b32 v10, v9, v5
	;; [unrolled: 1-line block ×4, first 2 shown]
	v_cndmask_b32_e32 v13, v6, v107, vcc_lo
	v_cmp_lt_i32_e32 vcc_lo, v108, v87
	s_waitcnt lgkmcnt(3)
	s_delay_alu instid0(VALU_DEP_2)
	v_dual_add_f32 v8, v8, v12 :: v_dual_lshlrev_b32 v13, 2, v13
	s_waitcnt lgkmcnt(0)
	v_dual_add_f32 v5, v5, v10 :: v_dual_add_f32 v4, v4, v9
	v_add_f32_e32 v7, v7, v11
	ds_bpermute_b32 v11, v13, v8
	s_waitcnt lgkmcnt(0)
	v_add_f32_e32 v8, v8, v11
	ds_bpermute_b32 v12, v13, v4
	ds_bpermute_b32 v9, v13, v5
	s_waitcnt lgkmcnt(1)
	v_add_f32_e32 v4, v4, v12
	ds_bpermute_b32 v10, v13, v7
	v_cndmask_b32_e32 v13, v6, v108, vcc_lo
	v_cmp_lt_i32_e32 vcc_lo, v109, v87
	v_cndmask_b32_e32 v6, v6, v109, vcc_lo
	s_and_b32 vcc_lo, exec_lo, s3
	s_delay_alu instid0(VALU_DEP_1)
	v_lshlrev_b32_e32 v6, 2, v6
	v_lshlrev_b32_e32 v13, 2, v13
	ds_bpermute_b32 v11, v13, v8
	s_waitcnt lgkmcnt(0)
	v_dual_add_f32 v7, v7, v10 :: v_dual_add_f32 v8, v8, v11
	ds_bpermute_b32 v12, v13, v4
	ds_bpermute_b32 v10, v13, v7
	;; [unrolled: 1-line block ×3, first 2 shown]
	v_add_f32_e32 v5, v5, v9
	ds_bpermute_b32 v9, v13, v5
	s_waitcnt lgkmcnt(0)
	v_add_f32_e32 v5, v5, v9
	v_add_f32_e32 v9, v4, v12
	ds_bpermute_b32 v4, v6, v5
	v_add_f32_e32 v7, v7, v10
	ds_bpermute_b32 v12, v6, v9
	s_waitcnt lgkmcnt(1)
	v_add_f32_e32 v4, v5, v4
	ds_bpermute_b32 v10, v6, v7
	s_waitcnt lgkmcnt(0)
	v_dual_add_f32 v6, v8, v11 :: v_dual_add_f32 v5, v7, v10
	v_add_f32_e32 v7, v9, v12
	s_cbranch_vccz .LBB21_33
; %bb.31:
	s_ashr_i32 s23, s22, 31
	v_dual_mov_b32 v8, 0 :: v_dual_max_f32 v13, v1, v1
	s_lshl_b64 s[4:5], s[22:23], 2
	s_delay_alu instid0(SALU_CYCLE_1)
	s_add_u32 s4, s24, s4
	s_addc_u32 s5, s25, s5
	global_load_b128 v[8:11], v8, s[4:5]
	v_max_f32_e32 v12, v0, v0
	s_waitcnt vmcnt(0)
	v_dual_max_f32 v14, v2, v2 :: v_dual_max_f32 v15, v8, v8
	v_dual_max_f32 v17, v9, v9 :: v_dual_max_f32 v16, v3, v3
	;; [unrolled: 1-line block ×3, first 2 shown]
	s_delay_alu instid0(VALU_DEP_2) | instskip(NEXT) | instid1(VALU_DEP_2)
	v_dual_max_f32 v13, v13, v17 :: v_dual_max_f32 v12, v12, v15
	v_dual_max_f32 v14, v14, v18 :: v_dual_max_f32 v15, v16, v19
	s_delay_alu instid0(VALU_DEP_2) | instskip(SKIP_1) | instid1(VALU_DEP_3)
	v_dual_sub_f32 v17, v1, v13 :: v_dual_sub_f32 v16, v0, v12
	v_dual_sub_f32 v9, v9, v13 :: v_dual_sub_f32 v8, v8, v12
	;; [unrolled: 1-line block ×3, first 2 shown]
	v_dual_sub_f32 v11, v11, v15 :: v_dual_mov_b32 v0, v12
	v_dual_mov_b32 v3, v15 :: v_dual_sub_f32 v10, v10, v14
	v_dual_mov_b32 v1, v13 :: v_dual_mov_b32 v2, v14
	v_mul_f32_e32 v13, 0x3fb8aa3b, v8
	v_dual_mul_f32 v12, 0x3fb8aa3b, v16 :: v_dual_mul_f32 v15, 0x3fb8aa3b, v9
	s_delay_alu instid0(VALU_DEP_4) | instskip(NEXT) | instid1(VALU_DEP_3)
	v_dual_mul_f32 v14, 0x3fb8aa3b, v17 :: v_dual_mul_f32 v21, 0x3fb8aa3b, v10
	v_fma_f32 v26, 0x3fb8aa3b, v8, -v13
	s_delay_alu instid0(VALU_DEP_3)
	v_fma_f32 v24, 0x3fb8aa3b, v16, -v12
	v_rndne_f32_e32 v25, v12
	v_rndne_f32_e32 v27, v13
	;; [unrolled: 1-line block ×3, first 2 shown]
	v_fma_f32 v30, 0x3fb8aa3b, v9, -v15
	v_fmac_f32_e32 v24, 0x32a5705f, v16
	v_sub_f32_e32 v12, v12, v25
	v_fma_f32 v34, 0x3fb8aa3b, v10, -v21
	v_sub_f32_e32 v15, v15, v31
	v_rndne_f32_e32 v35, v21
	v_dual_fmac_f32 v26, 0x32a5705f, v8 :: v_dual_sub_f32 v13, v13, v27
	v_add_f32_e32 v12, v12, v24
	v_dual_mul_f32 v20, 0x3fb8aa3b, v18 :: v_dual_mul_f32 v23, 0x3fb8aa3b, v11
	v_fma_f32 v28, 0x3fb8aa3b, v17, -v14
	v_rndne_f32_e32 v29, v14
	v_dual_fmac_f32 v34, 0x32a5705f, v10 :: v_dual_sub_f32 v21, v21, v35
	v_dual_mul_f32 v22, 0x3fb8aa3b, v19 :: v_dual_add_f32 v13, v13, v26
	v_exp_f32_e32 v12, v12
	v_rndne_f32_e32 v39, v23
	v_cvt_i32_f32_e32 v25, v25
	v_fmac_f32_e32 v28, 0x32a5705f, v17
	v_dual_fmac_f32 v30, 0x32a5705f, v9 :: v_dual_add_f32 v21, v21, v34
	v_sub_f32_e32 v14, v14, v29
	v_exp_f32_e32 v13, v13
	v_fma_f32 v32, 0x3fb8aa3b, v18, -v20
	s_delay_alu instid0(VALU_DEP_3)
	v_add_f32_e32 v15, v15, v30
	v_rndne_f32_e32 v33, v20
	v_fma_f32 v38, 0x3fb8aa3b, v11, -v23
	v_cvt_i32_f32_e32 v27, v27
	v_dual_sub_f32 v23, v23, v39 :: v_dual_add_f32 v14, v14, v28
	v_ldexp_f32 v12, v12, v25
	v_cmp_ngt_f32_e32 vcc_lo, 0xc2ce8ed0, v16
	v_fmac_f32_e32 v38, 0x32a5705f, v11
	v_sub_f32_e32 v20, v20, v33
	v_exp_f32_e32 v14, v14
	v_ldexp_f32 v13, v13, v27
	v_cndmask_b32_e32 v12, 0, v12, vcc_lo
	v_cmp_ngt_f32_e32 vcc_lo, 0xc2ce8ed0, v8
	v_fmac_f32_e32 v32, 0x32a5705f, v18
	v_cvt_i32_f32_e32 v29, v29
	v_add_f32_e32 v23, v23, v38
	v_exp_f32_e32 v15, v15
	s_delay_alu instid0(VALU_DEP_3)
	v_dual_cndmask_b32 v13, 0, v13 :: v_dual_add_f32 v20, v20, v32
	v_cvt_i32_f32_e32 v31, v31
	v_ldexp_f32 v14, v14, v29
	v_cmp_ngt_f32_e32 vcc_lo, 0xc2ce8ed0, v17
	v_cvt_i32_f32_e32 v33, v33
	v_exp_f32_e32 v20, v20
	v_exp_f32_e32 v21, v21
	;; [unrolled: 1-line block ×3, first 2 shown]
	v_ldexp_f32 v15, v15, v31
	v_cndmask_b32_e32 v14, 0, v14, vcc_lo
	v_cmp_ngt_f32_e32 vcc_lo, 0xc2ce8ed0, v9
	v_fma_f32 v36, 0x3fb8aa3b, v19, -v22
	v_rndne_f32_e32 v37, v22
	v_cvt_i32_f32_e32 v35, v35
	v_cvt_i32_f32_e32 v26, v39
	v_ldexp_f32 v20, v20, v33
	v_cndmask_b32_e32 v15, 0, v15, vcc_lo
	v_cmp_ngt_f32_e32 vcc_lo, 0xc2ce8ed0, v18
	v_ldexp_f32 v21, v21, v35
	v_ldexp_f32 v23, v23, v26
	v_sub_f32_e32 v22, v22, v37
	v_cvt_i32_f32_e32 v24, v37
	v_cndmask_b32_e32 v20, 0, v20, vcc_lo
	v_cmp_ngt_f32_e32 vcc_lo, 0xc2ce8ed0, v10
	v_dual_fmac_f32 v36, 0x32a5705f, v19 :: v_dual_cndmask_b32 v21, 0, v21
	s_delay_alu instid0(VALU_DEP_1) | instskip(SKIP_1) | instid1(VALU_DEP_2)
	v_add_f32_e32 v22, v22, v36
	v_cmp_ngt_f32_e32 vcc_lo, 0xc2ce8ed0, v19
	v_exp_f32_e32 v22, v22
	s_waitcnt_depctr 0xfff
	v_ldexp_f32 v22, v22, v24
	s_delay_alu instid0(VALU_DEP_1)
	v_cndmask_b32_e32 v22, 0, v22, vcc_lo
	v_cmp_ngt_f32_e32 vcc_lo, 0xc2ce8ed0, v11
	v_cndmask_b32_e32 v23, 0, v23, vcc_lo
	v_cmp_nlt_f32_e32 vcc_lo, 0x42b17218, v16
	v_cndmask_b32_e32 v12, 0x7f800000, v12, vcc_lo
	v_cmp_nlt_f32_e32 vcc_lo, 0x42b17218, v8
	;; [unrolled: 2-line block ×3, first 2 shown]
	s_delay_alu instid0(VALU_DEP_2) | instskip(SKIP_4) | instid1(VALU_DEP_3)
	v_dual_fmac_f32 v8, v4, v12 :: v_dual_cndmask_b32 v13, 0x7f800000, v14
	v_cmp_nlt_f32_e32 vcc_lo, 0x42b17218, v9
	v_cvt_f16_f32_e32 v4, v12
	v_cndmask_b32_e32 v9, 0x7f800000, v15, vcc_lo
	v_cmp_nlt_f32_e32 vcc_lo, 0x42b17218, v18
	v_pk_mul_f16 v88, v4, v88 op_sel_hi:[0,1]
	v_pk_mul_f16 v89, v4, v89 op_sel_hi:[0,1]
	s_delay_alu instid0(VALU_DEP_4)
	v_dual_mov_b32 v4, v8 :: v_dual_fmac_f32 v9, v5, v13
	v_cndmask_b32_e32 v14, 0x7f800000, v20, vcc_lo
	v_cmp_nlt_f32_e32 vcc_lo, 0x42b17218, v10
	v_cvt_f16_f32_e32 v5, v13
	v_cndmask_b32_e32 v10, 0x7f800000, v21, vcc_lo
	v_cmp_nlt_f32_e32 vcc_lo, 0x42b17218, v19
	s_delay_alu instid0(VALU_DEP_3) | instskip(SKIP_1) | instid1(VALU_DEP_4)
	v_pk_mul_f16 v85, v5, v85 op_sel_hi:[0,1]
	v_pk_mul_f16 v86, v5, v86 op_sel_hi:[0,1]
	v_dual_mov_b32 v5, v9 :: v_dual_fmac_f32 v10, v6, v14
	v_cndmask_b32_e32 v15, 0x7f800000, v22, vcc_lo
	v_cmp_nlt_f32_e32 vcc_lo, 0x42b17218, v11
	v_cvt_f16_f32_e32 v6, v14
	v_cndmask_b32_e32 v11, 0x7f800000, v23, vcc_lo
	s_delay_alu instid0(VALU_DEP_2) | instskip(SKIP_1) | instid1(VALU_DEP_3)
	v_pk_mul_f16 v82, v6, v82 op_sel_hi:[0,1]
	v_pk_mul_f16 v83, v6, v83 op_sel_hi:[0,1]
	v_dual_mov_b32 v6, v10 :: v_dual_fmac_f32 v11, v7, v15
	v_cvt_f16_f32_e32 v7, v15
	s_delay_alu instid0(VALU_DEP_1) | instskip(SKIP_1) | instid1(VALU_DEP_4)
	v_pk_mul_f16 v81, v7, v81 op_sel_hi:[0,1]
	v_pk_mul_f16 v80, v7, v80 op_sel_hi:[0,1]
	v_mov_b32_e32 v7, v11
	s_mov_b32 s3, exec_lo
	v_cmpx_gt_i32_e64 s38, v70
	s_cbranch_execnz .LBB21_34
.LBB21_32:
	s_nop 0
	s_sendmsg sendmsg(MSG_DEALLOC_VGPRS)
	s_endpgm
.LBB21_33:
	s_delay_alu instid0(VALU_DEP_1) | instskip(NEXT) | instid1(VALU_DEP_3)
	v_dual_mov_b32 v11, v7 :: v_dual_mov_b32 v10, v6
	v_dual_mov_b32 v9, v5 :: v_dual_mov_b32 v8, v4
	s_mov_b32 s3, exec_lo
	v_cmpx_gt_i32_e64 s38, v70
	s_cbranch_execz .LBB21_32
.LBB21_34:
	s_load_b32 s0, s[0:1], 0xd4
	v_mov_b32_e32 v13, 1.0
	s_waitcnt lgkmcnt(0)
	s_cmp_lg_u32 s0, 1
	s_cselect_b32 s1, -1, 0
	s_cmp_eq_u32 s0, 1
	s_cselect_b32 s3, -1, 0
	s_and_b32 vcc_lo, exec_lo, s1
	s_cbranch_vccnz .LBB21_36
; %bb.35:
	v_div_scale_f32 v12, null, v4, v4, 1.0
	s_delay_alu instid0(VALU_DEP_1) | instskip(SKIP_2) | instid1(VALU_DEP_1)
	v_rcp_f32_e32 v13, v12
	s_waitcnt_depctr 0xfff
	v_fma_f32 v14, -v12, v13, 1.0
	v_fmac_f32_e32 v13, v14, v13
	v_div_scale_f32 v14, vcc_lo, 1.0, v4, 1.0
	s_delay_alu instid0(VALU_DEP_1) | instskip(NEXT) | instid1(VALU_DEP_1)
	v_mul_f32_e32 v15, v14, v13
	v_fma_f32 v16, -v12, v15, v14
	s_delay_alu instid0(VALU_DEP_1) | instskip(NEXT) | instid1(VALU_DEP_1)
	v_fmac_f32_e32 v15, v16, v13
	v_fma_f32 v12, -v12, v15, v14
	s_delay_alu instid0(VALU_DEP_1) | instskip(NEXT) | instid1(VALU_DEP_1)
	v_div_fmas_f32 v12, v12, v13, v15
	v_div_fixup_f32 v13, v12, v4, 1.0
.LBB21_36:
	v_mad_u64_u32 v[14:15], null, s33, s38, v[70:71]
	s_delay_alu instid0(VALU_DEP_1) | instskip(NEXT) | instid1(VALU_DEP_1)
	v_mad_u64_u32 v[15:16], null, v14, s39, s[22:23]
	v_mul_lo_u32 v4, s0, v15
	s_delay_alu instid0(VALU_DEP_1)
	v_add_nc_u32_e32 v12, s14, v4
	s_and_saveexec_b32 s4, s2
	s_cbranch_execz .LBB21_38
; %bb.37:
	v_lshrrev_b32_e32 v16, 16, v89
	s_delay_alu instid0(VALU_DEP_2) | instskip(SKIP_2) | instid1(VALU_DEP_4)
	v_mad_u64_u32 v[14:15], null, 0x50, v12, v[68:69]
	v_lshrrev_b32_e32 v17, 16, v88
	v_cvt_f32_f16_e32 v19, v89
	v_cvt_f32_f16_e32 v16, v16
	v_mov_b32_e32 v15, 0
	v_cvt_f32_f16_e32 v21, v88
	v_cvt_f32_f16_e32 v20, v17
	s_delay_alu instid0(VALU_DEP_4) | instskip(NEXT) | instid1(VALU_DEP_4)
	v_mul_f32_e32 v16, v13, v16
	v_lshlrev_b64 v[17:18], 2, v[14:15]
	v_mul_f32_e32 v15, v13, v19
	s_delay_alu instid0(VALU_DEP_4) | instskip(SKIP_1) | instid1(VALU_DEP_4)
	v_mul_f32_e32 v14, v13, v20
	v_mul_f32_e32 v13, v13, v21
	v_add_co_u32 v17, vcc_lo, s28, v17
	v_add_co_ci_u32_e32 v18, vcc_lo, s29, v18, vcc_lo
	global_store_b128 v[17:18], v[13:16], off
.LBB21_38:
	s_or_b32 exec_lo, exec_lo, s4
	v_cmp_eq_u32_e32 vcc_lo, 0, v69
	s_and_b32 s1, vcc_lo, s1
	s_delay_alu instid0(SALU_CYCLE_1)
	s_and_saveexec_b32 s4, s1
	s_cbranch_execz .LBB21_40
; %bb.39:
	v_ashrrev_i32_e32 v13, 31, v12
	v_mov_b32_e32 v14, v0
	v_mov_b32_e32 v15, v8
	s_delay_alu instid0(VALU_DEP_3) | instskip(NEXT) | instid1(VALU_DEP_1)
	v_lshlrev_b64 v[12:13], 3, v[12:13]
	v_add_co_u32 v12, vcc_lo, s30, v12
	s_delay_alu instid0(VALU_DEP_2)
	v_add_co_ci_u32_e32 v13, vcc_lo, s31, v13, vcc_lo
	global_store_b64 v[12:13], v[14:15], off
.LBB21_40:
	s_or_b32 exec_lo, exec_lo, s4
	v_cndmask_b32_e64 v12, 0, 1, s3
	v_mov_b32_e32 v8, 1.0
	s_and_not1_b32 vcc_lo, exec_lo, s3
	s_cbranch_vccz .LBB21_51
; %bb.41:
	v_add_nc_u32_e32 v0, s0, v4
	s_delay_alu instid0(VALU_DEP_1)
	v_add_nc_u32_e32 v4, s14, v0
	s_and_saveexec_b32 s3, s2
	s_cbranch_execnz .LBB21_52
.LBB21_42:
	s_or_b32 exec_lo, exec_lo, s3
	s_and_saveexec_b32 s3, s1
	s_cbranch_execz .LBB21_44
.LBB21_43:
	v_ashrrev_i32_e32 v5, 31, v4
	v_mov_b32_e32 v8, v1
	s_delay_alu instid0(VALU_DEP_2) | instskip(NEXT) | instid1(VALU_DEP_1)
	v_lshlrev_b64 v[4:5], 3, v[4:5]
	v_add_co_u32 v4, vcc_lo, s30, v4
	s_delay_alu instid0(VALU_DEP_2)
	v_add_co_ci_u32_e32 v5, vcc_lo, s31, v5, vcc_lo
	global_store_b64 v[4:5], v[8:9], off
.LBB21_44:
	s_or_b32 exec_lo, exec_lo, s3
	v_cmp_ne_u32_e32 vcc_lo, 1, v12
	v_mov_b32_e32 v1, 1.0
	s_cbranch_vccz .LBB21_53
; %bb.45:
	v_add_nc_u32_e32 v4, s0, v0
	s_delay_alu instid0(VALU_DEP_1)
	v_add_nc_u32_e32 v0, s14, v4
	s_and_saveexec_b32 s3, s2
	s_cbranch_execnz .LBB21_54
.LBB21_46:
	s_or_b32 exec_lo, exec_lo, s3
	s_and_saveexec_b32 s3, s1
	s_cbranch_execz .LBB21_48
.LBB21_47:
	v_ashrrev_i32_e32 v1, 31, v0
	v_mov_b32_e32 v9, v2
	s_delay_alu instid0(VALU_DEP_2) | instskip(NEXT) | instid1(VALU_DEP_1)
	v_lshlrev_b64 v[0:1], 3, v[0:1]
	v_add_co_u32 v0, vcc_lo, s30, v0
	s_delay_alu instid0(VALU_DEP_2)
	v_add_co_ci_u32_e32 v1, vcc_lo, s31, v1, vcc_lo
	global_store_b64 v[0:1], v[9:10], off
.LBB21_48:
	s_or_b32 exec_lo, exec_lo, s3
	v_cmp_ne_u32_e32 vcc_lo, 1, v12
	v_mov_b32_e32 v1, 1.0
	s_cbranch_vccz .LBB21_55
; %bb.49:
	v_add3_u32 v0, s14, s0, v4
	s_and_saveexec_b32 s0, s2
	s_cbranch_execnz .LBB21_56
.LBB21_50:
	s_or_b32 exec_lo, exec_lo, s0
	s_delay_alu instid0(SALU_CYCLE_1)
	s_and_b32 exec_lo, exec_lo, s1
	s_cbranch_execz .LBB21_32
	s_branch .LBB21_57
.LBB21_51:
	v_div_scale_f32 v0, null, v5, v5, 1.0
	s_delay_alu instid0(VALU_DEP_1) | instskip(SKIP_2) | instid1(VALU_DEP_1)
	v_rcp_f32_e32 v8, v0
	s_waitcnt_depctr 0xfff
	v_fma_f32 v13, -v0, v8, 1.0
	v_fmac_f32_e32 v8, v13, v8
	v_div_scale_f32 v13, vcc_lo, 1.0, v5, 1.0
	s_delay_alu instid0(VALU_DEP_1) | instskip(NEXT) | instid1(VALU_DEP_1)
	v_mul_f32_e32 v14, v13, v8
	v_fma_f32 v15, -v0, v14, v13
	s_delay_alu instid0(VALU_DEP_1) | instskip(NEXT) | instid1(VALU_DEP_1)
	v_fmac_f32_e32 v14, v15, v8
	v_fma_f32 v0, -v0, v14, v13
	s_delay_alu instid0(VALU_DEP_1) | instskip(NEXT) | instid1(VALU_DEP_1)
	v_div_fmas_f32 v0, v0, v8, v14
	v_div_fixup_f32 v8, v0, v5, 1.0
	v_add_nc_u32_e32 v0, s0, v4
	s_delay_alu instid0(VALU_DEP_1)
	v_add_nc_u32_e32 v4, s14, v0
	s_and_saveexec_b32 s3, s2
	s_cbranch_execz .LBB21_42
.LBB21_52:
	s_delay_alu instid0(VALU_DEP_1)
	v_mad_u64_u32 v[13:14], null, 0x50, v4, v[68:69]
	v_lshrrev_b32_e32 v15, 16, v85
	v_cvt_f32_f16_e32 v19, v86
	v_mov_b32_e32 v14, 0
	v_lshrrev_b32_e32 v5, 16, v86
	v_cvt_f32_f16_e32 v21, v85
	v_cvt_f32_f16_e32 v20, v15
	v_mul_f32_e32 v15, v8, v19
	v_lshlrev_b64 v[17:18], 2, v[13:14]
	v_cvt_f32_f16_e32 v5, v5
	v_mul_f32_e32 v13, v8, v21
	v_mul_f32_e32 v14, v8, v20
	s_delay_alu instid0(VALU_DEP_3)
	v_mul_f32_e32 v16, v8, v5
	v_add_co_u32 v17, vcc_lo, s28, v17
	v_add_co_ci_u32_e32 v18, vcc_lo, s29, v18, vcc_lo
	global_store_b128 v[17:18], v[13:16], off
	s_or_b32 exec_lo, exec_lo, s3
	s_and_saveexec_b32 s3, s1
	s_cbranch_execnz .LBB21_43
	s_branch .LBB21_44
.LBB21_53:
	v_div_scale_f32 v1, null, v6, v6, 1.0
	s_delay_alu instid0(VALU_DEP_1) | instskip(SKIP_2) | instid1(VALU_DEP_1)
	v_rcp_f32_e32 v4, v1
	s_waitcnt_depctr 0xfff
	v_fma_f32 v5, -v1, v4, 1.0
	v_fmac_f32_e32 v4, v5, v4
	v_div_scale_f32 v5, vcc_lo, 1.0, v6, 1.0
	s_delay_alu instid0(VALU_DEP_1) | instskip(NEXT) | instid1(VALU_DEP_1)
	v_mul_f32_e32 v8, v5, v4
	v_fma_f32 v9, -v1, v8, v5
	s_delay_alu instid0(VALU_DEP_1) | instskip(NEXT) | instid1(VALU_DEP_1)
	v_fmac_f32_e32 v8, v9, v4
	v_fma_f32 v1, -v1, v8, v5
	s_delay_alu instid0(VALU_DEP_1) | instskip(NEXT) | instid1(VALU_DEP_1)
	v_div_fmas_f32 v1, v1, v4, v8
	v_div_fixup_f32 v1, v1, v6, 1.0
	v_add_nc_u32_e32 v4, s0, v0
	s_delay_alu instid0(VALU_DEP_1)
	v_add_nc_u32_e32 v0, s14, v4
	s_and_saveexec_b32 s3, s2
	s_cbranch_execz .LBB21_46
.LBB21_54:
	s_delay_alu instid0(VALU_DEP_1)
	v_mad_u64_u32 v[5:6], null, 0x50, v0, v[68:69]
	v_cvt_f32_f16_e32 v13, v83
	v_mov_b32_e32 v6, 0
	v_lshrrev_b32_e32 v8, 16, v83
	v_lshrrev_b32_e32 v9, 16, v82
	v_cvt_f32_f16_e32 v17, v82
	v_mul_f32_e32 v15, v1, v13
	v_lshlrev_b64 v[5:6], 2, v[5:6]
	v_cvt_f32_f16_e32 v8, v8
	v_cvt_f32_f16_e32 v9, v9
	v_mul_f32_e32 v13, v1, v17
	s_delay_alu instid0(VALU_DEP_3) | instskip(SKIP_1) | instid1(VALU_DEP_4)
	v_mul_f32_e32 v16, v1, v8
	v_add_co_u32 v5, vcc_lo, s28, v5
	v_mul_f32_e32 v14, v1, v9
	v_add_co_ci_u32_e32 v6, vcc_lo, s29, v6, vcc_lo
	global_store_b128 v[5:6], v[13:16], off
	s_or_b32 exec_lo, exec_lo, s3
	s_and_saveexec_b32 s3, s1
	s_cbranch_execnz .LBB21_47
	s_branch .LBB21_48
.LBB21_55:
	v_div_scale_f32 v0, null, v7, v7, 1.0
	s_delay_alu instid0(VALU_DEP_1) | instskip(SKIP_2) | instid1(VALU_DEP_1)
	v_rcp_f32_e32 v1, v0
	s_waitcnt_depctr 0xfff
	v_fma_f32 v2, -v0, v1, 1.0
	v_fmac_f32_e32 v1, v2, v1
	v_div_scale_f32 v2, vcc_lo, 1.0, v7, 1.0
	s_delay_alu instid0(VALU_DEP_1) | instskip(NEXT) | instid1(VALU_DEP_1)
	v_mul_f32_e32 v5, v2, v1
	v_fma_f32 v6, -v0, v5, v2
	s_delay_alu instid0(VALU_DEP_1) | instskip(NEXT) | instid1(VALU_DEP_1)
	v_fmac_f32_e32 v5, v6, v1
	v_fma_f32 v0, -v0, v5, v2
	s_delay_alu instid0(VALU_DEP_1) | instskip(NEXT) | instid1(VALU_DEP_1)
	v_div_fmas_f32 v0, v0, v1, v5
	v_div_fixup_f32 v1, v0, v7, 1.0
	v_add3_u32 v0, s14, s0, v4
	s_and_saveexec_b32 s0, s2
	s_cbranch_execz .LBB21_50
.LBB21_56:
	s_delay_alu instid0(VALU_DEP_1)
	v_mad_u64_u32 v[4:5], null, 0x50, v0, v[68:69]
	v_lshrrev_b32_e32 v6, 16, v81
	v_cvt_f32_f16_e32 v10, v80
	v_mov_b32_e32 v5, 0
	v_lshrrev_b32_e32 v2, 16, v80
	v_cvt_f32_f16_e32 v13, v81
	v_cvt_f32_f16_e32 v12, v6
	v_mul_f32_e32 v6, v1, v10
	v_lshlrev_b64 v[8:9], 2, v[4:5]
	v_cvt_f32_f16_e32 v2, v2
	v_mul_f32_e32 v4, v1, v13
	v_mul_f32_e32 v5, v1, v12
	s_delay_alu instid0(VALU_DEP_3) | instskip(SKIP_4) | instid1(SALU_CYCLE_1)
	v_mul_f32_e32 v7, v1, v2
	v_add_co_u32 v1, vcc_lo, s28, v8
	v_add_co_ci_u32_e32 v2, vcc_lo, s29, v9, vcc_lo
	global_store_b128 v[1:2], v[4:7], off
	s_or_b32 exec_lo, exec_lo, s0
	s_and_b32 exec_lo, exec_lo, s1
	s_cbranch_execz .LBB21_32
.LBB21_57:
	v_ashrrev_i32_e32 v1, 31, v0
	v_mov_b32_e32 v10, v3
	s_delay_alu instid0(VALU_DEP_2) | instskip(NEXT) | instid1(VALU_DEP_1)
	v_lshlrev_b64 v[0:1], 3, v[0:1]
	v_add_co_u32 v0, vcc_lo, s30, v0
	s_delay_alu instid0(VALU_DEP_2)
	v_add_co_ci_u32_e32 v1, vcc_lo, s31, v1, vcc_lo
	global_store_b64 v[0:1], v[10:11], off
	s_nop 0
	s_sendmsg sendmsg(MSG_DEALLOC_VGPRS)
	s_endpgm
	.section	.rodata,"a",@progbits
	.p2align	6, 0x0
	.amdhsa_kernel _ZL15flash_attn_tileILi80ELi80ELi8ELi4ELb0EEvPKcS1_S1_S1_S1_PKiPfP15HIP_vector_typeIfLj2EEffffjfiS5_IjLj3EEiiiiiiiiiiiliiliiiiil
		.amdhsa_group_segment_fixed_size 10432
		.amdhsa_private_segment_fixed_size 0
		.amdhsa_kernarg_size 464
		.amdhsa_user_sgpr_count 13
		.amdhsa_user_sgpr_dispatch_ptr 0
		.amdhsa_user_sgpr_queue_ptr 0
		.amdhsa_user_sgpr_kernarg_segment_ptr 1
		.amdhsa_user_sgpr_dispatch_id 0
		.amdhsa_user_sgpr_private_segment_size 0
		.amdhsa_wavefront_size32 1
		.amdhsa_uses_dynamic_stack 0
		.amdhsa_enable_private_segment 0
		.amdhsa_system_sgpr_workgroup_id_x 1
		.amdhsa_system_sgpr_workgroup_id_y 1
		.amdhsa_system_sgpr_workgroup_id_z 1
		.amdhsa_system_sgpr_workgroup_info 0
		.amdhsa_system_vgpr_workitem_id 1
		.amdhsa_next_free_vgpr 131
		.amdhsa_next_free_sgpr 42
		.amdhsa_reserve_vcc 1
		.amdhsa_float_round_mode_32 0
		.amdhsa_float_round_mode_16_64 0
		.amdhsa_float_denorm_mode_32 3
		.amdhsa_float_denorm_mode_16_64 3
		.amdhsa_dx10_clamp 1
		.amdhsa_ieee_mode 1
		.amdhsa_fp16_overflow 0
		.amdhsa_workgroup_processor_mode 1
		.amdhsa_memory_ordered 1
		.amdhsa_forward_progress 0
		.amdhsa_shared_vgpr_count 0
		.amdhsa_exception_fp_ieee_invalid_op 0
		.amdhsa_exception_fp_denorm_src 0
		.amdhsa_exception_fp_ieee_div_zero 0
		.amdhsa_exception_fp_ieee_overflow 0
		.amdhsa_exception_fp_ieee_underflow 0
		.amdhsa_exception_fp_ieee_inexact 0
		.amdhsa_exception_int_div_zero 0
	.end_amdhsa_kernel
	.section	.text._ZL15flash_attn_tileILi80ELi80ELi8ELi4ELb0EEvPKcS1_S1_S1_S1_PKiPfP15HIP_vector_typeIfLj2EEffffjfiS5_IjLj3EEiiiiiiiiiiiliiliiiiil,"axG",@progbits,_ZL15flash_attn_tileILi80ELi80ELi8ELi4ELb0EEvPKcS1_S1_S1_S1_PKiPfP15HIP_vector_typeIfLj2EEffffjfiS5_IjLj3EEiiiiiiiiiiiliiliiiiil,comdat
.Lfunc_end21:
	.size	_ZL15flash_attn_tileILi80ELi80ELi8ELi4ELb0EEvPKcS1_S1_S1_S1_PKiPfP15HIP_vector_typeIfLj2EEffffjfiS5_IjLj3EEiiiiiiiiiiiliiliiiiil, .Lfunc_end21-_ZL15flash_attn_tileILi80ELi80ELi8ELi4ELb0EEvPKcS1_S1_S1_S1_PKiPfP15HIP_vector_typeIfLj2EEffffjfiS5_IjLj3EEiiiiiiiiiiiliiliiiiil
                                        ; -- End function
	.section	.AMDGPU.csdata,"",@progbits
; Kernel info:
; codeLenInByte = 13336
; NumSgprs: 44
; NumVgprs: 131
; ScratchSize: 0
; MemoryBound: 0
; FloatMode: 240
; IeeeMode: 1
; LDSByteSize: 10432 bytes/workgroup (compile time only)
; SGPRBlocks: 5
; VGPRBlocks: 16
; NumSGPRsForWavesPerEU: 44
; NumVGPRsForWavesPerEU: 131
; Occupancy: 10
; WaveLimiterHint : 1
; COMPUTE_PGM_RSRC2:SCRATCH_EN: 0
; COMPUTE_PGM_RSRC2:USER_SGPR: 13
; COMPUTE_PGM_RSRC2:TRAP_HANDLER: 0
; COMPUTE_PGM_RSRC2:TGID_X_EN: 1
; COMPUTE_PGM_RSRC2:TGID_Y_EN: 1
; COMPUTE_PGM_RSRC2:TGID_Z_EN: 1
; COMPUTE_PGM_RSRC2:TIDIG_COMP_CNT: 1
	.section	.text._ZL33flash_attn_stream_k_fixup_uniformILi80ELi8ELi4EEvPfPK15HIP_vector_typeIfLj2EEiiiiiiS1_IjLj3EES5_S5_,"axG",@progbits,_ZL33flash_attn_stream_k_fixup_uniformILi80ELi8ELi4EEvPfPK15HIP_vector_typeIfLj2EEiiiiiiS1_IjLj3EES5_S5_,comdat
	.globl	_ZL33flash_attn_stream_k_fixup_uniformILi80ELi8ELi4EEvPfPK15HIP_vector_typeIfLj2EEiiiiiiS1_IjLj3EES5_S5_ ; -- Begin function _ZL33flash_attn_stream_k_fixup_uniformILi80ELi8ELi4EEvPfPK15HIP_vector_typeIfLj2EEiiiiiiS1_IjLj3EES5_S5_
	.p2align	8
	.type	_ZL33flash_attn_stream_k_fixup_uniformILi80ELi8ELi4EEvPfPK15HIP_vector_typeIfLj2EEiiiiiiS1_IjLj3EES5_S5_,@function
_ZL33flash_attn_stream_k_fixup_uniformILi80ELi8ELi4EEvPfPK15HIP_vector_typeIfLj2EEiiiiiiS1_IjLj3EES5_S5_: ; @_ZL33flash_attn_stream_k_fixup_uniformILi80ELi8ELi4EEvPfPK15HIP_vector_typeIfLj2EEiiiiiiS1_IjLj3EES5_S5_
; %bb.0:
	s_clause 0x1
	s_load_b256 s[4:11], s[0:1], 0x1c
	s_load_b128 s[16:19], s[0:1], 0x3c
	s_waitcnt lgkmcnt(0)
	s_mul_hi_u32 s2, s7, s13
	s_delay_alu instid0(SALU_CYCLE_1) | instskip(NEXT) | instid1(SALU_CYCLE_1)
	s_add_i32 s2, s13, s2
	s_lshr_b32 s2, s2, s8
	s_delay_alu instid0(SALU_CYCLE_1) | instskip(SKIP_2) | instid1(SALU_CYCLE_1)
	s_mul_i32 s3, s2, s9
	s_load_b64 s[8:9], s[0:1], 0x10
	s_sub_i32 s3, s13, s3
	s_mul_hi_u32 s7, s3, s10
	s_delay_alu instid0(SALU_CYCLE_1) | instskip(NEXT) | instid1(SALU_CYCLE_1)
	s_add_i32 s7, s3, s7
	s_lshr_b32 s7, s7, s11
	s_delay_alu instid0(SALU_CYCLE_1) | instskip(NEXT) | instid1(SALU_CYCLE_1)
	s_mul_i32 s10, s7, s16
	s_sub_i32 s3, s3, s10
	s_delay_alu instid0(SALU_CYCLE_1) | instskip(NEXT) | instid1(SALU_CYCLE_1)
	s_mul_hi_u32 s10, s3, s17
	s_add_i32 s10, s3, s10
	s_delay_alu instid0(SALU_CYCLE_1) | instskip(NEXT) | instid1(SALU_CYCLE_1)
	s_lshr_b32 s11, s10, s18
	s_mul_i32 s10, s11, s19
	s_lshl_b32 s11, s11, 2
	s_sub_i32 s10, s3, s10
	s_delay_alu instid0(SALU_CYCLE_1) | instskip(NEXT) | instid1(SALU_CYCLE_1)
	s_lshl_b32 s3, s10, 3
	s_add_i32 s3, s3, s14
	s_waitcnt lgkmcnt(0)
	s_cmp_lt_i32 s3, s8
	s_cselect_b32 s3, -1, 0
	s_add_i32 s11, s11, s15
	s_delay_alu instid0(SALU_CYCLE_1) | instskip(SKIP_1) | instid1(SALU_CYCLE_1)
	s_cmp_lt_i32 s11, s5
	s_cselect_b32 s12, -1, 0
	s_and_b32 s3, s3, s12
	s_delay_alu instid0(SALU_CYCLE_1)
	s_and_not1_b32 vcc_lo, exec_lo, s3
	s_cbranch_vccnz .LBB22_6
; %bb.1:
	s_mul_i32 s8, s2, s8
	s_mul_i32 s7, s7, s5
	s_add_i32 s8, s8, s14
	s_add_i32 s5, s11, s7
	s_mul_i32 s8, s8, s9
	s_load_b128 s[0:3], s[0:1], 0x0
	s_mul_i32 s7, s9, s10
	s_add_i32 s5, s5, s8
	s_mulk_i32 s7, 0x280
	s_mulk_i32 s5, 0x50
	s_lshl_b32 s9, s14, 2
	v_add3_u32 v1, s5, s7, v0
	s_mul_i32 s5, s13, s6
	s_delay_alu instid0(SALU_CYCLE_1) | instskip(NEXT) | instid1(VALU_DEP_1)
	s_add_i32 s10, s5, s6
	v_ashrrev_i32_e32 v2, 31, v1
	s_delay_alu instid0(VALU_DEP_1) | instskip(SKIP_1) | instid1(VALU_DEP_1)
	v_lshlrev_b64 v[1:2], 2, v[1:2]
	s_waitcnt lgkmcnt(0)
	v_add_co_u32 v1, vcc_lo, s0, v1
	s_delay_alu instid0(VALU_DEP_2) | instskip(SKIP_4) | instid1(SALU_CYCLE_1)
	v_add_co_ci_u32_e32 v2, vcc_lo, s1, v2, vcc_lo
	s_add_i32 s0, s9, s15
	s_lshl_b32 s1, s10, 5
	global_load_b32 v5, v[1:2], off
	s_add_i32 s0, s0, s1
	s_sub_i32 s0, s0, 32
	s_delay_alu instid0(SALU_CYCLE_1) | instskip(NEXT) | instid1(SALU_CYCLE_1)
	s_ashr_i32 s1, s0, 31
	s_lshl_b64 s[0:1], s[0:1], 3
	s_delay_alu instid0(SALU_CYCLE_1)
	s_add_u32 s0, s2, s0
	s_addc_u32 s1, s3, s1
	s_add_i32 s7, s10, -2
	s_load_b32 s11, s[0:1], 0x4
	s_cmp_lt_i32 s7, s5
	s_cbranch_scc1 .LBB22_4
; %bb.2:
	s_load_b32 s12, s[0:1], 0x0
	s_lshl_b32 s16, s4, 7
	s_mulk_i32 s14, 0x140
	s_ashr_i32 s17, s16, 31
	s_waitcnt lgkmcnt(0)
	v_mov_b32_e32 v6, s11
	s_lshl_b64 s[0:1], s[16:17], 2
	s_delay_alu instid0(SALU_CYCLE_1)
	s_add_u32 s7, s2, s0
	s_addc_u32 s8, s3, s1
	s_add_i32 s13, s13, 1
	s_lshl_b32 s4, s4, 5
	s_mul_i32 s0, s6, s13
	s_mul_i32 s6, s15, 0x50
	s_lshl_b32 s1, s0, 5
	s_mulk_i32 s0, 0xa00
	s_add_i32 s6, s6, s14
	s_add_i32 s1, s15, s1
	;; [unrolled: 1-line block ×4, first 2 shown]
	v_add3_u32 v3, s6, v0, 0xffffec00
	v_mov_b32_e32 v0, s12
	s_add_i32 s0, s0, s9
	s_add_i32 s4, s10, -1
	s_sub_i32 s0, s0, 64
.LBB22_3:                               ; =>This Inner Loop Header: Depth=1
	s_delay_alu instid0(VALU_DEP_2) | instskip(SKIP_1) | instid1(SALU_CYCLE_1)
	v_ashrrev_i32_e32 v4, 31, v3
	s_ashr_i32 s1, s0, 31
	s_lshl_b64 s[10:11], s[0:1], 3
	s_delay_alu instid0(SALU_CYCLE_1) | instskip(NEXT) | instid1(VALU_DEP_1)
	s_add_u32 s10, s2, s10
	v_lshlrev_b64 v[7:8], 2, v[3:4]
	s_addc_u32 s11, s3, s11
	s_add_i32 s4, s4, -1
	s_sub_i32 s0, s0, 32
	s_cmp_le_i32 s4, s5
	s_load_b64 s[10:11], s[10:11], 0x0
	v_add_co_u32 v7, vcc_lo, s7, v7
	v_add_co_ci_u32_e32 v8, vcc_lo, s8, v8, vcc_lo
	global_load_b32 v4, v[7:8], off
	v_max_f32_e32 v7, v0, v0
	s_waitcnt lgkmcnt(0)
	v_max_f32_e64 v8, s10, s10
	s_delay_alu instid0(VALU_DEP_1) | instskip(NEXT) | instid1(VALU_DEP_1)
	v_max_f32_e32 v7, v7, v8
	v_sub_f32_e32 v8, s10, v7
	s_delay_alu instid0(VALU_DEP_1) | instskip(NEXT) | instid1(VALU_DEP_1)
	v_dual_sub_f32 v0, v0, v7 :: v_dual_mul_f32 v9, 0x3fb8aa3b, v8
	v_fma_f32 v10, 0x3fb8aa3b, v8, -v9
	v_rndne_f32_e32 v11, v9
	s_delay_alu instid0(VALU_DEP_3) | instskip(NEXT) | instid1(VALU_DEP_2)
	v_mul_f32_e32 v12, 0x3fb8aa3b, v0
	v_dual_fmac_f32 v10, 0x32a5705f, v8 :: v_dual_sub_f32 v9, v9, v11
	v_cvt_i32_f32_e32 v11, v11
	s_delay_alu instid0(VALU_DEP_3) | instskip(SKIP_1) | instid1(VALU_DEP_4)
	v_fma_f32 v13, 0x3fb8aa3b, v0, -v12
	v_rndne_f32_e32 v14, v12
	v_add_f32_e32 v9, v9, v10
	v_cmp_ngt_f32_e32 vcc_lo, 0xc2ce8ed0, v8
	s_delay_alu instid0(VALU_DEP_3) | instskip(NEXT) | instid1(VALU_DEP_3)
	v_sub_f32_e32 v10, v12, v14
	v_exp_f32_e32 v9, v9
	s_waitcnt_depctr 0xfff
	v_ldexp_f32 v9, v9, v11
	v_cvt_i32_f32_e32 v11, v14
	s_delay_alu instid0(VALU_DEP_2) | instskip(SKIP_1) | instid1(VALU_DEP_2)
	v_cndmask_b32_e32 v9, 0, v9, vcc_lo
	v_cmp_nlt_f32_e32 vcc_lo, 0x42b17218, v8
	v_cndmask_b32_e32 v9, 0x7f800000, v9, vcc_lo
	v_cmp_ngt_f32_e32 vcc_lo, 0xc2ce8ed0, v0
	v_fmac_f32_e32 v13, 0x32a5705f, v0
	s_delay_alu instid0(VALU_DEP_1) | instskip(NEXT) | instid1(VALU_DEP_1)
	v_add_f32_e32 v10, v10, v13
	v_exp_f32_e32 v10, v10
	s_waitcnt_depctr 0xfff
	v_ldexp_f32 v10, v10, v11
	s_delay_alu instid0(VALU_DEP_1)
	v_dual_mov_b32 v11, v6 :: v_dual_cndmask_b32 v10, 0, v10
	v_cmp_le_f32_e32 vcc_lo, 0xc1a00000, v8
	s_waitcnt vmcnt(1)
	v_dual_cndmask_b32 v8, 0, v9 :: v_dual_mov_b32 v9, v5
	v_cmp_nlt_f32_e32 vcc_lo, 0x42b17218, v0
	v_cndmask_b32_e32 v5, 0x7f800000, v10, vcc_lo
	s_delay_alu instid0(VALU_DEP_3) | instskip(SKIP_2) | instid1(VALU_DEP_3)
	v_mul_f32_e32 v10, s11, v8
	v_cmp_le_f32_e32 vcc_lo, 0xc1a00000, v0
	v_mov_b32_e32 v0, v7
	v_mov_b32_e32 v6, v10
	s_waitcnt vmcnt(0)
	v_dual_cndmask_b32 v12, 0, v5 :: v_dual_mul_f32 v5, v4, v8
	s_delay_alu instid0(VALU_DEP_1) | instskip(NEXT) | instid1(VALU_DEP_2)
	v_dual_fmac_f32 v6, v11, v12 :: v_dual_add_nc_u32 v3, 0xfffff600, v3
	v_fmac_f32_e32 v5, v9, v12
	s_cbranch_scc0 .LBB22_3
	s_branch .LBB22_5
.LBB22_4:
	s_waitcnt lgkmcnt(0)
	v_mov_b32_e32 v6, s11
.LBB22_5:
	s_waitcnt vmcnt(0)
	s_delay_alu instid0(VALU_DEP_1) | instskip(NEXT) | instid1(VALU_DEP_1)
	v_div_scale_f32 v0, null, v6, v6, v5
	v_rcp_f32_e32 v3, v0
	s_waitcnt_depctr 0xfff
	v_fma_f32 v4, -v0, v3, 1.0
	s_delay_alu instid0(VALU_DEP_1) | instskip(SKIP_1) | instid1(VALU_DEP_1)
	v_fmac_f32_e32 v3, v4, v3
	v_div_scale_f32 v4, vcc_lo, v5, v6, v5
	v_mul_f32_e32 v7, v4, v3
	s_delay_alu instid0(VALU_DEP_1) | instskip(NEXT) | instid1(VALU_DEP_1)
	v_fma_f32 v8, -v0, v7, v4
	v_fmac_f32_e32 v7, v8, v3
	s_delay_alu instid0(VALU_DEP_1) | instskip(NEXT) | instid1(VALU_DEP_1)
	v_fma_f32 v0, -v0, v7, v4
	v_div_fmas_f32 v0, v0, v3, v7
	s_delay_alu instid0(VALU_DEP_1)
	v_div_fixup_f32 v0, v0, v6, v5
	global_store_b32 v[1:2], v0, off
.LBB22_6:
	s_nop 0
	s_sendmsg sendmsg(MSG_DEALLOC_VGPRS)
	s_endpgm
	.section	.rodata,"a",@progbits
	.p2align	6, 0x0
	.amdhsa_kernel _ZL33flash_attn_stream_k_fixup_uniformILi80ELi8ELi4EEvPfPK15HIP_vector_typeIfLj2EEiiiiiiS1_IjLj3EES5_S5_
		.amdhsa_group_segment_fixed_size 0
		.amdhsa_private_segment_fixed_size 0
		.amdhsa_kernarg_size 76
		.amdhsa_user_sgpr_count 13
		.amdhsa_user_sgpr_dispatch_ptr 0
		.amdhsa_user_sgpr_queue_ptr 0
		.amdhsa_user_sgpr_kernarg_segment_ptr 1
		.amdhsa_user_sgpr_dispatch_id 0
		.amdhsa_user_sgpr_private_segment_size 0
		.amdhsa_wavefront_size32 1
		.amdhsa_uses_dynamic_stack 0
		.amdhsa_enable_private_segment 0
		.amdhsa_system_sgpr_workgroup_id_x 1
		.amdhsa_system_sgpr_workgroup_id_y 1
		.amdhsa_system_sgpr_workgroup_id_z 1
		.amdhsa_system_sgpr_workgroup_info 0
		.amdhsa_system_vgpr_workitem_id 0
		.amdhsa_next_free_vgpr 15
		.amdhsa_next_free_sgpr 20
		.amdhsa_reserve_vcc 1
		.amdhsa_float_round_mode_32 0
		.amdhsa_float_round_mode_16_64 0
		.amdhsa_float_denorm_mode_32 3
		.amdhsa_float_denorm_mode_16_64 3
		.amdhsa_dx10_clamp 1
		.amdhsa_ieee_mode 1
		.amdhsa_fp16_overflow 0
		.amdhsa_workgroup_processor_mode 1
		.amdhsa_memory_ordered 1
		.amdhsa_forward_progress 0
		.amdhsa_shared_vgpr_count 0
		.amdhsa_exception_fp_ieee_invalid_op 0
		.amdhsa_exception_fp_denorm_src 0
		.amdhsa_exception_fp_ieee_div_zero 0
		.amdhsa_exception_fp_ieee_overflow 0
		.amdhsa_exception_fp_ieee_underflow 0
		.amdhsa_exception_fp_ieee_inexact 0
		.amdhsa_exception_int_div_zero 0
	.end_amdhsa_kernel
	.section	.text._ZL33flash_attn_stream_k_fixup_uniformILi80ELi8ELi4EEvPfPK15HIP_vector_typeIfLj2EEiiiiiiS1_IjLj3EES5_S5_,"axG",@progbits,_ZL33flash_attn_stream_k_fixup_uniformILi80ELi8ELi4EEvPfPK15HIP_vector_typeIfLj2EEiiiiiiS1_IjLj3EES5_S5_,comdat
.Lfunc_end22:
	.size	_ZL33flash_attn_stream_k_fixup_uniformILi80ELi8ELi4EEvPfPK15HIP_vector_typeIfLj2EEiiiiiiS1_IjLj3EES5_S5_, .Lfunc_end22-_ZL33flash_attn_stream_k_fixup_uniformILi80ELi8ELi4EEvPfPK15HIP_vector_typeIfLj2EEiiiiiiS1_IjLj3EES5_S5_
                                        ; -- End function
	.section	.AMDGPU.csdata,"",@progbits
; Kernel info:
; codeLenInByte = 992
; NumSgprs: 22
; NumVgprs: 15
; ScratchSize: 0
; MemoryBound: 0
; FloatMode: 240
; IeeeMode: 1
; LDSByteSize: 0 bytes/workgroup (compile time only)
; SGPRBlocks: 2
; VGPRBlocks: 1
; NumSGPRsForWavesPerEU: 22
; NumVGPRsForWavesPerEU: 15
; Occupancy: 16
; WaveLimiterHint : 0
; COMPUTE_PGM_RSRC2:SCRATCH_EN: 0
; COMPUTE_PGM_RSRC2:USER_SGPR: 13
; COMPUTE_PGM_RSRC2:TRAP_HANDLER: 0
; COMPUTE_PGM_RSRC2:TGID_X_EN: 1
; COMPUTE_PGM_RSRC2:TGID_Y_EN: 1
; COMPUTE_PGM_RSRC2:TGID_Z_EN: 1
; COMPUTE_PGM_RSRC2:TIDIG_COMP_CNT: 0
	.section	.text._ZL33flash_attn_stream_k_fixup_generalILi80ELi8ELi4EEvPfPK15HIP_vector_typeIfLj2EEiiiiS1_IjLj3EES5_S5_S5_,"axG",@progbits,_ZL33flash_attn_stream_k_fixup_generalILi80ELi8ELi4EEvPfPK15HIP_vector_typeIfLj2EEiiiiS1_IjLj3EES5_S5_S5_,comdat
	.globl	_ZL33flash_attn_stream_k_fixup_generalILi80ELi8ELi4EEvPfPK15HIP_vector_typeIfLj2EEiiiiS1_IjLj3EES5_S5_S5_ ; -- Begin function _ZL33flash_attn_stream_k_fixup_generalILi80ELi8ELi4EEvPfPK15HIP_vector_typeIfLj2EEiiiiS1_IjLj3EES5_S5_S5_
	.p2align	8
	.type	_ZL33flash_attn_stream_k_fixup_generalILi80ELi8ELi4EEvPfPK15HIP_vector_typeIfLj2EEiiiiS1_IjLj3EES5_S5_S5_,@function
_ZL33flash_attn_stream_k_fixup_generalILi80ELi8ELi4EEvPfPK15HIP_vector_typeIfLj2EEiiiiS1_IjLj3EES5_S5_S5_: ; @_ZL33flash_attn_stream_k_fixup_generalILi80ELi8ELi4EEvPfPK15HIP_vector_typeIfLj2EEiiiiS1_IjLj3EES5_S5_S5_
; %bb.0:
	s_clause 0x1
	s_load_b128 s[4:7], s[0:1], 0x10
	s_load_b32 s20, s[0:1], 0x50
	s_mov_b32 s2, 0
	s_waitcnt lgkmcnt(0)
	s_mul_hi_i32 s3, s7, s13
	s_mul_i32 s12, s7, s13
	s_cmp_lg_u64 s[2:3], 0
	s_cbranch_scc0 .LBB23_21
; %bb.1:
	v_cvt_f32_ubyte0_e32 v1, 0
	v_cvt_f32_u32_e32 v2, s20
	s_sub_u32 s10, 0, s20
	s_subb_u32 s11, 0, 0
	s_delay_alu instid0(VALU_DEP_1) | instskip(NEXT) | instid1(VALU_DEP_1)
	v_fmamk_f32 v1, v1, 0x4f800000, v2
	v_rcp_f32_e32 v1, v1
	s_waitcnt_depctr 0xfff
	v_mul_f32_e32 v1, 0x5f7ffffc, v1
	s_delay_alu instid0(VALU_DEP_1) | instskip(NEXT) | instid1(VALU_DEP_1)
	v_mul_f32_e32 v2, 0x2f800000, v1
	v_trunc_f32_e32 v2, v2
	s_delay_alu instid0(VALU_DEP_1) | instskip(SKIP_1) | instid1(VALU_DEP_2)
	v_fmamk_f32 v1, v2, 0xcf800000, v1
	v_cvt_u32_f32_e32 v2, v2
	v_cvt_u32_f32_e32 v1, v1
	s_delay_alu instid0(VALU_DEP_2) | instskip(NEXT) | instid1(VALU_DEP_2)
	v_readfirstlane_b32 s8, v2
	v_readfirstlane_b32 s9, v1
	s_delay_alu instid0(VALU_DEP_2) | instskip(NEXT) | instid1(VALU_DEP_1)
	s_mul_i32 s16, s10, s8
	s_mul_hi_u32 s18, s10, s9
	s_mul_i32 s17, s11, s9
	s_add_i32 s16, s18, s16
	s_mul_i32 s19, s10, s9
	s_add_i32 s16, s16, s17
	s_mul_hi_u32 s18, s9, s19
	s_mul_hi_u32 s21, s8, s19
	s_mul_i32 s17, s8, s19
	s_mul_hi_u32 s19, s9, s16
	s_mul_i32 s9, s9, s16
	s_mul_hi_u32 s22, s8, s16
	s_add_u32 s9, s18, s9
	s_addc_u32 s18, 0, s19
	s_add_u32 s9, s9, s17
	s_mul_i32 s16, s8, s16
	s_addc_u32 s9, s18, s21
	s_addc_u32 s17, s22, 0
	s_add_u32 s9, s9, s16
	s_addc_u32 s16, 0, s17
	v_add_co_u32 v1, s9, v1, s9
	s_delay_alu instid0(VALU_DEP_1) | instskip(SKIP_1) | instid1(VALU_DEP_1)
	s_cmp_lg_u32 s9, 0
	s_addc_u32 s8, s8, s16
	v_readfirstlane_b32 s9, v1
	s_mul_i32 s16, s10, s8
	s_delay_alu instid0(VALU_DEP_1)
	s_mul_hi_u32 s17, s10, s9
	s_mul_i32 s11, s11, s9
	s_add_i32 s16, s17, s16
	s_mul_i32 s10, s10, s9
	s_add_i32 s16, s16, s11
	s_mul_hi_u32 s17, s8, s10
	s_mul_i32 s18, s8, s10
	s_mul_hi_u32 s10, s9, s10
	s_mul_hi_u32 s19, s9, s16
	s_mul_i32 s9, s9, s16
	s_mul_hi_u32 s11, s8, s16
	s_add_u32 s9, s10, s9
	s_addc_u32 s10, 0, s19
	s_add_u32 s9, s9, s18
	s_mul_i32 s16, s8, s16
	s_addc_u32 s9, s10, s17
	s_addc_u32 s10, s11, 0
	s_add_u32 s9, s9, s16
	s_addc_u32 s10, 0, s10
	v_add_co_u32 v1, s9, v1, s9
	s_delay_alu instid0(VALU_DEP_1) | instskip(SKIP_2) | instid1(SALU_CYCLE_1)
	s_cmp_lg_u32 s9, 0
	s_addc_u32 s16, s8, s10
	s_ashr_i32 s8, s3, 31
	s_add_u32 s10, s12, s8
	s_addc_u32 s11, s3, s8
	v_readfirstlane_b32 s3, v1
	s_mov_b32 s9, s8
	s_delay_alu instid0(SALU_CYCLE_1) | instskip(NEXT) | instid1(SALU_CYCLE_1)
	s_xor_b64 s[10:11], s[10:11], s[8:9]
	s_mul_i32 s18, s10, s16
	s_delay_alu instid0(VALU_DEP_1)
	s_mul_hi_u32 s19, s10, s3
	s_mul_hi_u32 s17, s10, s16
	;; [unrolled: 1-line block ×3, first 2 shown]
	s_mul_i32 s3, s11, s3
	s_add_u32 s18, s19, s18
	s_addc_u32 s17, 0, s17
	s_mul_hi_u32 s21, s11, s16
	s_add_u32 s3, s18, s3
	s_mul_i32 s16, s11, s16
	s_addc_u32 s3, s17, s22
	s_addc_u32 s17, s21, 0
	s_add_u32 s3, s3, s16
	s_addc_u32 s16, 0, s17
	s_mul_i32 s18, s20, s3
	s_add_u32 s17, s3, 1
	v_sub_co_u32 v1, s10, s10, s18
	s_mul_hi_u32 s18, s20, s3
	s_addc_u32 s19, s16, 0
	s_mul_i32 s21, s20, s16
	s_delay_alu instid0(VALU_DEP_1)
	v_sub_co_u32 v2, s22, v1, s20
	s_add_u32 s23, s3, 2
	s_addc_u32 s24, s16, 0
	s_add_i32 s18, s18, s21
	s_cmp_lg_u32 s10, 0
	v_readfirstlane_b32 s10, v2
	s_subb_u32 s11, s11, s18
	s_cmp_lg_u32 s22, 0
	s_subb_u32 s18, s11, 0
	s_delay_alu instid0(VALU_DEP_1) | instskip(SKIP_4) | instid1(SALU_CYCLE_1)
	s_cmp_ge_u32 s10, s20
	s_cselect_b32 s10, -1, 0
	s_cmp_eq_u32 s18, 0
	v_readfirstlane_b32 s18, v1
	s_cselect_b32 s10, s10, -1
	s_cmp_lg_u32 s10, 0
	s_cselect_b32 s10, s23, s17
	s_cselect_b32 s17, s24, s19
	s_cmp_ge_u32 s18, s20
	s_cselect_b32 s18, -1, 0
	s_cmp_eq_u32 s11, 0
	s_cselect_b32 s11, s18, -1
	s_delay_alu instid0(SALU_CYCLE_1) | instskip(SKIP_2) | instid1(SALU_CYCLE_1)
	s_cmp_lg_u32 s11, 0
	s_cselect_b32 s11, s17, s16
	s_cselect_b32 s10, s10, s3
	s_xor_b64 s[10:11], s[10:11], s[8:9]
	s_delay_alu instid0(SALU_CYCLE_1)
	s_sub_u32 s16, s10, s8
	s_load_b128 s[8:11], s[0:1], 0x44
	s_and_not1_b32 vcc_lo, exec_lo, s2
	s_cbranch_vccnz .LBB23_3
.LBB23_2:
	v_cvt_f32_u32_e32 v1, s20
	s_sub_i32 s3, 0, s20
	s_delay_alu instid0(VALU_DEP_1) | instskip(SKIP_2) | instid1(VALU_DEP_1)
	v_rcp_iflag_f32_e32 v1, v1
	s_waitcnt_depctr 0xfff
	v_mul_f32_e32 v1, 0x4f7ffffe, v1
	v_cvt_u32_f32_e32 v1, v1
	s_delay_alu instid0(VALU_DEP_1) | instskip(NEXT) | instid1(VALU_DEP_1)
	v_readfirstlane_b32 s2, v1
	s_mul_i32 s3, s3, s2
	s_delay_alu instid0(SALU_CYCLE_1) | instskip(NEXT) | instid1(SALU_CYCLE_1)
	s_mul_hi_u32 s3, s2, s3
	s_add_i32 s2, s2, s3
	s_delay_alu instid0(SALU_CYCLE_1) | instskip(NEXT) | instid1(SALU_CYCLE_1)
	s_mul_hi_u32 s2, s12, s2
	s_mul_i32 s3, s2, s20
	s_waitcnt lgkmcnt(0)
	s_add_i32 s11, s2, 1
	s_sub_i32 s3, s12, s3
	s_delay_alu instid0(SALU_CYCLE_1)
	s_sub_i32 s12, s3, s20
	s_cmp_ge_u32 s3, s20
	s_cselect_b32 s2, s11, s2
	s_cselect_b32 s3, s12, s3
	s_add_i32 s11, s2, 1
	s_cmp_ge_u32 s3, s20
	s_cselect_b32 s16, s11, s2
.LBB23_3:
	s_waitcnt lgkmcnt(0)
	s_add_i32 s11, s13, 1
	s_mov_b32 s2, 0
	s_mul_hi_i32 s3, s7, s11
	s_mul_i32 s11, s7, s11
	s_cmp_lg_u64 s[2:3], 0
	s_cbranch_scc0 .LBB23_22
; %bb.4:
	v_cvt_f32_ubyte0_e32 v1, 0
	v_cvt_f32_u32_e32 v2, s20
	s_sub_u32 s18, 0, s20
	s_subb_u32 s19, 0, 0
	s_delay_alu instid0(VALU_DEP_1) | instskip(NEXT) | instid1(VALU_DEP_1)
	v_fmamk_f32 v1, v1, 0x4f800000, v2
	v_rcp_f32_e32 v1, v1
	s_waitcnt_depctr 0xfff
	v_mul_f32_e32 v1, 0x5f7ffffc, v1
	s_delay_alu instid0(VALU_DEP_1) | instskip(NEXT) | instid1(VALU_DEP_1)
	v_mul_f32_e32 v2, 0x2f800000, v1
	v_trunc_f32_e32 v2, v2
	s_delay_alu instid0(VALU_DEP_1) | instskip(SKIP_1) | instid1(VALU_DEP_2)
	v_fmamk_f32 v1, v2, 0xcf800000, v1
	v_cvt_u32_f32_e32 v2, v2
	v_cvt_u32_f32_e32 v1, v1
	s_delay_alu instid0(VALU_DEP_2) | instskip(NEXT) | instid1(VALU_DEP_2)
	v_readfirstlane_b32 s12, v2
	v_readfirstlane_b32 s17, v1
	s_delay_alu instid0(VALU_DEP_2) | instskip(NEXT) | instid1(VALU_DEP_1)
	s_mul_i32 s21, s18, s12
	s_mul_hi_u32 s23, s18, s17
	s_mul_i32 s22, s19, s17
	s_add_i32 s21, s23, s21
	s_mul_i32 s24, s18, s17
	s_add_i32 s21, s21, s22
	s_mul_hi_u32 s23, s17, s24
	s_mul_hi_u32 s25, s12, s24
	s_mul_i32 s22, s12, s24
	s_mul_hi_u32 s24, s17, s21
	s_mul_i32 s17, s17, s21
	s_mul_hi_u32 s26, s12, s21
	s_add_u32 s17, s23, s17
	s_addc_u32 s23, 0, s24
	s_add_u32 s17, s17, s22
	s_mul_i32 s21, s12, s21
	s_addc_u32 s17, s23, s25
	s_addc_u32 s22, s26, 0
	s_add_u32 s17, s17, s21
	s_addc_u32 s21, 0, s22
	v_add_co_u32 v1, s17, v1, s17
	s_delay_alu instid0(VALU_DEP_1) | instskip(SKIP_1) | instid1(VALU_DEP_1)
	s_cmp_lg_u32 s17, 0
	s_addc_u32 s12, s12, s21
	v_readfirstlane_b32 s17, v1
	s_mul_i32 s21, s18, s12
	s_delay_alu instid0(VALU_DEP_1)
	s_mul_hi_u32 s22, s18, s17
	s_mul_i32 s19, s19, s17
	s_add_i32 s21, s22, s21
	s_mul_i32 s18, s18, s17
	s_add_i32 s21, s21, s19
	s_mul_hi_u32 s22, s12, s18
	s_mul_i32 s23, s12, s18
	s_mul_hi_u32 s18, s17, s18
	s_mul_hi_u32 s24, s17, s21
	s_mul_i32 s17, s17, s21
	s_mul_hi_u32 s19, s12, s21
	s_add_u32 s17, s18, s17
	s_addc_u32 s18, 0, s24
	s_add_u32 s17, s17, s23
	s_mul_i32 s21, s12, s21
	s_addc_u32 s17, s18, s22
	s_addc_u32 s18, s19, 0
	s_add_u32 s17, s17, s21
	s_addc_u32 s18, 0, s18
	v_add_co_u32 v1, s17, v1, s17
	s_delay_alu instid0(VALU_DEP_1) | instskip(SKIP_2) | instid1(SALU_CYCLE_1)
	s_cmp_lg_u32 s17, 0
	s_addc_u32 s12, s12, s18
	s_ashr_i32 s18, s3, 31
	s_add_u32 s22, s11, s18
	s_addc_u32 s23, s3, s18
	v_readfirstlane_b32 s3, v1
	s_mov_b32 s19, s18
	s_delay_alu instid0(SALU_CYCLE_1) | instskip(NEXT) | instid1(SALU_CYCLE_1)
	s_xor_b64 s[22:23], s[22:23], s[18:19]
	s_mul_i32 s21, s22, s12
	s_delay_alu instid0(VALU_DEP_1)
	s_mul_hi_u32 s24, s22, s3
	s_mul_hi_u32 s17, s22, s12
	;; [unrolled: 1-line block ×3, first 2 shown]
	s_mul_i32 s3, s23, s3
	s_add_u32 s21, s24, s21
	s_addc_u32 s17, 0, s17
	s_mul_hi_u32 s25, s23, s12
	s_add_u32 s3, s21, s3
	s_mul_i32 s12, s23, s12
	s_addc_u32 s3, s17, s26
	s_addc_u32 s17, s25, 0
	s_add_u32 s3, s3, s12
	s_addc_u32 s12, 0, s17
	s_mul_i32 s21, s20, s3
	s_add_u32 s17, s3, 1
	v_sub_co_u32 v1, s21, s22, s21
	s_mul_hi_u32 s22, s20, s3
	s_addc_u32 s24, s12, 0
	s_mul_i32 s25, s20, s12
	s_delay_alu instid0(VALU_DEP_1)
	v_sub_co_u32 v2, s26, v1, s20
	s_add_u32 s27, s3, 2
	s_addc_u32 s28, s12, 0
	s_add_i32 s22, s22, s25
	s_cmp_lg_u32 s21, 0
	v_readfirstlane_b32 s21, v2
	s_subb_u32 s22, s23, s22
	s_cmp_lg_u32 s26, 0
	s_subb_u32 s23, s22, 0
	s_delay_alu instid0(VALU_DEP_1) | instskip(SKIP_4) | instid1(SALU_CYCLE_1)
	s_cmp_ge_u32 s21, s20
	s_cselect_b32 s21, -1, 0
	s_cmp_eq_u32 s23, 0
	v_readfirstlane_b32 s23, v1
	s_cselect_b32 s21, s21, -1
	s_cmp_lg_u32 s21, 0
	s_cselect_b32 s17, s27, s17
	s_cselect_b32 s21, s28, s24
	s_cmp_ge_u32 s23, s20
	s_cselect_b32 s23, -1, 0
	s_cmp_eq_u32 s22, 0
	s_cselect_b32 s22, s23, -1
	s_delay_alu instid0(SALU_CYCLE_1) | instskip(SKIP_2) | instid1(SALU_CYCLE_1)
	s_cmp_lg_u32 s22, 0
	s_cselect_b32 s23, s21, s12
	s_cselect_b32 s22, s17, s3
	s_xor_b64 s[22:23], s[22:23], s[18:19]
	s_delay_alu instid0(SALU_CYCLE_1)
	s_sub_u32 s18, s22, s18
	s_and_not1_b32 vcc_lo, exec_lo, s2
	s_cbranch_vccnz .LBB23_6
.LBB23_5:
	v_cvt_f32_u32_e32 v1, s20
	s_sub_i32 s3, 0, s20
	s_delay_alu instid0(VALU_DEP_1) | instskip(SKIP_2) | instid1(VALU_DEP_1)
	v_rcp_iflag_f32_e32 v1, v1
	s_waitcnt_depctr 0xfff
	v_mul_f32_e32 v1, 0x4f7ffffe, v1
	v_cvt_u32_f32_e32 v1, v1
	s_delay_alu instid0(VALU_DEP_1) | instskip(NEXT) | instid1(VALU_DEP_1)
	v_readfirstlane_b32 s2, v1
	s_mul_i32 s3, s3, s2
	s_delay_alu instid0(SALU_CYCLE_1) | instskip(NEXT) | instid1(SALU_CYCLE_1)
	s_mul_hi_u32 s3, s2, s3
	s_add_i32 s2, s2, s3
	s_delay_alu instid0(SALU_CYCLE_1) | instskip(NEXT) | instid1(SALU_CYCLE_1)
	s_mul_hi_u32 s2, s11, s2
	s_mul_i32 s3, s2, s20
	s_delay_alu instid0(SALU_CYCLE_1)
	s_sub_i32 s3, s11, s3
	s_add_i32 s11, s2, 1
	s_sub_i32 s12, s3, s20
	s_cmp_ge_u32 s3, s20
	s_cselect_b32 s2, s11, s2
	s_cselect_b32 s3, s12, s3
	s_add_i32 s11, s2, 1
	s_cmp_ge_u32 s3, s20
	s_cselect_b32 s18, s11, s2
.LBB23_6:
	s_delay_alu instid0(SALU_CYCLE_1) | instskip(SKIP_3) | instid1(SALU_CYCLE_1)
	s_cmp_eq_u32 s16, s18
	s_mul_hi_u32 s2, s16, s8
	s_cselect_b32 s3, -1, 0
	s_add_i32 s2, s2, s16
	s_lshr_b32 s11, s2, s9
	s_delay_alu instid0(SALU_CYCLE_1) | instskip(NEXT) | instid1(SALU_CYCLE_1)
	s_mul_i32 s2, s11, s10
	s_cmp_eq_u32 s2, s16
	s_mul_hi_u32 s2, s18, s8
	s_cselect_b32 s12, -1, 0
	s_add_i32 s2, s2, s18
	s_delay_alu instid0(SALU_CYCLE_1) | instskip(NEXT) | instid1(SALU_CYCLE_1)
	s_lshr_b32 s2, s2, s9
	s_cmp_eq_u32 s11, s2
	s_mul_i32 s2, s2, s10
	s_cselect_b32 s17, -1, 0
	s_cmp_lg_u32 s2, s18
	s_cselect_b32 s2, -1, 0
	s_or_b32 s3, s3, s12
	s_and_b32 s2, s17, s2
	s_delay_alu instid0(SALU_CYCLE_1) | instskip(NEXT) | instid1(SALU_CYCLE_1)
	s_or_b32 s2, s3, s2
	s_and_b32 vcc_lo, exec_lo, s2
	s_cbranch_vccnz .LBB23_24
; %bb.7:
	s_load_b256 s[24:31], s[0:1], 0x20
	s_waitcnt lgkmcnt(0)
	s_mul_hi_u32 s2, s16, s24
	s_delay_alu instid0(SALU_CYCLE_1) | instskip(NEXT) | instid1(SALU_CYCLE_1)
	s_add_i32 s2, s2, s16
	s_lshr_b32 s17, s2, s25
	s_load_b32 s2, s[0:1], 0x40
	s_mul_i32 s3, s17, s26
	s_delay_alu instid0(SALU_CYCLE_1) | instskip(NEXT) | instid1(SALU_CYCLE_1)
	s_sub_i32 s3, s16, s3
	s_mul_hi_u32 s12, s3, s27
	s_delay_alu instid0(SALU_CYCLE_1) | instskip(NEXT) | instid1(SALU_CYCLE_1)
	s_add_i32 s12, s3, s12
	s_lshr_b32 s19, s12, s28
	s_delay_alu instid0(SALU_CYCLE_1) | instskip(NEXT) | instid1(SALU_CYCLE_1)
	s_mul_i32 s12, s19, s29
	s_sub_i32 s3, s3, s12
	s_delay_alu instid0(SALU_CYCLE_1) | instskip(NEXT) | instid1(SALU_CYCLE_1)
	s_mul_hi_u32 s12, s3, s30
	s_add_i32 s12, s3, s12
	s_delay_alu instid0(SALU_CYCLE_1)
	s_lshr_b32 s12, s12, s31
	s_waitcnt lgkmcnt(0)
	s_mul_i32 s2, s12, s2
	s_lshl_b32 s21, s12, 2
	s_sub_i32 s2, s3, s2
	s_mov_b32 s12, 0
	s_mul_hi_u32 s3, s2, s8
	s_delay_alu instid0(SALU_CYCLE_1) | instskip(NEXT) | instid1(SALU_CYCLE_1)
	s_add_i32 s2, s2, s3
	s_lshr_b32 s18, s2, s9
	s_delay_alu instid0(SALU_CYCLE_1) | instskip(NEXT) | instid1(SALU_CYCLE_1)
	s_lshl_b32 s2, s18, 3
	s_add_i32 s2, s2, s14
	s_delay_alu instid0(SALU_CYCLE_1) | instskip(SKIP_2) | instid1(SALU_CYCLE_1)
	s_cmp_lt_i32 s2, s4
	s_cselect_b32 s2, -1, 0
	s_add_i32 s21, s21, s15
	s_cmp_lt_i32 s21, s6
	s_cselect_b32 s3, -1, 0
	s_delay_alu instid0(SALU_CYCLE_1) | instskip(NEXT) | instid1(SALU_CYCLE_1)
	s_and_b32 s2, s2, s3
	s_and_not1_b32 vcc_lo, exec_lo, s2
	s_cbranch_vccnz .LBB23_24
; %bb.8:
	s_load_b128 s[0:3], s[0:1], 0x0
	s_lshl_b32 s22, s20, 7
	s_mov_b32 s23, s12
	s_lshl_b32 s24, s14, 2
	s_lshl_b64 s[22:23], s[22:23], 2
	s_mul_i32 s19, s19, s6
	s_mul_i32 s4, s17, s4
	s_add_i32 s6, s24, s15
	v_cvt_f32_ubyte0_e32 v3, 0
	v_cvt_f32_u32_e32 v4, s20
	s_waitcnt lgkmcnt(0)
	s_add_u32 s15, s2, s22
	s_addc_u32 s17, s3, s23
	s_add_i32 s4, s4, s14
	s_add_i32 s14, s21, s19
	s_mul_i32 s4, s4, s5
	s_mul_i32 s5, s5, s18
	s_add_i32 s4, s14, s4
	s_mulk_i32 s5, 0x280
	s_mulk_i32 s4, 0x50
	s_delay_alu instid0(SALU_CYCLE_1) | instskip(NEXT) | instid1(VALU_DEP_1)
	v_add3_u32 v1, s5, s4, v0
	v_ashrrev_i32_e32 v2, 31, v1
	s_delay_alu instid0(VALU_DEP_1) | instskip(NEXT) | instid1(VALU_DEP_1)
	v_lshlrev_b64 v[1:2], 2, v[1:2]
	v_add_co_u32 v1, vcc_lo, s0, v1
	s_delay_alu instid0(VALU_DEP_2) | instskip(SKIP_1) | instid1(SALU_CYCLE_1)
	v_add_co_ci_u32_e32 v2, vcc_lo, s1, v2, vcc_lo
	s_lshl_b32 s0, s13, 5
	s_add_i32 s0, s6, s0
	global_load_b32 v5, v[1:2], off
	s_ashr_i32 s1, s0, 31
	s_delay_alu instid0(SALU_CYCLE_1) | instskip(NEXT) | instid1(SALU_CYCLE_1)
	s_lshl_b64 s[0:1], s[0:1], 3
	s_add_u32 s0, s2, s0
	s_addc_u32 s1, s3, s1
	s_add_i32 s18, s13, -1
	s_load_b64 s[0:1], s[0:1], 0x0
	v_fmac_f32_e32 v4, 0x4f800000, v3
	s_sub_i32 s14, 0, s20
	s_delay_alu instid0(VALU_DEP_1)
	v_rcp_f32_e32 v3, v4
	s_waitcnt_depctr 0xfff
	v_mul_f32_e32 v6, 0x5f7ffffc, v3
	v_cvt_f32_u32_e32 v3, s20
	s_waitcnt lgkmcnt(0)
	v_mov_b32_e32 v8, s0
	s_delay_alu instid0(VALU_DEP_3) | instskip(NEXT) | instid1(VALU_DEP_3)
	v_mul_f32_e32 v4, 0x2f800000, v6
	v_rcp_iflag_f32_e32 v7, v3
	s_delay_alu instid0(VALU_DEP_1) | instskip(SKIP_1) | instid1(VALU_DEP_2)
	v_trunc_f32_e32 v9, v4
	v_mad_u64_u32 v[3:4], null, 0x50, s6, v[0:1]
	v_fmac_f32_e32 v6, 0xcf800000, v9
	s_waitcnt_depctr 0xfff
	v_dual_mul_f32 v10, 0x4f7ffffe, v7 :: v_dual_mov_b32 v7, s1
	v_cvt_u32_f32_e32 v4, v9
	v_cvt_u32_f32_e32 v0, v6
	s_delay_alu instid0(VALU_DEP_3)
	v_cvt_u32_f32_e32 v6, v10
.LBB23_9:                               ; =>This Inner Loop Header: Depth=1
	s_mul_hi_i32 s13, s18, s7
	s_mul_i32 s4, s18, s7
	s_cmp_lg_u64 s[12:13], 0
	s_mov_b32 s5, -1
                                        ; implicit-def: $sgpr0_sgpr1
	s_cbranch_scc0 .LBB23_11
; %bb.10:                               ;   in Loop: Header=BB23_9 Depth=1
	v_readfirstlane_b32 s0, v0
	v_readfirstlane_b32 s1, v4
	s_sub_u32 s5, 0, s20
	s_subb_u32 s19, 0, 0
	s_delay_alu instid0(VALU_DEP_2) | instskip(NEXT) | instid1(VALU_DEP_1)
	s_mul_hi_u32 s21, s5, s0
	s_mul_i32 s22, s5, s1
	s_mul_i32 s23, s19, s0
	s_add_i32 s21, s21, s22
	s_mul_i32 s22, s5, s0
	s_add_i32 s21, s21, s23
	s_mul_hi_u32 s23, s0, s22
	s_mul_i32 s24, s0, s21
	s_mul_hi_u32 s0, s0, s21
	s_add_u32 s23, s23, s24
	s_mul_i32 s25, s1, s22
	s_addc_u32 s0, 0, s0
	s_mul_hi_u32 s22, s1, s22
	s_mul_hi_u32 s24, s1, s21
	s_add_u32 s23, s23, s25
	s_addc_u32 s0, s0, s22
	s_mul_i32 s21, s1, s21
	s_addc_u32 s22, s24, 0
	s_add_u32 s0, s0, s21
	s_addc_u32 s21, 0, s22
	v_add_co_u32 v9, s0, v0, s0
	s_delay_alu instid0(VALU_DEP_1) | instskip(SKIP_1) | instid1(VALU_DEP_1)
	s_cmp_lg_u32 s0, 0
	s_addc_u32 s1, s1, s21
	v_readfirstlane_b32 s0, v9
	s_mul_i32 s21, s5, s1
	s_delay_alu instid0(VALU_DEP_1)
	s_mul_hi_u32 s22, s5, s0
	s_mul_i32 s19, s19, s0
	s_add_i32 s21, s22, s21
	s_mul_i32 s5, s5, s0
	s_add_i32 s21, s21, s19
	s_mul_hi_u32 s19, s1, s5
	s_mul_i32 s23, s1, s5
	s_mul_i32 s24, s0, s21
	s_mul_hi_u32 s5, s0, s5
	s_mul_hi_u32 s0, s0, s21
	s_add_u32 s5, s5, s24
	s_addc_u32 s0, 0, s0
	s_mul_hi_u32 s22, s1, s21
	s_add_u32 s5, s5, s23
	s_addc_u32 s0, s0, s19
	s_mul_i32 s5, s1, s21
	s_addc_u32 s19, s22, 0
	s_add_u32 s0, s0, s5
	s_addc_u32 s5, 0, s19
	v_add_co_u32 v9, s0, v9, s0
	s_delay_alu instid0(VALU_DEP_1) | instskip(SKIP_2) | instid1(SALU_CYCLE_1)
	s_cmp_lg_u32 s0, 0
	s_addc_u32 s5, s1, s5
	s_ashr_i32 s0, s13, 31
	s_add_u32 s22, s4, s0
	s_addc_u32 s23, s13, s0
	v_readfirstlane_b32 s13, v9
	s_mov_b32 s1, s0
	s_delay_alu instid0(SALU_CYCLE_1) | instskip(NEXT) | instid1(SALU_CYCLE_1)
	s_xor_b64 s[22:23], s[22:23], s[0:1]
	s_mul_i32 s19, s22, s5
	s_delay_alu instid0(VALU_DEP_1)
	s_mul_hi_u32 s21, s22, s13
	s_mul_hi_u32 s24, s22, s5
	s_add_u32 s19, s21, s19
	s_mul_i32 s25, s23, s13
	s_addc_u32 s21, 0, s24
	s_mul_hi_u32 s13, s23, s13
	s_mul_hi_u32 s24, s23, s5
	s_add_u32 s19, s19, s25
	s_addc_u32 s13, s21, s13
	s_mul_i32 s5, s23, s5
	s_addc_u32 s19, s24, 0
	s_add_u32 s5, s13, s5
	s_addc_u32 s13, 0, s19
	s_mul_i32 s21, s20, s5
	s_add_u32 s19, s5, 1
	v_sub_co_u32 v9, s21, s22, s21
	s_addc_u32 s22, s13, 0
	s_mul_i32 s25, s20, s13
	s_mul_hi_u32 s27, s20, s5
	s_delay_alu instid0(VALU_DEP_1)
	v_sub_co_u32 v10, s26, v9, s20
	s_add_u32 s24, s5, 2
	s_addc_u32 s28, s13, 0
	s_add_i32 s27, s27, s25
	s_cmp_lg_u32 s21, 0
	v_readfirstlane_b32 s21, v10
	s_subb_u32 s23, s23, s27
	s_cmp_lg_u32 s26, 0
	s_subb_u32 s25, s23, 0
	s_delay_alu instid0(VALU_DEP_1) | instskip(SKIP_4) | instid1(SALU_CYCLE_1)
	s_cmp_ge_u32 s21, s20
	s_cselect_b32 s21, -1, 0
	s_cmp_eq_u32 s25, 0
	v_readfirstlane_b32 s25, v9
	s_cselect_b32 s21, s21, -1
	s_cmp_lg_u32 s21, 0
	s_cselect_b32 s19, s24, s19
	s_cselect_b32 s21, s28, s22
	s_cmp_ge_u32 s25, s20
	s_cselect_b32 s22, -1, 0
	s_cmp_eq_u32 s23, 0
	s_cselect_b32 s22, s22, -1
	s_delay_alu instid0(SALU_CYCLE_1) | instskip(SKIP_4) | instid1(SALU_CYCLE_1)
	s_cmp_lg_u32 s22, 0
	s_cselect_b32 s23, s21, s13
	s_cselect_b32 s22, s19, s5
	s_mov_b32 s5, 0
	s_xor_b64 s[22:23], s[22:23], s[0:1]
	s_sub_u32 s0, s22, s0
.LBB23_11:                              ;   in Loop: Header=BB23_9 Depth=1
	s_and_not1_b32 vcc_lo, exec_lo, s5
	s_cbranch_vccnz .LBB23_13
; %bb.12:                               ;   in Loop: Header=BB23_9 Depth=1
	v_readfirstlane_b32 s0, v6
	s_delay_alu instid0(VALU_DEP_1) | instskip(NEXT) | instid1(SALU_CYCLE_1)
	s_mul_i32 s1, s14, s0
	s_mul_hi_u32 s1, s0, s1
	s_delay_alu instid0(SALU_CYCLE_1) | instskip(NEXT) | instid1(SALU_CYCLE_1)
	s_add_i32 s0, s0, s1
	s_mul_hi_u32 s0, s4, s0
	s_delay_alu instid0(SALU_CYCLE_1) | instskip(NEXT) | instid1(SALU_CYCLE_1)
	s_mul_i32 s1, s0, s20
	s_sub_i32 s1, s4, s1
	s_add_i32 s4, s0, 1
	s_sub_i32 s5, s1, s20
	s_cmp_ge_u32 s1, s20
	s_cselect_b32 s0, s4, s0
	s_cselect_b32 s1, s5, s1
	s_add_i32 s4, s0, 1
	s_cmp_ge_u32 s1, s20
	s_cselect_b32 s0, s4, s0
.LBB23_13:                              ;   in Loop: Header=BB23_9 Depth=1
	s_delay_alu instid0(SALU_CYCLE_1)
	s_cmp_lg_u32 s16, s0
	s_cbranch_scc0 .LBB23_17
; %bb.14:                               ;   in Loop: Header=BB23_9 Depth=1
	s_add_i32 s1, s18, s20
	s_mov_b32 s5, s12
	s_lshl_b32 s1, s1, 5
	s_mov_b32 s19, s16
	s_add_i32 s4, s1, s6
	s_mul_hi_u32 s1, s0, s8
	s_lshl_b64 s[4:5], s[4:5], 3
	s_delay_alu instid0(SALU_CYCLE_1) | instskip(SKIP_2) | instid1(SALU_CYCLE_1)
	s_add_u32 s4, s2, s4
	s_addc_u32 s5, s3, s5
	s_add_i32 s1, s1, s0
	s_lshr_b32 s1, s1, s9
	s_delay_alu instid0(SALU_CYCLE_1) | instskip(NEXT) | instid1(SALU_CYCLE_1)
	s_mul_i32 s13, s1, s10
	s_cmp_eq_u32 s13, s0
	s_cselect_b32 s13, -1, 0
	s_cmp_lt_u32 s1, s11
	s_cselect_b32 s1, -1, 0
	s_delay_alu instid0(SALU_CYCLE_1)
	s_or_b32 s1, s1, s13
	s_mov_b32 s13, -1
	s_and_b32 vcc_lo, exec_lo, s1
	s_mov_b32 s1, s18
	s_cbranch_vccnz .LBB23_16
; %bb.15:                               ;   in Loop: Header=BB23_9 Depth=1
	s_add_i32 s1, s18, -1
	s_mov_b32 s13, 0
	s_mov_b32 s19, s0
.LBB23_16:                              ;   in Loop: Header=BB23_9 Depth=1
	v_mad_u64_u32 v[9:10], null, 0xa00, s18, v[3:4]
	s_load_b64 s[4:5], s[4:5], 0x0
	s_delay_alu instid0(VALU_DEP_1) | instskip(NEXT) | instid1(VALU_DEP_1)
	v_ashrrev_i32_e32 v10, 31, v9
	v_lshlrev_b64 v[9:10], 2, v[9:10]
	s_delay_alu instid0(VALU_DEP_1) | instskip(NEXT) | instid1(VALU_DEP_2)
	v_add_co_u32 v9, vcc_lo, s15, v9
	v_add_co_ci_u32_e32 v10, vcc_lo, s17, v10, vcc_lo
	s_waitcnt lgkmcnt(0)
	v_max_f32_e64 v11, s4, s4
	global_load_b32 v10, v[9:10], off
	v_max_f32_e32 v9, v8, v8
	s_delay_alu instid0(VALU_DEP_1) | instskip(NEXT) | instid1(VALU_DEP_1)
	v_max_f32_e32 v9, v9, v11
	v_sub_f32_e32 v12, v8, v9
	s_delay_alu instid0(VALU_DEP_1) | instskip(NEXT) | instid1(VALU_DEP_1)
	v_dual_mul_f32 v14, 0x3fb8aa3b, v12 :: v_dual_sub_f32 v11, s4, v9
	v_rndne_f32_e32 v18, v14
	s_delay_alu instid0(VALU_DEP_2) | instskip(SKIP_2) | instid1(VALU_DEP_4)
	v_mul_f32_e32 v13, 0x3fb8aa3b, v11
	v_fma_f32 v17, 0x3fb8aa3b, v12, -v14
	v_cmp_ngt_f32_e32 vcc_lo, 0xc2ce8ed0, v11
	v_sub_f32_e32 v14, v14, v18
	s_delay_alu instid0(VALU_DEP_4) | instskip(SKIP_2) | instid1(VALU_DEP_3)
	v_fma_f32 v15, 0x3fb8aa3b, v11, -v13
	v_rndne_f32_e32 v16, v13
	v_fmac_f32_e32 v17, 0x32a5705f, v12
	v_fmac_f32_e32 v15, 0x32a5705f, v11
	s_delay_alu instid0(VALU_DEP_2) | instskip(NEXT) | instid1(VALU_DEP_1)
	v_dual_sub_f32 v13, v13, v16 :: v_dual_add_f32 v14, v14, v17
	v_add_f32_e32 v13, v13, v15
	s_delay_alu instid0(VALU_DEP_2) | instskip(SKIP_2) | instid1(VALU_DEP_3)
	v_exp_f32_e32 v14, v14
	v_cvt_i32_f32_e32 v15, v16
	v_cvt_i32_f32_e32 v16, v18
	v_exp_f32_e32 v13, v13
	s_waitcnt_depctr 0xfff
	v_ldexp_f32 v14, v14, v16
	v_ldexp_f32 v13, v13, v15
	s_delay_alu instid0(VALU_DEP_1) | instskip(SKIP_1) | instid1(VALU_DEP_4)
	v_cndmask_b32_e32 v13, 0, v13, vcc_lo
	v_cmp_ngt_f32_e32 vcc_lo, 0xc2ce8ed0, v12
	v_cndmask_b32_e32 v14, 0, v14, vcc_lo
	v_cmp_nlt_f32_e32 vcc_lo, 0x42b17218, v11
	s_delay_alu instid0(VALU_DEP_4) | instskip(SKIP_1) | instid1(VALU_DEP_4)
	v_cndmask_b32_e32 v13, 0x7f800000, v13, vcc_lo
	v_cmp_nlt_f32_e32 vcc_lo, 0x42b17218, v12
	v_cndmask_b32_e32 v14, 0x7f800000, v14, vcc_lo
	v_cmp_le_f32_e32 vcc_lo, 0xc1a00000, v11
	s_delay_alu instid0(VALU_DEP_4) | instskip(SKIP_1) | instid1(VALU_DEP_4)
	v_cndmask_b32_e32 v11, 0, v13, vcc_lo
	v_cmp_le_f32_e32 vcc_lo, 0xc1a00000, v12
	v_cndmask_b32_e32 v12, 0, v14, vcc_lo
	s_waitcnt vmcnt(0)
	s_delay_alu instid0(VALU_DEP_3) | instskip(NEXT) | instid1(VALU_DEP_1)
	v_mul_f32_e32 v10, v10, v11
	v_dual_mul_f32 v11, s5, v11 :: v_dual_fmac_f32 v10, v5, v12
	s_delay_alu instid0(VALU_DEP_1)
	v_fmac_f32_e32 v11, v7, v12
	s_cbranch_execz .LBB23_18
	s_branch .LBB23_19
.LBB23_17:                              ;   in Loop: Header=BB23_9 Depth=1
                                        ; implicit-def: $sgpr13
                                        ; implicit-def: $vgpr10
                                        ; implicit-def: $vgpr9
                                        ; implicit-def: $vgpr11
                                        ; implicit-def: $sgpr1
                                        ; implicit-def: $sgpr19
.LBB23_18:                              ;   in Loop: Header=BB23_9 Depth=1
	s_waitcnt vmcnt(0)
	v_dual_mov_b32 v11, v7 :: v_dual_mov_b32 v10, v5
	v_mov_b32_e32 v9, v8
	s_add_i32 s1, s18, -1
	s_mov_b32 s13, 0
	s_mov_b32 s19, s16
.LBB23_19:                              ;   in Loop: Header=BB23_9 Depth=1
	s_and_not1_b32 vcc_lo, exec_lo, s13
	s_cbranch_vccz .LBB23_23
; %bb.20:                               ;   in Loop: Header=BB23_9 Depth=1
	v_dual_mov_b32 v7, v11 :: v_dual_mov_b32 v8, v9
	s_waitcnt vmcnt(0)
	v_mov_b32_e32 v5, v10
	s_mov_b32 s16, s19
	s_mov_b32 s18, s1
	s_branch .LBB23_9
.LBB23_21:
                                        ; implicit-def: $sgpr16_sgpr17
	s_load_b128 s[8:11], s[0:1], 0x44
	s_branch .LBB23_2
.LBB23_22:
                                        ; implicit-def: $sgpr18_sgpr19
	s_branch .LBB23_5
.LBB23_23:
	v_div_scale_f32 v0, null, v11, v11, v10
	s_delay_alu instid0(VALU_DEP_1) | instskip(SKIP_2) | instid1(VALU_DEP_1)
	v_rcp_f32_e32 v3, v0
	s_waitcnt_depctr 0xfff
	v_fma_f32 v4, -v0, v3, 1.0
	v_fmac_f32_e32 v3, v4, v3
	v_div_scale_f32 v4, vcc_lo, v10, v11, v10
	s_waitcnt vmcnt(0)
	s_delay_alu instid0(VALU_DEP_1) | instskip(NEXT) | instid1(VALU_DEP_1)
	v_mul_f32_e32 v5, v4, v3
	v_fma_f32 v6, -v0, v5, v4
	s_delay_alu instid0(VALU_DEP_1) | instskip(NEXT) | instid1(VALU_DEP_1)
	v_fmac_f32_e32 v5, v6, v3
	v_fma_f32 v0, -v0, v5, v4
	s_delay_alu instid0(VALU_DEP_1) | instskip(NEXT) | instid1(VALU_DEP_1)
	v_div_fmas_f32 v0, v0, v3, v5
	v_div_fixup_f32 v0, v0, v11, v10
	global_store_b32 v[1:2], v0, off
.LBB23_24:
	s_nop 0
	s_sendmsg sendmsg(MSG_DEALLOC_VGPRS)
	s_endpgm
	.section	.rodata,"a",@progbits
	.p2align	6, 0x0
	.amdhsa_kernel _ZL33flash_attn_stream_k_fixup_generalILi80ELi8ELi4EEvPfPK15HIP_vector_typeIfLj2EEiiiiS1_IjLj3EES5_S5_S5_
		.amdhsa_group_segment_fixed_size 0
		.amdhsa_private_segment_fixed_size 0
		.amdhsa_kernarg_size 336
		.amdhsa_user_sgpr_count 13
		.amdhsa_user_sgpr_dispatch_ptr 0
		.amdhsa_user_sgpr_queue_ptr 0
		.amdhsa_user_sgpr_kernarg_segment_ptr 1
		.amdhsa_user_sgpr_dispatch_id 0
		.amdhsa_user_sgpr_private_segment_size 0
		.amdhsa_wavefront_size32 1
		.amdhsa_uses_dynamic_stack 0
		.amdhsa_enable_private_segment 0
		.amdhsa_system_sgpr_workgroup_id_x 1
		.amdhsa_system_sgpr_workgroup_id_y 1
		.amdhsa_system_sgpr_workgroup_id_z 1
		.amdhsa_system_sgpr_workgroup_info 0
		.amdhsa_system_vgpr_workitem_id 0
		.amdhsa_next_free_vgpr 19
		.amdhsa_next_free_sgpr 32
		.amdhsa_reserve_vcc 1
		.amdhsa_float_round_mode_32 0
		.amdhsa_float_round_mode_16_64 0
		.amdhsa_float_denorm_mode_32 3
		.amdhsa_float_denorm_mode_16_64 3
		.amdhsa_dx10_clamp 1
		.amdhsa_ieee_mode 1
		.amdhsa_fp16_overflow 0
		.amdhsa_workgroup_processor_mode 1
		.amdhsa_memory_ordered 1
		.amdhsa_forward_progress 0
		.amdhsa_shared_vgpr_count 0
		.amdhsa_exception_fp_ieee_invalid_op 0
		.amdhsa_exception_fp_denorm_src 0
		.amdhsa_exception_fp_ieee_div_zero 0
		.amdhsa_exception_fp_ieee_overflow 0
		.amdhsa_exception_fp_ieee_underflow 0
		.amdhsa_exception_fp_ieee_inexact 0
		.amdhsa_exception_int_div_zero 0
	.end_amdhsa_kernel
	.section	.text._ZL33flash_attn_stream_k_fixup_generalILi80ELi8ELi4EEvPfPK15HIP_vector_typeIfLj2EEiiiiS1_IjLj3EES5_S5_S5_,"axG",@progbits,_ZL33flash_attn_stream_k_fixup_generalILi80ELi8ELi4EEvPfPK15HIP_vector_typeIfLj2EEiiiiS1_IjLj3EES5_S5_S5_,comdat
.Lfunc_end23:
	.size	_ZL33flash_attn_stream_k_fixup_generalILi80ELi8ELi4EEvPfPK15HIP_vector_typeIfLj2EEiiiiS1_IjLj3EES5_S5_S5_, .Lfunc_end23-_ZL33flash_attn_stream_k_fixup_generalILi80ELi8ELi4EEvPfPK15HIP_vector_typeIfLj2EEiiiiS1_IjLj3EES5_S5_S5_
                                        ; -- End function
	.section	.AMDGPU.csdata,"",@progbits
; Kernel info:
; codeLenInByte = 3224
; NumSgprs: 34
; NumVgprs: 19
; ScratchSize: 0
; MemoryBound: 0
; FloatMode: 240
; IeeeMode: 1
; LDSByteSize: 0 bytes/workgroup (compile time only)
; SGPRBlocks: 4
; VGPRBlocks: 2
; NumSGPRsForWavesPerEU: 34
; NumVGPRsForWavesPerEU: 19
; Occupancy: 16
; WaveLimiterHint : 0
; COMPUTE_PGM_RSRC2:SCRATCH_EN: 0
; COMPUTE_PGM_RSRC2:USER_SGPR: 13
; COMPUTE_PGM_RSRC2:TRAP_HANDLER: 0
; COMPUTE_PGM_RSRC2:TGID_X_EN: 1
; COMPUTE_PGM_RSRC2:TGID_Y_EN: 1
; COMPUTE_PGM_RSRC2:TGID_Z_EN: 1
; COMPUTE_PGM_RSRC2:TIDIG_COMP_CNT: 0
	.section	.text._ZL15flash_attn_tileILi80ELi80ELi4ELi4ELb0EEvPKcS1_S1_S1_S1_PKiPfP15HIP_vector_typeIfLj2EEffffjfiS5_IjLj3EEiiiiiiiiiiiliiliiiiil,"axG",@progbits,_ZL15flash_attn_tileILi80ELi80ELi4ELi4ELb0EEvPKcS1_S1_S1_S1_PKiPfP15HIP_vector_typeIfLj2EEffffjfiS5_IjLj3EEiiiiiiiiiiiliiliiiiil,comdat
	.globl	_ZL15flash_attn_tileILi80ELi80ELi4ELi4ELb0EEvPKcS1_S1_S1_S1_PKiPfP15HIP_vector_typeIfLj2EEffffjfiS5_IjLj3EEiiiiiiiiiiiliiliiiiil ; -- Begin function _ZL15flash_attn_tileILi80ELi80ELi4ELi4ELb0EEvPKcS1_S1_S1_S1_PKiPfP15HIP_vector_typeIfLj2EEffffjfiS5_IjLj3EEiiiiiiiiiiiliiliiiiil
	.p2align	8
	.type	_ZL15flash_attn_tileILi80ELi80ELi4ELi4ELb0EEvPKcS1_S1_S1_S1_PKiPfP15HIP_vector_typeIfLj2EEffffjfiS5_IjLj3EEiiiiiiiiiiiliiliiiiil,@function
_ZL15flash_attn_tileILi80ELi80ELi4ELi4ELb0EEvPKcS1_S1_S1_S1_PKiPfP15HIP_vector_typeIfLj2EEffffjfiS5_IjLj3EEiiiiiiiiiiiliiliiiiil: ; @_ZL15flash_attn_tileILi80ELi80ELi4ELi4ELb0EEvPKcS1_S1_S1_S1_PKiPfP15HIP_vector_typeIfLj2EEffffjfiS5_IjLj3EEiiiiiiiiiiiliiliiiiil
; %bb.0:
	s_clause 0x1
	s_load_b128 s[36:39], s[0:1], 0x5c
	s_load_b64 s[34:35], s[0:1], 0x80
	s_mov_b64 s[40:41], 0
	s_waitcnt lgkmcnt(0)
	s_ashr_i32 s2, s39, 31
	s_delay_alu instid0(SALU_CYCLE_1) | instskip(NEXT) | instid1(SALU_CYCLE_1)
	s_lshr_b32 s2, s2, 30
	s_add_i32 s2, s39, s2
	s_delay_alu instid0(SALU_CYCLE_1) | instskip(NEXT) | instid1(SALU_CYCLE_1)
	s_ashr_i32 s2, s2, 2
	v_cvt_f32_u32_e32 v1, s2
	s_sub_i32 s4, 0, s2
	s_delay_alu instid0(VALU_DEP_1) | instskip(SKIP_2) | instid1(VALU_DEP_1)
	v_rcp_iflag_f32_e32 v1, v1
	s_waitcnt_depctr 0xfff
	v_mul_f32_e32 v1, 0x4f7ffffe, v1
	v_cvt_u32_f32_e32 v1, v1
	s_delay_alu instid0(VALU_DEP_1) | instskip(NEXT) | instid1(VALU_DEP_1)
	v_readfirstlane_b32 s3, v1
	s_mul_i32 s4, s4, s3
	s_delay_alu instid0(SALU_CYCLE_1) | instskip(NEXT) | instid1(SALU_CYCLE_1)
	s_mul_hi_u32 s4, s3, s4
	s_add_i32 s3, s3, s4
	s_delay_alu instid0(SALU_CYCLE_1) | instskip(NEXT) | instid1(SALU_CYCLE_1)
	s_mul_hi_u32 s3, s15, s3
	s_mul_i32 s4, s3, s2
	s_add_i32 s5, s3, 1
	s_sub_i32 s4, s15, s4
	s_delay_alu instid0(SALU_CYCLE_1)
	s_sub_i32 s6, s4, s2
	s_cmp_ge_u32 s4, s2
	s_cselect_b32 s3, s5, s3
	s_cselect_b32 s4, s6, s4
	s_add_i32 s5, s3, 1
	s_cmp_ge_u32 s4, s2
	s_cselect_b32 s11, s5, s3
	s_abs_i32 s2, s35
	s_abs_i32 s5, s39
	v_cvt_f32_u32_e32 v1, s2
	s_sub_i32 s4, 0, s2
	s_xor_b32 s6, s39, s35
	s_delay_alu instid0(SALU_CYCLE_1) | instskip(NEXT) | instid1(VALU_DEP_1)
	s_ashr_i32 s6, s6, 31
	v_rcp_iflag_f32_e32 v1, v1
	s_waitcnt_depctr 0xfff
	v_mul_f32_e32 v1, 0x4f7ffffe, v1
	s_delay_alu instid0(VALU_DEP_1) | instskip(NEXT) | instid1(VALU_DEP_1)
	v_cvt_u32_f32_e32 v1, v1
	v_readfirstlane_b32 s3, v1
	s_delay_alu instid0(VALU_DEP_1) | instskip(NEXT) | instid1(SALU_CYCLE_1)
	s_mul_i32 s4, s4, s3
	s_mul_hi_u32 s4, s3, s4
	s_delay_alu instid0(SALU_CYCLE_1) | instskip(SKIP_2) | instid1(SALU_CYCLE_1)
	s_add_i32 s3, s3, s4
	s_lshl_b32 s4, s15, 2
	s_mul_hi_u32 s3, s5, s3
	s_mul_i32 s7, s3, s2
	s_delay_alu instid0(SALU_CYCLE_1)
	s_sub_i32 s5, s5, s7
	s_add_i32 s7, s3, 1
	s_sub_i32 s8, s5, s2
	s_cmp_ge_u32 s5, s2
	s_cselect_b32 s3, s7, s3
	s_cselect_b32 s5, s8, s5
	s_add_i32 s7, s3, 1
	s_cmp_ge_u32 s5, s2
	s_mul_i32 s5, s11, s39
	s_cselect_b32 s2, s7, s3
	s_delay_alu instid0(SALU_CYCLE_1) | instskip(NEXT) | instid1(SALU_CYCLE_1)
	s_xor_b32 s2, s2, s6
	s_sub_i32 s9, s2, s6
	s_clause 0x1
	s_load_b512 s[16:31], s[0:1], 0x0
	s_load_b64 s[2:3], s[0:1], 0xb8
	s_abs_i32 s8, s9
	s_delay_alu instid0(SALU_CYCLE_1) | instskip(NEXT) | instid1(VALU_DEP_1)
	v_cvt_f32_u32_e32 v1, s8
	v_rcp_iflag_f32_e32 v1, v1
	s_waitcnt_depctr 0xfff
	v_mul_f32_e32 v1, 0x4f7ffffe, v1
	s_waitcnt lgkmcnt(0)
	s_cmp_eq_u64 s[22:23], 0
	s_delay_alu instid0(VALU_DEP_1) | instskip(NEXT) | instid1(VALU_DEP_1)
	v_cvt_u32_f32_e32 v1, v1
	v_readfirstlane_b32 s10, v1
	s_cbranch_scc1 .LBB24_2
; %bb.1:
	s_abs_i32 s2, s2
	s_abs_i32 s12, s11
	v_cvt_f32_u32_e32 v1, s2
	s_sub_i32 s7, 0, s2
	s_delay_alu instid0(VALU_DEP_1) | instskip(SKIP_2) | instid1(VALU_DEP_1)
	v_rcp_iflag_f32_e32 v1, v1
	s_waitcnt_depctr 0xfff
	v_mul_f32_e32 v1, 0x4f7ffffe, v1
	v_cvt_u32_f32_e32 v1, v1
	s_delay_alu instid0(VALU_DEP_1) | instskip(NEXT) | instid1(VALU_DEP_1)
	v_readfirstlane_b32 s6, v1
	s_mul_i32 s7, s7, s6
	s_delay_alu instid0(SALU_CYCLE_1) | instskip(NEXT) | instid1(SALU_CYCLE_1)
	s_mul_hi_u32 s7, s6, s7
	s_add_i32 s15, s6, s7
	s_load_b64 s[6:7], s[0:1], 0xc8
	s_mul_hi_u32 s15, s12, s15
	s_delay_alu instid0(SALU_CYCLE_1) | instskip(NEXT) | instid1(SALU_CYCLE_1)
	s_mul_i32 s15, s15, s2
	s_sub_i32 s12, s12, s15
	s_ashr_i32 s15, s11, 31
	s_sub_i32 s33, s12, s2
	s_cmp_ge_u32 s12, s2
	s_cselect_b32 s12, s33, s12
	s_delay_alu instid0(SALU_CYCLE_1) | instskip(SKIP_2) | instid1(SALU_CYCLE_1)
	s_sub_i32 s33, s12, s2
	s_cmp_ge_u32 s12, s2
	s_cselect_b32 s2, s33, s12
	s_xor_b32 s2, s2, s15
	s_delay_alu instid0(SALU_CYCLE_1)
	s_sub_i32 s2, s2, s15
	s_waitcnt lgkmcnt(0)
	s_mul_i32 s7, s2, s7
	s_mul_hi_u32 s12, s2, s6
	s_ashr_i32 s15, s2, 31
	s_add_i32 s7, s12, s7
	s_mul_i32 s15, s15, s6
	s_mul_i32 s2, s2, s6
	s_add_i32 s7, s7, s15
	s_add_u32 s40, s22, s2
	s_addc_u32 s41, s23, s7
.LBB24_2:
	v_bfe_u32 v1, v0, 10, 10
	v_and_b32_e32 v49, 0x3ff, v0
	s_sub_i32 s15, s4, s5
	s_delay_alu instid0(VALU_DEP_2) | instskip(SKIP_1) | instid1(VALU_DEP_3)
	v_lshrrev_b32_e32 v2, 1, v1
	v_lshlrev_b32_e32 v3, 1, v1
	v_cmp_gt_u32_e64 s2, 20, v49
	v_lshlrev_b32_e32 v48, 2, v49
	v_lshlrev_b32_e32 v0, 1, v49
	v_lshl_add_u32 v50, s13, 2, v2
	v_and_b32_e32 v62, 2, v3
	s_delay_alu instid0(VALU_DEP_2) | instskip(NEXT) | instid1(VALU_DEP_1)
	v_mul_hi_u32 v2, s36, v50
	v_add_nc_u32_e32 v2, v50, v2
	s_delay_alu instid0(VALU_DEP_1) | instskip(NEXT) | instid1(VALU_DEP_1)
	v_lshrrev_b32_e32 v2, s37, v2
	v_mul_lo_u32 v2, v2, s38
	s_delay_alu instid0(VALU_DEP_1)
	v_sub_nc_u32_e32 v2, v50, v2
	s_and_saveexec_b32 s12, s2
	s_cbranch_execz .LBB24_4
; %bb.3:
	s_load_b128 s[4:7], s[0:1], 0x70
	v_or_b32_e32 v12, 1, v3
	s_delay_alu instid0(VALU_DEP_1)
	v_mul_u32_u24_e32 v16, 40, v12
	s_waitcnt lgkmcnt(0)
	s_mul_i32 s6, s11, s6
	s_mul_i32 s7, s15, s5
	s_ashr_i32 s22, s6, 31
	s_add_u32 s6, s16, s6
	s_addc_u32 s16, s17, s22
	s_ashr_i32 s17, s7, 31
	s_add_u32 s6, s6, s7
	s_addc_u32 s7, s16, s17
	s_ashr_i32 s16, s4, 31
	s_delay_alu instid0(SALU_CYCLE_1) | instskip(SKIP_2) | instid1(SALU_CYCLE_1)
	v_alignbit_b32 v5, s16, s4, 2
	s_lshr_b32 s16, s16, 2
	s_ashr_i32 s4, s5, 31
	v_alignbit_b32 v10, s4, s5, 2
	s_delay_alu instid0(VALU_DEP_2) | instskip(SKIP_4) | instid1(VALU_DEP_3)
	v_mad_u64_u32 v[3:4], null, v5, v2, 0
	s_lshr_b32 s17, s4, 2
	s_load_b32 s4, s[0:1], 0x40
	v_mul_lo_u32 v11, s17, v62
	v_mad_u64_u32 v[8:9], null, v10, v62, 0
	v_mad_u64_u32 v[5:6], null, s16, v2, v[4:5]
	v_and_b32_e32 v13, 3, v12
	s_delay_alu instid0(VALU_DEP_3) | instskip(NEXT) | instid1(VALU_DEP_3)
	v_or_b32_e32 v9, v9, v11
	v_mov_b32_e32 v4, v5
	s_delay_alu instid0(VALU_DEP_3) | instskip(NEXT) | instid1(VALU_DEP_3)
	v_mad_u64_u32 v[6:7], null, v10, v13, 0
	v_lshlrev_b64 v[8:9], 2, v[8:9]
	s_delay_alu instid0(VALU_DEP_3) | instskip(NEXT) | instid1(VALU_DEP_3)
	v_lshlrev_b64 v[3:4], 2, v[3:4]
	v_mov_b32_e32 v5, v7
	s_delay_alu instid0(VALU_DEP_2) | instskip(NEXT) | instid1(VALU_DEP_3)
	v_add_co_u32 v3, vcc_lo, s6, v3
	v_add_co_ci_u32_e32 v4, vcc_lo, s7, v4, vcc_lo
	s_delay_alu instid0(VALU_DEP_3) | instskip(SKIP_1) | instid1(VALU_DEP_2)
	v_mad_u64_u32 v[10:11], null, s17, v13, v[5:6]
	v_lshlrev_b32_e32 v5, 2, v48
	v_mov_b32_e32 v7, v10
	s_delay_alu instid0(VALU_DEP_2) | instskip(SKIP_1) | instid1(VALU_DEP_3)
	v_add_co_u32 v10, vcc_lo, v3, v5
	v_add_co_ci_u32_e32 v11, vcc_lo, 0, v4, vcc_lo
	v_lshlrev_b64 v[3:4], 2, v[6:7]
	s_delay_alu instid0(VALU_DEP_3) | instskip(NEXT) | instid1(VALU_DEP_3)
	v_add_co_u32 v5, vcc_lo, v10, v8
	v_add_co_ci_u32_e32 v6, vcc_lo, v11, v9, vcc_lo
	s_delay_alu instid0(VALU_DEP_3) | instskip(NEXT) | instid1(VALU_DEP_4)
	v_add_co_u32 v7, vcc_lo, v10, v3
	v_add_co_ci_u32_e32 v8, vcc_lo, v11, v4, vcc_lo
	s_clause 0x1
	global_load_b128 v[3:6], v[5:6], off
	global_load_b128 v[7:10], v[7:8], off
	v_mul_u32_u24_e32 v11, 0x50, v1
	s_delay_alu instid0(VALU_DEP_1)
	v_add_lshl_u32 v15, v11, v0, 2
	s_waitcnt vmcnt(1) lgkmcnt(0)
	v_fma_mixlo_f16 v12, v5, s4, 0
	v_fma_mixlo_f16 v11, v3, s4, 0
	s_waitcnt vmcnt(0)
	v_fma_mixlo_f16 v14, v9, s4, 0
	v_fma_mixlo_f16 v13, v7, s4, 0
	v_add_lshl_u32 v3, v16, v0, 2
	v_fma_mixhi_f16 v12, v6, s4, 0
	v_fma_mixhi_f16 v11, v4, s4, 0
	v_fma_mixhi_f16 v14, v10, s4, 0
	v_fma_mixhi_f16 v13, v8, s4, 0
	ds_store_b64 v15, v[11:12] offset:3264
	ds_store_b64 v3, v[13:14] offset:3264
.LBB24_4:
	s_or_b32 exec_lo, exec_lo, s12
	s_cmp_eq_u64 s[26:27], 0
	s_waitcnt lgkmcnt(0)
	s_barrier
	buffer_gl0_inv
	s_cbranch_scc1 .LBB24_6
; %bb.5:
	s_load_b32 s4, s[0:1], 0xd0
	s_mov_b32 s5, 0
	s_waitcnt lgkmcnt(0)
	s_mul_i32 s4, s4, s11
	s_delay_alu instid0(SALU_CYCLE_1) | instskip(NEXT) | instid1(SALU_CYCLE_1)
	s_add_i32 s4, s4, s13
	s_lshl_b64 s[4:5], s[4:5], 2
	s_delay_alu instid0(SALU_CYCLE_1)
	s_add_u32 s4, s26, s4
	s_addc_u32 s5, s27, s5
	s_load_b32 s34, s[4:5], 0x0
.LBB24_6:
	v_mbcnt_lo_u32_b32 v63, -1, 0
	s_lshl_b32 s16, s14, 5
	s_waitcnt lgkmcnt(0)
	s_cmp_lt_i32 s16, s34
	s_cbranch_scc1 .LBB24_8
; %bb.7:
	v_mbcnt_lo_u32_b32 v3, -1, 0
	v_mov_b32_e32 v66, 32
	s_mov_b32 s4, 0
	s_mov_b32 s5, 0xfeffffff
	s_delay_alu instid0(VALU_DEP_2)
	v_xor_b32_e32 v83, 16, v3
	v_xor_b32_e32 v84, 8, v3
	v_xor_b32_e32 v85, 4, v3
	v_xor_b32_e32 v86, 2, v3
	v_xor_b32_e32 v87, 1, v3
	s_branch .LBB24_9
.LBB24_8:
	s_mov_b32 s4, -1
                                        ; implicit-def: $sgpr5
                                        ; implicit-def: $vgpr3
                                        ; implicit-def: $vgpr66
                                        ; implicit-def: $vgpr83
                                        ; implicit-def: $vgpr84
                                        ; implicit-def: $vgpr85
                                        ; implicit-def: $vgpr86
                                        ; implicit-def: $vgpr87
.LBB24_9:
	s_delay_alu instid0(SALU_CYCLE_1) | instskip(SKIP_2) | instid1(VALU_DEP_3)
	v_cndmask_b32_e64 v4, 0, 1, s4
	v_dual_mov_b32 v61, s5 :: v_dual_mov_b32 v88, s4
	v_dual_mov_b32 v67, s4 :: v_dual_mov_b32 v60, s5
	v_cmp_ne_u32_e32 vcc_lo, 1, v4
	v_dual_mov_b32 v89, s4 :: v_dual_mov_b32 v68, s4
	v_dual_mov_b32 v65, s4 :: v_dual_mov_b32 v64, s4
	s_cbranch_vccnz .LBB24_30
; %bb.10:
	s_clause 0x1
	s_load_b128 s[4:7], s[0:1], 0x98
	s_load_b64 s[12:13], s[0:1], 0x8c
	s_sub_i32 s17, 0, s8
	s_abs_i32 s23, s15
	s_mul_i32 s17, s17, s10
	s_ashr_i32 s35, s3, 1
	s_mul_hi_u32 s17, s10, s17
	s_ashr_i32 s33, s15, 31
	s_add_i32 s10, s10, s17
	s_ashr_i32 s9, s9, 31
	s_mul_hi_u32 s3, s23, s10
	s_ashr_i32 s10, s11, 31
	s_load_b64 s[26:27], s[0:1], 0xa8
	s_mul_i32 s36, s3, s8
	v_lshrrev_b32_e32 v3, 2, v49
	v_dual_mov_b32 v64, 0 :: v_dual_and_b32 v9, 12, v48
	v_lshrrev_b32_e32 v8, 1, v49
	v_lshl_add_u32 v73, v1, 7, 0x16c0
	s_delay_alu instid0(VALU_DEP_4)
	v_lshl_add_u32 v6, v1, 3, v3
	s_waitcnt lgkmcnt(0)
	s_ashr_i32 s17, s6, 2
	s_mul_i32 s5, s11, s5
	s_mul_hi_u32 s6, s11, s4
	s_ashr_i32 s22, s12, 2
	s_mul_i32 s12, s10, s4
	s_add_i32 s5, s6, s5
	s_mul_i32 s4, s11, s4
	s_add_i32 s5, s5, s12
	s_add_u32 s4, s18, s4
	s_addc_u32 s5, s19, s5
	s_xor_b32 s6, s33, s9
	s_sub_i32 s9, s23, s36
	s_add_i32 s12, s3, 1
	s_sub_i32 s18, s9, s8
	s_cmp_ge_u32 s9, s8
	v_lshlrev_b32_e32 v7, 2, v9
	s_cselect_b32 s3, s12, s3
	s_cselect_b32 s9, s18, s9
	s_add_i32 s12, s3, 1
	s_cmp_ge_u32 s9, s8
	v_lshl_add_u32 v8, v1, 4, v8
	s_cselect_b32 s3, s12, s3
	v_lshl_add_u32 v75, v0, 1, v73
	v_dual_mov_b32 v66, 32 :: v_dual_lshlrev_b32 v77, 2, v0
	v_mov_b32_e32 v0, 0xfeffffff
	v_mad_u32_u24 v72, 0x60, v6, v7
	v_lshrrev_b32_e32 v7, 3, v49
	s_xor_b32 s3, s3, s6
	v_mad_u64_u32 v[51:52], null, v2, s35, v[49:50]
	s_sub_i32 s3, s3, s6
	v_dual_mov_b32 v65, 0 :: v_dual_and_b32 v74, 4, v48
	v_mul_u32_u24_e32 v2, 0xa0, v8
	v_lshl_add_u32 v4, v1, 5, v49
	s_mul_i32 s6, s3, s13
	v_mul_u32_u24_e32 v70, 0x140, v1
	v_lshl_add_u32 v10, v1, 2, v7
	v_mul_lo_u32 v1, s17, v8
	s_mul_i32 s8, s11, s27
	s_mul_hi_u32 s9, s11, s26
	s_ashr_i32 s13, s6, 31
	s_add_u32 s18, s4, s6
	v_dual_mov_b32 v67, 0 :: v_dual_and_b32 v76, 28, v48
	v_lshl_or_b32 v2, v74, 2, v2
	s_mul_i32 s10, s10, s26
	s_addc_u32 s19, s5, s13
	s_add_i32 s4, s9, s8
	s_mul_i32 s12, s11, s26
	v_mul_lo_u32 v3, s22, v4
	v_mul_lo_u32 v5, s22, v6
	;; [unrolled: 1-line block ×3, first 2 shown]
	s_add_i32 s4, s4, s10
	s_add_u32 s5, s20, s12
	s_addc_u32 s6, s21, s4
	v_cmp_gt_u32_e64 s4, 16, v8
	v_lshlrev_b32_e32 v8, 2, v76
	v_dual_mov_b32 v81, 0 :: v_dual_add_nc_u32 v78, 0x80, v2
	v_ashrrev_i32_e32 v2, 31, v1
	s_mul_i32 s3, s3, s7
	v_cmp_gt_u32_e32 vcc_lo, 32, v4
	s_ashr_i32 s7, s3, 31
	s_add_u32 s20, s5, s3
	v_cmp_gt_u32_e64 s3, 32, v6
	v_mad_u32_u24 v71, 0x60, v4, 64
	v_ashrrev_i32_e32 v4, 31, v3
	v_ashrrev_i32_e32 v6, 31, v5
	v_lshlrev_b64 v[56:57], 2, v[1:2]
	v_mov_b32_e32 v1, 0xfeffffff
	v_mad_u32_u24 v79, 0xa0, v10, v8
	v_ashrrev_i32_e32 v8, 31, v7
	v_lshlrev_b64 v[52:53], 2, v[3:4]
	v_lshlrev_b64 v[54:55], 2, v[5:6]
	v_mul_u32_u24_e32 v69, 0x60, v49
	v_cmp_gt_u32_e64 s5, 16, v10
	v_lshlrev_b64 v[58:59], 2, v[7:8]
	v_lshlrev_b32_e32 v80, 2, v9
	v_mov_b32_e32 v68, 0
	v_mov_b32_e32 v82, 0
	s_addc_u32 s21, s6, s7
	s_add_u32 s12, s0, 0xd0
	s_addc_u32 s13, s1, 0
.LBB24_11:                              ; =>This Inner Loop Header: Depth=1
	s_mul_hi_i32 s7, s16, s22
	s_mul_i32 s6, s16, s22
	s_delay_alu instid0(SALU_CYCLE_1) | instskip(NEXT) | instid1(SALU_CYCLE_1)
	s_lshl_b64 s[8:9], s[6:7], 2
	s_add_u32 s7, s18, s8
	s_addc_u32 s8, s19, s9
	s_and_saveexec_b32 s9, vcc_lo
	s_cbranch_execz .LBB24_13
; %bb.12:                               ;   in Loop: Header=BB24_11 Depth=1
	v_add_co_u32 v2, s6, s7, v52
	s_delay_alu instid0(VALU_DEP_1)
	v_add_co_ci_u32_e64 v3, s6, s8, v53, s6
	global_load_b128 v[2:5], v[2:3], off offset:64
	s_waitcnt vmcnt(0)
	ds_store_b128 v71, v[2:5]
.LBB24_13:                              ;   in Loop: Header=BB24_11 Depth=1
	s_or_b32 exec_lo, exec_lo, s9
	s_and_saveexec_b32 s9, s3
	s_cbranch_execz .LBB24_15
; %bb.14:                               ;   in Loop: Header=BB24_11 Depth=1
	v_add_co_u32 v2, s6, s7, v54
	s_delay_alu instid0(VALU_DEP_1) | instskip(NEXT) | instid1(VALU_DEP_2)
	v_add_co_ci_u32_e64 v3, s6, s8, v55, s6
	v_add_co_u32 v2, s6, v2, v80
	s_delay_alu instid0(VALU_DEP_1)
	v_add_co_ci_u32_e64 v3, s6, 0, v3, s6
	global_load_b128 v[2:5], v[2:3], off
	s_waitcnt vmcnt(0)
	ds_store_b128 v72, v[2:5]
.LBB24_15:                              ;   in Loop: Header=BB24_11 Depth=1
	s_or_b32 exec_lo, exec_lo, s9
	s_waitcnt lgkmcnt(0)
	s_barrier
	buffer_gl0_inv
	ds_load_b128 v[4:7], v69
	ds_load_b128 v[8:11], v70 offset:3264
	ds_load_b128 v[12:15], v70 offset:3424
	v_dual_mov_b32 v2, 0 :: v_dual_mov_b32 v3, 0
	s_waitcnt lgkmcnt(1)
	;;#ASMSTART
	v_dot2_f32_f16 v2, v4, v8, v2
	;;#ASMEND
	;;#ASMSTART
	v_dot2_f32_f16 v2, v5, v9, v2
	;;#ASMEND
	;;#ASMSTART
	v_dot2_f32_f16 v2, v6, v10, v2
	;;#ASMEND
	;;#ASMSTART
	v_dot2_f32_f16 v2, v7, v11, v2
	;;#ASMEND
	s_waitcnt lgkmcnt(0)
	;;#ASMSTART
	v_dot2_f32_f16 v3, v4, v12, v3
	;;#ASMEND
	;;#ASMSTART
	v_dot2_f32_f16 v3, v5, v13, v3
	;;#ASMEND
	;;#ASMSTART
	v_dot2_f32_f16 v3, v6, v14, v3
	;;#ASMEND
	;;#ASMSTART
	v_dot2_f32_f16 v3, v7, v15, v3
	;;#ASMEND
	ds_load_b128 v[4:7], v69 offset:16
	ds_load_b128 v[8:11], v70 offset:3280
	ds_load_b128 v[12:15], v70 offset:3440
	s_waitcnt lgkmcnt(1)
	;;#ASMSTART
	v_dot2_f32_f16 v2, v4, v8, v2
	;;#ASMEND
	;;#ASMSTART
	v_dot2_f32_f16 v2, v5, v9, v2
	;;#ASMEND
	;;#ASMSTART
	v_dot2_f32_f16 v2, v6, v10, v2
	;;#ASMEND
	;;#ASMSTART
	v_dot2_f32_f16 v2, v7, v11, v2
	;;#ASMEND
	s_waitcnt lgkmcnt(0)
	;;#ASMSTART
	v_dot2_f32_f16 v3, v4, v12, v3
	;;#ASMEND
	;;#ASMSTART
	v_dot2_f32_f16 v3, v5, v13, v3
	;;#ASMEND
	;;#ASMSTART
	v_dot2_f32_f16 v3, v6, v14, v3
	;;#ASMEND
	;;#ASMSTART
	v_dot2_f32_f16 v3, v7, v15, v3
	;;#ASMEND
	ds_load_b128 v[4:7], v69 offset:32
	ds_load_b128 v[8:11], v70 offset:3296
	ds_load_b128 v[12:15], v70 offset:3456
	;; [unrolled: 29-line block ×4, first 2 shown]
	s_waitcnt lgkmcnt(1)
	;;#ASMSTART
	v_dot2_f32_f16 v2, v4, v8, v2
	;;#ASMEND
	;;#ASMSTART
	v_dot2_f32_f16 v2, v5, v9, v2
	;;#ASMEND
	;; [unrolled: 3-line block ×4, first 2 shown]
	s_waitcnt lgkmcnt(0)
	;;#ASMSTART
	v_dot2_f32_f16 v3, v4, v12, v3
	;;#ASMEND
	;;#ASMSTART
	v_dot2_f32_f16 v3, v5, v13, v3
	;;#ASMEND
	;; [unrolled: 3-line block ×4, first 2 shown]
	s_barrier
	buffer_gl0_inv
	s_and_saveexec_b32 s9, vcc_lo
	s_cbranch_execz .LBB24_17
; %bb.16:                               ;   in Loop: Header=BB24_11 Depth=1
	v_add_co_u32 v4, s6, s7, v52
	s_delay_alu instid0(VALU_DEP_1)
	v_add_co_ci_u32_e64 v5, s6, s8, v53, s6
	global_load_b128 v[4:7], v[4:5], off offset:144
	s_waitcnt vmcnt(0)
	ds_store_b128 v71, v[4:7]
.LBB24_17:                              ;   in Loop: Header=BB24_11 Depth=1
	s_or_b32 exec_lo, exec_lo, s9
	s_and_saveexec_b32 s9, s3
	s_cbranch_execz .LBB24_19
; %bb.18:                               ;   in Loop: Header=BB24_11 Depth=1
	v_add_co_u32 v4, s6, s7, v54
	s_delay_alu instid0(VALU_DEP_1) | instskip(NEXT) | instid1(VALU_DEP_2)
	v_add_co_ci_u32_e64 v5, s6, s8, v55, s6
	v_add_co_u32 v4, s6, v4, v80
	s_delay_alu instid0(VALU_DEP_1)
	v_add_co_ci_u32_e64 v5, s6, 0, v5, s6
	global_load_b128 v[4:7], v[4:5], off offset:80
	s_waitcnt vmcnt(0)
	ds_store_b128 v72, v[4:7]
.LBB24_19:                              ;   in Loop: Header=BB24_11 Depth=1
	s_or_b32 exec_lo, exec_lo, s9
	s_waitcnt lgkmcnt(0)
	s_barrier
	buffer_gl0_inv
	ds_load_b128 v[4:7], v69
	ds_load_b128 v[8:11], v70 offset:3344
	ds_load_b128 v[12:15], v70 offset:3504
	v_xor_b32_e32 v83, 16, v63
	v_xor_b32_e32 v84, 8, v63
	;; [unrolled: 1-line block ×5, first 2 shown]
	s_mul_hi_i32 s27, s16, s17
	s_mul_i32 s26, s16, s17
	v_lshlrev_b32_e32 v94, 2, v74
	s_lshl_b64 s[26:27], s[26:27], 2
	s_waitcnt lgkmcnt(1)
	;;#ASMSTART
	v_dot2_f32_f16 v2, v4, v8, v2
	;;#ASMEND
	;;#ASMSTART
	v_dot2_f32_f16 v2, v5, v9, v2
	;;#ASMEND
	;; [unrolled: 3-line block ×4, first 2 shown]
	s_waitcnt lgkmcnt(0)
	;;#ASMSTART
	v_dot2_f32_f16 v3, v4, v12, v3
	;;#ASMEND
	;;#ASMSTART
	v_dot2_f32_f16 v3, v5, v13, v3
	;;#ASMEND
	;; [unrolled: 3-line block ×4, first 2 shown]
	ds_load_b128 v[4:7], v69 offset:16
	ds_load_b128 v[8:11], v70 offset:3360
	;; [unrolled: 1-line block ×3, first 2 shown]
	s_add_u32 s23, s20, s26
	s_addc_u32 s26, s21, s27
	s_waitcnt lgkmcnt(1)
	;;#ASMSTART
	v_dot2_f32_f16 v2, v4, v8, v2
	;;#ASMEND
	;;#ASMSTART
	v_dot2_f32_f16 v2, v5, v9, v2
	;;#ASMEND
	;;#ASMSTART
	v_dot2_f32_f16 v2, v6, v10, v2
	;;#ASMEND
	;;#ASMSTART
	v_dot2_f32_f16 v2, v7, v11, v2
	;;#ASMEND
	s_waitcnt lgkmcnt(0)
	;;#ASMSTART
	v_dot2_f32_f16 v3, v4, v12, v3
	;;#ASMEND
	;;#ASMSTART
	v_dot2_f32_f16 v3, v5, v13, v3
	;;#ASMEND
	;;#ASMSTART
	v_dot2_f32_f16 v3, v6, v14, v3
	;;#ASMEND
	;;#ASMSTART
	v_dot2_f32_f16 v3, v7, v15, v3
	;;#ASMEND
	ds_load_b128 v[4:7], v69 offset:32
	ds_load_b128 v[8:11], v70 offset:3376
	ds_load_b128 v[12:15], v70 offset:3536
	s_waitcnt lgkmcnt(1)
	;;#ASMSTART
	v_dot2_f32_f16 v2, v4, v8, v2
	;;#ASMEND
	;;#ASMSTART
	v_dot2_f32_f16 v2, v5, v9, v2
	;;#ASMEND
	;;#ASMSTART
	v_dot2_f32_f16 v2, v6, v10, v2
	;;#ASMEND
	;;#ASMSTART
	v_dot2_f32_f16 v2, v7, v11, v2
	;;#ASMEND
	s_waitcnt lgkmcnt(0)
	;;#ASMSTART
	v_dot2_f32_f16 v3, v4, v12, v3
	;;#ASMEND
	;;#ASMSTART
	v_dot2_f32_f16 v3, v5, v13, v3
	;;#ASMEND
	;;#ASMSTART
	v_dot2_f32_f16 v3, v6, v14, v3
	;;#ASMEND
	;;#ASMSTART
	v_dot2_f32_f16 v3, v7, v15, v3
	;;#ASMEND
	ds_load_b128 v[4:7], v69 offset:48
	ds_load_b128 v[8:11], v70 offset:3392
	ds_load_b128 v[12:15], v70 offset:3552
	;; [unrolled: 29-line block ×3, first 2 shown]
	s_waitcnt lgkmcnt(1)
	;;#ASMSTART
	v_dot2_f32_f16 v2, v4, v8, v2
	;;#ASMEND
	;;#ASMSTART
	v_dot2_f32_f16 v2, v5, v9, v2
	;;#ASMEND
	;; [unrolled: 3-line block ×4, first 2 shown]
	s_waitcnt lgkmcnt(0)
	;;#ASMSTART
	v_dot2_f32_f16 v3, v4, v12, v3
	;;#ASMEND
	;;#ASMSTART
	v_dot2_f32_f16 v3, v5, v13, v3
	;;#ASMEND
	;; [unrolled: 3-line block ×4, first 2 shown]
	v_dual_max_f32 v7, v0, v0 :: v_dual_add_nc_u32 v16, s16, v51
	s_delay_alu instid0(VALU_DEP_1) | instskip(NEXT) | instid1(VALU_DEP_1)
	v_ashrrev_i32_e32 v17, 31, v16
	v_lshlrev_b64 v[16:17], 1, v[16:17]
	s_delay_alu instid0(VALU_DEP_1) | instskip(NEXT) | instid1(VALU_DEP_1)
	v_add_co_u32 v16, s6, s40, v16
	v_add_co_ci_u32_e64 v17, s6, s41, v17, s6
	v_cmp_gt_i32_e64 s6, 32, v83
	flat_load_u16 v4, v[16:17]
	s_waitcnt vmcnt(0) lgkmcnt(0)
	s_barrier
	buffer_gl0_inv
	v_cvt_f32_f16_e32 v4, v4
	s_delay_alu instid0(VALU_DEP_1) | instskip(SKIP_3) | instid1(VALU_DEP_4)
	v_dual_max_f32 v5, v1, v1 :: v_dual_add_f32 v2, v2, v4
	v_add_f32_e32 v3, v3, v4
	v_cndmask_b32_e64 v4, v63, v83, s6
	v_cmp_gt_i32_e64 s6, 32, v84
	v_add_f32_e32 v8, 0x40051340, v2
	s_delay_alu instid0(VALU_DEP_4) | instskip(NEXT) | instid1(VALU_DEP_1)
	v_add_f32_e32 v6, 0x40051340, v3
	v_dual_max_f32 v5, v5, v6 :: v_dual_lshlrev_b32 v4, 2, v4
	s_delay_alu instid0(VALU_DEP_3)
	v_max_f32_e32 v6, v7, v8
	v_cndmask_b32_e64 v8, v63, v84, s6
	v_cmp_gt_i32_e64 s6, 32, v85
	ds_bpermute_b32 v7, v4, v5
	s_waitcnt lgkmcnt(0)
	v_max_f32_e32 v7, v7, v7
	s_delay_alu instid0(VALU_DEP_1) | instskip(SKIP_4) | instid1(VALU_DEP_1)
	v_max_f32_e32 v5, v5, v7
	ds_bpermute_b32 v4, v4, v6
	v_lshlrev_b32_e32 v8, 2, v8
	s_waitcnt lgkmcnt(0)
	v_max_f32_e32 v4, v4, v4
	v_max_f32_e32 v4, v6, v4
	ds_bpermute_b32 v6, v8, v5
	s_waitcnt lgkmcnt(0)
	v_max_f32_e32 v6, v6, v6
	s_delay_alu instid0(VALU_DEP_1) | instskip(SKIP_3) | instid1(VALU_DEP_2)
	v_max_f32_e32 v5, v5, v6
	ds_bpermute_b32 v7, v8, v4
	v_cndmask_b32_e64 v8, v63, v85, s6
	v_cmp_gt_i32_e64 s6, 32, v86
	v_lshlrev_b32_e32 v8, 2, v8
	ds_bpermute_b32 v6, v8, v5
	s_waitcnt lgkmcnt(0)
	v_dual_max_f32 v7, v7, v7 :: v_dual_max_f32 v6, v6, v6
	s_delay_alu instid0(VALU_DEP_1) | instskip(SKIP_3) | instid1(VALU_DEP_2)
	v_dual_max_f32 v5, v5, v6 :: v_dual_max_f32 v4, v4, v7
	ds_bpermute_b32 v7, v8, v4
	v_cndmask_b32_e64 v8, v63, v86, s6
	v_cmp_gt_i32_e64 s6, 32, v87
	v_lshlrev_b32_e32 v8, 2, v8
	ds_bpermute_b32 v6, v8, v5
	s_waitcnt lgkmcnt(0)
	v_dual_max_f32 v7, v7, v7 :: v_dual_max_f32 v6, v6, v6
	s_delay_alu instid0(VALU_DEP_1) | instskip(SKIP_2) | instid1(VALU_DEP_1)
	v_dual_max_f32 v5, v5, v6 :: v_dual_max_f32 v4, v4, v7
	ds_bpermute_b32 v7, v8, v4
	v_cndmask_b32_e64 v8, v63, v87, s6
	v_lshlrev_b32_e32 v8, 2, v8
	ds_bpermute_b32 v6, v8, v5
	s_waitcnt lgkmcnt(0)
	v_dual_max_f32 v7, v7, v7 :: v_dual_max_f32 v6, v6, v6
	s_delay_alu instid0(VALU_DEP_1) | instskip(NEXT) | instid1(VALU_DEP_1)
	v_max_f32_e32 v61, v5, v6
	v_sub_f32_e32 v93, v1, v61
	s_delay_alu instid0(VALU_DEP_3) | instskip(NEXT) | instid1(VALU_DEP_2)
	v_dual_sub_f32 v3, v3, v61 :: v_dual_max_f32 v4, v4, v7
	v_cmp_ngt_f32_e64 s9, 0xc2ce8ed0, v93
	s_delay_alu instid0(VALU_DEP_2) | instskip(SKIP_4) | instid1(VALU_DEP_1)
	v_cmp_ngt_f32_e64 s6, 0xc2ce8ed0, v3
	ds_bpermute_b32 v7, v8, v4
	v_cmp_nlt_f32_e64 s8, 0x42b17218, v93
	s_waitcnt lgkmcnt(0)
	v_max_f32_e32 v7, v7, v7
	v_max_f32_e32 v60, v4, v7
	v_mul_f32_e32 v4, 0x3fb8aa3b, v3
	s_delay_alu instid0(VALU_DEP_2) | instskip(NEXT) | instid1(VALU_DEP_2)
	v_sub_f32_e32 v2, v2, v60
	v_fma_f32 v6, 0x3fb8aa3b, v3, -v4
	v_rndne_f32_e32 v7, v4
	s_delay_alu instid0(VALU_DEP_3) | instskip(NEXT) | instid1(VALU_DEP_3)
	v_dual_sub_f32 v92, v0, v60 :: v_dual_mul_f32 v5, 0x3fb8aa3b, v2
	v_fmac_f32_e32 v6, 0x32a5705f, v3
	s_delay_alu instid0(VALU_DEP_3) | instskip(NEXT) | instid1(VALU_DEP_3)
	v_sub_f32_e32 v4, v4, v7
	v_cmp_ngt_f32_e64 s7, 0xc2ce8ed0, v92
	s_delay_alu instid0(VALU_DEP_4) | instskip(SKIP_1) | instid1(VALU_DEP_4)
	v_fma_f32 v8, 0x3fb8aa3b, v2, -v5
	v_rndne_f32_e32 v9, v5
	v_add_f32_e32 v4, v4, v6
	v_cvt_i32_f32_e32 v6, v7
	s_delay_alu instid0(VALU_DEP_3) | instskip(NEXT) | instid1(VALU_DEP_3)
	v_dual_fmac_f32 v8, 0x32a5705f, v2 :: v_dual_sub_f32 v5, v5, v9
	v_exp_f32_e32 v4, v4
	v_cvt_i32_f32_e32 v7, v9
	s_delay_alu instid0(VALU_DEP_2) | instskip(NEXT) | instid1(VALU_DEP_1)
	v_add_f32_e32 v5, v5, v8
	v_exp_f32_e32 v5, v5
	s_waitcnt_depctr 0xfff
	v_ldexp_f32 v4, v4, v6
	s_delay_alu instid0(VALU_DEP_1) | instskip(SKIP_2) | instid1(VALU_DEP_1)
	v_cndmask_b32_e64 v4, 0, v4, s6
	v_cmp_ngt_f32_e64 s6, 0xc2ce8ed0, v2
	v_ldexp_f32 v5, v5, v7
	v_cndmask_b32_e64 v5, 0, v5, s6
	v_cmp_nlt_f32_e64 s6, 0x42b17218, v3
	s_delay_alu instid0(VALU_DEP_1) | instskip(SKIP_1) | instid1(VALU_DEP_2)
	v_cndmask_b32_e64 v88, 0x7f800000, v4, s6
	v_cmp_nlt_f32_e64 s6, 0x42b17218, v2
	v_cvt_f16_f32_e32 v0, v88
	s_delay_alu instid0(VALU_DEP_2) | instskip(SKIP_1) | instid1(VALU_DEP_2)
	v_cndmask_b32_e64 v89, 0x7f800000, v5, s6
	v_cmp_nlt_f32_e64 s6, 0x42b17218, v92
	v_cvt_f16_f32_e32 v1, v89
	s_delay_alu instid0(VALU_DEP_1)
	v_pack_b32_f16 v0, v1, v0
	ds_store_b32 v75, v0
	s_and_saveexec_b32 s27, s4
	s_cbranch_execz .LBB24_21
; %bb.20:                               ;   in Loop: Header=BB24_11 Depth=1
	v_add_co_u32 v0, s10, s23, v56
	s_delay_alu instid0(VALU_DEP_1) | instskip(NEXT) | instid1(VALU_DEP_2)
	v_add_co_ci_u32_e64 v1, s10, s26, v57, s10
	v_add_co_u32 v0, s10, v0, v94
	s_delay_alu instid0(VALU_DEP_1)
	v_add_co_ci_u32_e64 v1, s10, 0, v1, s10
	global_load_b128 v[0:3], v[0:1], off offset:128
	s_waitcnt vmcnt(0)
	ds_store_b128 v78, v[0:3]
.LBB24_21:                              ;   in Loop: Header=BB24_11 Depth=1
	s_or_b32 exec_lo, exec_lo, s27
	v_lshlrev_b32_e32 v95, 2, v76
	s_and_saveexec_b32 s27, s5
	s_cbranch_execz .LBB24_23
; %bb.22:                               ;   in Loop: Header=BB24_11 Depth=1
	v_add_co_u32 v0, s10, s23, v58
	s_delay_alu instid0(VALU_DEP_1) | instskip(NEXT) | instid1(VALU_DEP_2)
	v_add_co_ci_u32_e64 v1, s10, s26, v59, s10
	v_add_co_u32 v0, s10, v0, v95
	s_delay_alu instid0(VALU_DEP_1)
	v_add_co_ci_u32_e64 v1, s10, 0, v1, s10
	global_load_b128 v[0:3], v[0:1], off
	s_waitcnt vmcnt(0)
	ds_store_b128 v79, v[0:3]
.LBB24_23:                              ;   in Loop: Header=BB24_11 Depth=1
	s_or_b32 exec_lo, exec_lo, s27
	s_waitcnt lgkmcnt(0)
	s_barrier
	buffer_gl0_inv
	ds_load_2addr_b64 v[40:43], v77 offset1:20
	ds_load_b128 v[32:35], v73
	ds_load_b128 v[24:27], v73 offset:16
	ds_load_b128 v[8:11], v73 offset:32
	ds_load_b128 v[0:3], v73 offset:48
	ds_load_2addr_b64 v[36:39], v77 offset0:40 offset1:60
	ds_load_2addr_b64 v[28:31], v77 offset0:80 offset1:100
	v_add_nc_u32_e32 v91, 0x400, v77
	v_add_nc_u32_e32 v90, 0x800, v77
	ds_load_2addr_b64 v[44:47], v77 offset0:120 offset1:140
	ds_load_2addr_b64 v[20:23], v77 offset0:160 offset1:180
	;; [unrolled: 1-line block ×5, first 2 shown]
	s_or_b32 s10, s16, 16
	s_waitcnt lgkmcnt(0)
	s_mul_hi_i32 s27, s10, s17
	s_mul_i32 s26, s10, s17
	s_barrier
	s_lshl_b64 s[26:27], s[26:27], 2
	buffer_gl0_inv
	s_add_u32 s23, s20, s26
	s_addc_u32 s26, s21, s27
	s_and_saveexec_b32 s27, s4
	s_cbranch_execz .LBB24_25
; %bb.24:                               ;   in Loop: Header=BB24_11 Depth=1
	v_add_co_u32 v96, s10, s23, v56
	s_delay_alu instid0(VALU_DEP_1) | instskip(NEXT) | instid1(VALU_DEP_2)
	v_add_co_ci_u32_e64 v97, s10, s26, v57, s10
	v_add_co_u32 v96, s10, v96, v94
	s_delay_alu instid0(VALU_DEP_1)
	v_add_co_ci_u32_e64 v97, s10, 0, v97, s10
	global_load_b128 v[96:99], v[96:97], off offset:128
	s_waitcnt vmcnt(0)
	ds_store_b128 v78, v[96:99]
.LBB24_25:                              ;   in Loop: Header=BB24_11 Depth=1
	s_or_b32 exec_lo, exec_lo, s27
	s_and_saveexec_b32 s27, s5
	s_cbranch_execz .LBB24_27
; %bb.26:                               ;   in Loop: Header=BB24_11 Depth=1
	v_add_co_u32 v94, s10, s23, v58
	s_delay_alu instid0(VALU_DEP_1) | instskip(NEXT) | instid1(VALU_DEP_2)
	v_add_co_ci_u32_e64 v96, s10, s26, v59, s10
	v_add_co_u32 v94, s10, v94, v95
	s_delay_alu instid0(VALU_DEP_1)
	v_add_co_ci_u32_e64 v95, s10, 0, v96, s10
	global_load_b128 v[94:97], v[94:95], off
	s_waitcnt vmcnt(0)
	ds_store_b128 v79, v[94:97]
.LBB24_27:                              ;   in Loop: Header=BB24_11 Depth=1
	s_or_b32 exec_lo, exec_lo, s27
	v_dual_mul_f32 v94, 0x3fb8aa3b, v92 :: v_dual_mul_f32 v95, 0x3fb8aa3b, v93
	s_waitcnt lgkmcnt(0)
	s_barrier
	buffer_gl0_inv
	v_fma_f32 v96, 0x3fb8aa3b, v92, -v94
	v_fma_f32 v97, 0x3fb8aa3b, v93, -v95
	v_rndne_f32_e32 v98, v95
	v_rndne_f32_e32 v99, v94
	s_delay_alu instid0(VALU_DEP_3) | instskip(NEXT) | instid1(VALU_DEP_2)
	v_dual_fmac_f32 v96, 0x32a5705f, v92 :: v_dual_fmac_f32 v97, 0x32a5705f, v93
	v_dual_sub_f32 v92, v95, v98 :: v_dual_sub_f32 v93, v94, v99
	v_cvt_i32_f32_e32 v94, v98
	v_cvt_i32_f32_e32 v95, v99
	s_delay_alu instid0(VALU_DEP_3) | instskip(SKIP_1) | instid1(VALU_DEP_2)
	v_dual_add_f32 v92, v92, v97 :: v_dual_add_f32 v93, v93, v96
	v_pk_mul_f16 v97, v41, v32 op_sel_hi:[1,0]
	v_exp_f32_e32 v92, v92
	s_delay_alu instid0(VALU_DEP_2)
	v_exp_f32_e32 v93, v93
	s_waitcnt_depctr 0xfff
	v_ldexp_f32 v92, v92, v94
	v_ldexp_f32 v93, v93, v95
	v_pk_mul_f16 v94, v40, v32 op_sel_hi:[1,0]
	v_pk_mul_f16 v40, v40, v32 op_sel:[0,1]
	s_delay_alu instid0(VALU_DEP_4) | instskip(NEXT) | instid1(VALU_DEP_4)
	v_cndmask_b32_e64 v92, 0, v92, s9
	v_cndmask_b32_e64 v93, 0, v93, s7
	s_delay_alu instid0(VALU_DEP_2) | instskip(NEXT) | instid1(VALU_DEP_2)
	v_cndmask_b32_e64 v92, 0x7f800000, v92, s8
	v_cndmask_b32_e64 v93, 0x7f800000, v93, s6
	s_delay_alu instid0(VALU_DEP_2) | instskip(NEXT) | instid1(VALU_DEP_2)
	v_cvt_f16_f32_e32 v95, v92
	v_cvt_f16_f32_e32 v96, v93
	v_dual_fmac_f32 v89, v82, v93 :: v_dual_fmac_f32 v88, v81, v92
	s_delay_alu instid0(VALU_DEP_3) | instskip(NEXT) | instid1(VALU_DEP_3)
	v_pk_mul_f16 v64, v95, v64 op_sel_hi:[0,1]
	v_pk_fma_f16 v67, v96, v67, v94 op_sel_hi:[0,1,1]
	v_pk_fma_f16 v40, v95, v65, v40 op_sel_hi:[0,1,1]
	;; [unrolled: 1-line block ×3, first 2 shown]
	s_delay_alu instid0(VALU_DEP_4) | instskip(NEXT) | instid1(VALU_DEP_4)
	v_pk_fma_f16 v32, v41, v32, v64 op_sel:[0,1,0]
	v_pk_fma_f16 v41, v42, v33, v67 op_sel_hi:[1,0,1]
	s_delay_alu instid0(VALU_DEP_4) | instskip(NEXT) | instid1(VALU_DEP_4)
	v_pk_fma_f16 v40, v42, v33, v40 op_sel:[0,1,0]
	v_pk_fma_f16 v42, v43, v33, v65 op_sel_hi:[1,0,1]
	;; [unrolled: 3-line block ×20, first 2 shown]
	ds_load_2addr_b64 v[20:23], v77 offset1:20
	v_pk_fma_f16 v8, v17, v10, v8 op_sel:[0,1,0]
	v_pk_fma_f16 v9, v18, v11, v9 op_sel_hi:[1,0,1]
	v_pk_fma_f16 v10, v18, v11, v16 op_sel:[0,1,0]
	v_pk_fma_f16 v16, v19, v11, v24 op_sel_hi:[1,0,1]
	s_delay_alu instid0(VALU_DEP_4) | instskip(NEXT) | instid1(VALU_DEP_4)
	v_pk_fma_f16 v17, v19, v11, v8 op_sel:[0,1,0]
	v_pk_fma_f16 v24, v12, v0, v9 op_sel_hi:[1,0,1]
	s_delay_alu instid0(VALU_DEP_4)
	v_pk_fma_f16 v12, v12, v0, v10 op_sel:[0,1,0]
	ds_load_b128 v[8:11], v73 offset:64
	v_pk_fma_f16 v25, v13, v0, v16 op_sel_hi:[1,0,1]
	v_pk_fma_f16 v0, v13, v0, v17 op_sel:[0,1,0]
	ds_load_b128 v[16:19], v73 offset:80
	v_pk_fma_f16 v24, v14, v1, v24 op_sel_hi:[1,0,1]
	v_pk_fma_f16 v26, v14, v1, v12 op_sel:[0,1,0]
	v_pk_fma_f16 v25, v15, v1, v25 op_sel_hi:[1,0,1]
	v_pk_fma_f16 v0, v15, v1, v0 op_sel:[0,1,0]
	ds_load_2addr_b64 v[12:15], v77 offset0:40 offset1:60
	v_pk_fma_f16 v1, v4, v2, v24 op_sel_hi:[1,0,1]
	v_pk_fma_f16 v4, v4, v2, v26 op_sel:[0,1,0]
	v_pk_fma_f16 v32, v5, v2, v25 op_sel_hi:[1,0,1]
	v_pk_fma_f16 v0, v5, v2, v0 op_sel:[0,1,0]
	ds_load_b128 v[24:27], v73 offset:96
	ds_load_b128 v[28:31], v73 offset:112
	v_pk_fma_f16 v5, v6, v3, v1 op_sel_hi:[1,0,1]
	v_pk_fma_f16 v4, v6, v3, v4 op_sel:[0,1,0]
	v_pk_fma_f16 v6, v7, v3, v32 op_sel_hi:[1,0,1]
	v_pk_fma_f16 v7, v7, v3, v0 op_sel:[0,1,0]
	ds_load_2addr_b64 v[0:3], v77 offset0:80 offset1:100
	s_waitcnt lgkmcnt(5)
	v_pk_fma_f16 v32, v20, v8, v5 op_sel_hi:[1,0,1]
	v_pk_fma_f16 v20, v20, v8, v4 op_sel:[0,1,0]
	v_pk_fma_f16 v33, v21, v8, v6 op_sel_hi:[1,0,1]
	v_pk_fma_f16 v8, v21, v8, v7 op_sel:[0,1,0]
	ds_load_2addr_b64 v[4:7], v77 offset0:120 offset1:140
	v_pk_fma_f16 v32, v22, v9, v32 op_sel_hi:[1,0,1]
	v_pk_fma_f16 v34, v22, v9, v20 op_sel:[0,1,0]
	v_pk_fma_f16 v33, v23, v9, v33 op_sel_hi:[1,0,1]
	v_pk_fma_f16 v8, v23, v9, v8 op_sel:[0,1,0]
	ds_load_2addr_b64 v[20:23], v77 offset0:160 offset1:180
	s_waitcnt lgkmcnt(5)
	v_pk_fma_f16 v9, v12, v10, v32 op_sel_hi:[1,0,1]
	v_pk_fma_f16 v12, v12, v10, v34 op_sel:[0,1,0]
	v_pk_fma_f16 v36, v13, v10, v33 op_sel_hi:[1,0,1]
	v_pk_fma_f16 v8, v13, v10, v8 op_sel:[0,1,0]
	ds_load_2addr_b64 v[32:35], v77 offset0:200 offset1:220
	v_pk_fma_f16 v13, v14, v11, v9 op_sel_hi:[1,0,1]
	v_pk_fma_f16 v12, v14, v11, v12 op_sel:[0,1,0]
	v_pk_fma_f16 v14, v15, v11, v36 op_sel_hi:[1,0,1]
	v_pk_fma_f16 v15, v15, v11, v8 op_sel:[0,1,0]
	ds_load_2addr_b64 v[8:11], v91 offset0:112 offset1:132
	s_waitcnt lgkmcnt(4)
	v_pk_fma_f16 v36, v0, v16, v13 op_sel_hi:[1,0,1]
	v_pk_fma_f16 v0, v0, v16, v12 op_sel:[0,1,0]
	v_pk_fma_f16 v37, v1, v16, v14 op_sel_hi:[1,0,1]
	v_pk_fma_f16 v1, v1, v16, v15 op_sel:[0,1,0]
	ds_load_2addr_b64 v[12:15], v90 offset0:24 offset1:44
	v_pk_fma_f16 v16, v2, v17, v36 op_sel_hi:[1,0,1]
	v_pk_fma_f16 v0, v2, v17, v0 op_sel:[0,1,0]
	v_pk_fma_f16 v2, v3, v17, v37 op_sel_hi:[1,0,1]
	v_pk_fma_f16 v1, v3, v17, v1 op_sel:[0,1,0]
	s_waitcnt lgkmcnt(0)
	v_pk_fma_f16 v3, v4, v18, v16 op_sel_hi:[1,0,1]
	v_pk_fma_f16 v0, v4, v18, v0 op_sel:[0,1,0]
	v_pk_fma_f16 v2, v5, v18, v2 op_sel_hi:[1,0,1]
	v_pk_fma_f16 v1, v5, v18, v1 op_sel:[0,1,0]
	s_barrier
	v_pk_fma_f16 v3, v6, v19, v3 op_sel_hi:[1,0,1]
	v_pk_fma_f16 v0, v6, v19, v0 op_sel:[0,1,0]
	v_pk_fma_f16 v2, v7, v19, v2 op_sel_hi:[1,0,1]
	v_pk_fma_f16 v1, v7, v19, v1 op_sel:[0,1,0]
	buffer_gl0_inv
	v_pk_fma_f16 v3, v20, v24, v3 op_sel_hi:[1,0,1]
	v_pk_fma_f16 v0, v20, v24, v0 op_sel:[0,1,0]
	v_pk_fma_f16 v2, v21, v24, v2 op_sel_hi:[1,0,1]
	v_pk_fma_f16 v1, v21, v24, v1 op_sel:[0,1,0]
	s_load_b32 s6, s[12:13], 0x4
	v_pk_fma_f16 v3, v22, v25, v3 op_sel_hi:[1,0,1]
	v_pk_fma_f16 v0, v22, v25, v0 op_sel:[0,1,0]
	v_pk_fma_f16 v2, v23, v25, v2 op_sel_hi:[1,0,1]
	v_pk_fma_f16 v1, v23, v25, v1 op_sel:[0,1,0]
	s_delay_alu instid0(VALU_DEP_4) | instskip(NEXT) | instid1(VALU_DEP_4)
	v_pk_fma_f16 v3, v32, v26, v3 op_sel_hi:[1,0,1]
	v_pk_fma_f16 v0, v32, v26, v0 op_sel:[0,1,0]
	s_delay_alu instid0(VALU_DEP_4) | instskip(NEXT) | instid1(VALU_DEP_4)
	;; [unrolled: 3-line block ×6, first 2 shown]
	v_pk_fma_f16 v2, v9, v28, v2 op_sel_hi:[1,0,1]
	v_pk_fma_f16 v1, v9, v28, v1 op_sel:[0,1,0]
	s_waitcnt lgkmcnt(0)
	s_lshl_b32 s6, s6, 5
	v_pk_fma_f16 v3, v10, v29, v3 op_sel_hi:[1,0,1]
	v_pk_fma_f16 v0, v10, v29, v0 op_sel:[0,1,0]
	v_pk_fma_f16 v2, v11, v29, v2 op_sel_hi:[1,0,1]
	v_pk_fma_f16 v1, v11, v29, v1 op_sel:[0,1,0]
	s_add_i32 s16, s6, s16
	v_pk_fma_f16 v3, v12, v30, v3 op_sel_hi:[1,0,1]
	v_pk_fma_f16 v0, v12, v30, v0 op_sel:[0,1,0]
	v_pk_fma_f16 v2, v13, v30, v2 op_sel_hi:[1,0,1]
	v_pk_fma_f16 v1, v13, v30, v1 op_sel:[0,1,0]
	s_cmp_ge_i32 s16, s34
	v_pk_fma_f16 v67, v14, v31, v3 op_sel_hi:[1,0,1]
	v_pk_fma_f16 v65, v14, v31, v0 op_sel:[0,1,0]
	v_pk_fma_f16 v68, v15, v31, v2 op_sel_hi:[1,0,1]
	v_pk_fma_f16 v64, v15, v31, v1 op_sel:[0,1,0]
	s_cbranch_scc1 .LBB24_29
; %bb.28:                               ;   in Loop: Header=BB24_11 Depth=1
	v_dual_mov_b32 v0, v60 :: v_dual_mov_b32 v1, v61
	v_dual_mov_b32 v82, v89 :: v_dual_mov_b32 v81, v88
	s_branch .LBB24_11
.LBB24_29:
	v_mov_b32_e32 v3, v63
.LBB24_30:
	v_cmp_lt_i32_e32 vcc_lo, v83, v66
	s_cmp_lg_u64 s[24:25], 0
	s_cselect_b32 s3, -1, 0
	s_cmp_eq_u32 s14, 0
	v_cndmask_b32_e32 v0, v3, v83, vcc_lo
	v_cmp_lt_i32_e32 vcc_lo, v84, v66
	s_cselect_b32 s4, -1, 0
	s_delay_alu instid0(SALU_CYCLE_1)
	s_and_b32 s3, s4, s3
	v_cndmask_b32_e32 v2, v3, v84, vcc_lo
	v_cmp_lt_i32_e32 vcc_lo, v85, v66
	v_dual_cndmask_b32 v5, v3, v85 :: v_dual_lshlrev_b32 v0, 2, v0
	ds_bpermute_b32 v1, v0, v89
	ds_bpermute_b32 v0, v0, v88
	v_cmp_lt_i32_e32 vcc_lo, v86, v66
	v_lshlrev_b32_e32 v5, 2, v5
	s_waitcnt lgkmcnt(1)
	v_dual_add_f32 v1, v89, v1 :: v_dual_lshlrev_b32 v2, 2, v2
	s_waitcnt lgkmcnt(0)
	v_add_f32_e32 v0, v88, v0
	ds_bpermute_b32 v4, v2, v1
	s_waitcnt lgkmcnt(0)
	v_add_f32_e32 v1, v1, v4
	ds_bpermute_b32 v2, v2, v0
	;; [unrolled: 3-line block ×3, first 2 shown]
	ds_bpermute_b32 v4, v5, v0
	v_cndmask_b32_e32 v5, v3, v86, vcc_lo
	v_cmp_lt_i32_e32 vcc_lo, v87, v66
	s_delay_alu instid0(VALU_DEP_2)
	v_lshlrev_b32_e32 v5, 2, v5
	s_waitcnt lgkmcnt(0)
	v_dual_add_f32 v1, v1, v2 :: v_dual_add_f32 v0, v0, v4
	ds_bpermute_b32 v2, v5, v1
	ds_bpermute_b32 v4, v5, v0
	v_cndmask_b32_e32 v3, v3, v87, vcc_lo
	s_and_b32 vcc_lo, exec_lo, s3
	s_waitcnt lgkmcnt(0)
	v_dual_add_f32 v1, v1, v2 :: v_dual_add_f32 v2, v0, v4
	s_delay_alu instid0(VALU_DEP_2)
	v_lshlrev_b32_e32 v3, 2, v3
	ds_bpermute_b32 v0, v3, v1
	s_waitcnt lgkmcnt(0)
	v_add_f32_e32 v0, v1, v0
	ds_bpermute_b32 v3, v3, v2
	s_waitcnt lgkmcnt(0)
	v_add_f32_e32 v1, v2, v3
	s_cbranch_vccz .LBB24_33
; %bb.31:
	v_add_nc_u32_e32 v2, s15, v62
	s_delay_alu instid0(VALU_DEP_1) | instskip(NEXT) | instid1(VALU_DEP_1)
	v_ashrrev_i32_e32 v3, 31, v2
	v_lshlrev_b64 v[2:3], 2, v[2:3]
	s_delay_alu instid0(VALU_DEP_1) | instskip(NEXT) | instid1(VALU_DEP_2)
	v_add_co_u32 v2, vcc_lo, s24, v2
	v_add_co_ci_u32_e32 v3, vcc_lo, s25, v3, vcc_lo
	global_load_b64 v[2:3], v[2:3], off
	s_waitcnt vmcnt(0)
	v_dual_max_f32 v4, v60, v60 :: v_dual_max_f32 v5, v2, v2
	s_delay_alu instid0(VALU_DEP_1) | instskip(NEXT) | instid1(VALU_DEP_1)
	v_dual_max_f32 v7, v3, v3 :: v_dual_max_f32 v4, v4, v5
	v_sub_f32_e32 v2, v2, v4
	s_delay_alu instid0(VALU_DEP_1) | instskip(NEXT) | instid1(VALU_DEP_1)
	v_dual_max_f32 v6, v61, v61 :: v_dual_mul_f32 v9, 0x3fb8aa3b, v2
	v_dual_max_f32 v5, v6, v7 :: v_dual_sub_f32 v6, v60, v4
	s_delay_alu instid0(VALU_DEP_2) | instskip(NEXT) | instid1(VALU_DEP_2)
	v_rndne_f32_e32 v15, v9
	v_sub_f32_e32 v7, v61, v5
	s_delay_alu instid0(VALU_DEP_3) | instskip(SKIP_3) | instid1(VALU_DEP_4)
	v_dual_sub_f32 v3, v3, v5 :: v_dual_mul_f32 v8, 0x3fb8aa3b, v6
	v_fma_f32 v14, 0x3fb8aa3b, v2, -v9
	v_cmp_ngt_f32_e32 vcc_lo, 0xc2ce8ed0, v6
	v_sub_f32_e32 v9, v9, v15
	v_mul_f32_e32 v11, 0x3fb8aa3b, v3
	v_fma_f32 v12, 0x3fb8aa3b, v6, -v8
	v_rndne_f32_e32 v13, v8
	v_dual_mov_b32 v61, v5 :: v_dual_mov_b32 v60, v4
	s_delay_alu instid0(VALU_DEP_4) | instskip(NEXT) | instid1(VALU_DEP_4)
	v_rndne_f32_e32 v19, v11
	v_fmac_f32_e32 v12, 0x32a5705f, v6
	s_delay_alu instid0(VALU_DEP_4) | instskip(SKIP_1) | instid1(VALU_DEP_2)
	v_sub_f32_e32 v8, v8, v13
	v_fma_f32 v18, 0x3fb8aa3b, v3, -v11
	v_dual_sub_f32 v11, v11, v19 :: v_dual_add_f32 v8, v8, v12
	v_cvt_i32_f32_e32 v12, v13
	s_delay_alu instid0(VALU_DEP_3) | instskip(SKIP_3) | instid1(VALU_DEP_3)
	v_fmac_f32_e32 v18, 0x32a5705f, v3
	v_cvt_i32_f32_e32 v13, v15
	v_cvt_i32_f32_e32 v15, v19
	v_exp_f32_e32 v8, v8
	v_add_f32_e32 v11, v11, v18
	s_delay_alu instid0(VALU_DEP_1) | instskip(SKIP_2) | instid1(VALU_DEP_1)
	v_exp_f32_e32 v11, v11
	s_waitcnt_depctr 0xfff
	v_ldexp_f32 v8, v8, v12
	v_cndmask_b32_e32 v8, 0, v8, vcc_lo
	v_cmp_ngt_f32_e32 vcc_lo, 0xc2ce8ed0, v2
	v_fmac_f32_e32 v14, 0x32a5705f, v2
	v_mul_f32_e32 v10, 0x3fb8aa3b, v7
	v_ldexp_f32 v11, v11, v15
	s_delay_alu instid0(VALU_DEP_3) | instskip(NEXT) | instid1(VALU_DEP_3)
	v_add_f32_e32 v9, v9, v14
	v_fma_f32 v16, 0x3fb8aa3b, v7, -v10
	v_rndne_f32_e32 v17, v10
	s_delay_alu instid0(VALU_DEP_3) | instskip(NEXT) | instid1(VALU_DEP_2)
	v_exp_f32_e32 v9, v9
	v_fmac_f32_e32 v16, 0x32a5705f, v7
	s_delay_alu instid0(VALU_DEP_2) | instskip(SKIP_1) | instid1(VALU_DEP_2)
	v_sub_f32_e32 v10, v10, v17
	v_cvt_i32_f32_e32 v14, v17
	v_add_f32_e32 v10, v10, v16
	s_waitcnt_depctr 0xfff
	v_ldexp_f32 v9, v9, v13
	v_exp_f32_e32 v10, v10
	s_delay_alu instid0(VALU_DEP_1) | instskip(SKIP_3) | instid1(VALU_DEP_1)
	v_cndmask_b32_e32 v9, 0, v9, vcc_lo
	v_cmp_ngt_f32_e32 vcc_lo, 0xc2ce8ed0, v7
	s_waitcnt_depctr 0xfff
	v_ldexp_f32 v10, v10, v14
	v_cndmask_b32_e32 v10, 0, v10, vcc_lo
	v_cmp_ngt_f32_e32 vcc_lo, 0xc2ce8ed0, v3
	v_cndmask_b32_e32 v11, 0, v11, vcc_lo
	v_cmp_nlt_f32_e32 vcc_lo, 0x42b17218, v6
	v_cndmask_b32_e32 v6, 0x7f800000, v8, vcc_lo
	v_cmp_nlt_f32_e32 vcc_lo, 0x42b17218, v2
	s_delay_alu instid0(VALU_DEP_2) | instskip(SKIP_2) | instid1(VALU_DEP_3)
	v_cvt_f16_f32_e32 v8, v6
	v_cndmask_b32_e32 v2, 0x7f800000, v9, vcc_lo
	v_cmp_nlt_f32_e32 vcc_lo, 0x42b17218, v7
	v_pk_mul_f16 v67, v8, v67 op_sel_hi:[0,1]
	s_delay_alu instid0(VALU_DEP_3) | instskip(SKIP_3) | instid1(VALU_DEP_4)
	v_fmac_f32_e32 v2, v0, v6
	v_cndmask_b32_e32 v7, 0x7f800000, v10, vcc_lo
	v_cmp_nlt_f32_e32 vcc_lo, 0x42b17218, v3
	v_pk_mul_f16 v68, v8, v68 op_sel_hi:[0,1]
	v_mov_b32_e32 v0, v2
	s_delay_alu instid0(VALU_DEP_4) | instskip(SKIP_1) | instid1(VALU_DEP_2)
	v_cvt_f16_f32_e32 v4, v7
	v_cndmask_b32_e32 v3, 0x7f800000, v11, vcc_lo
	v_pk_mul_f16 v65, v4, v65 op_sel_hi:[0,1]
	s_delay_alu instid0(VALU_DEP_2) | instskip(SKIP_1) | instid1(VALU_DEP_2)
	v_fmac_f32_e32 v3, v1, v7
	v_pk_mul_f16 v64, v4, v64 op_sel_hi:[0,1]
	v_mov_b32_e32 v1, v3
	s_mov_b32 s3, exec_lo
	v_cmpx_gt_i32_e64 s38, v50
	s_cbranch_execnz .LBB24_34
.LBB24_32:
	s_nop 0
	s_sendmsg sendmsg(MSG_DEALLOC_VGPRS)
	s_endpgm
.LBB24_33:
	s_delay_alu instid0(VALU_DEP_1)
	v_dual_mov_b32 v3, v1 :: v_dual_mov_b32 v2, v0
	s_mov_b32 s3, exec_lo
	v_cmpx_gt_i32_e64 s38, v50
	s_cbranch_execz .LBB24_32
.LBB24_34:
	s_load_b32 s0, s[0:1], 0xd4
	v_mov_b32_e32 v5, 1.0
	s_waitcnt lgkmcnt(0)
	s_cmp_lg_u32 s0, 1
	s_cselect_b32 s3, -1, 0
	s_cmp_eq_u32 s0, 1
	s_cselect_b32 s1, -1, 0
	s_and_b32 vcc_lo, exec_lo, s3
	s_cbranch_vccnz .LBB24_36
; %bb.35:
	v_div_scale_f32 v4, null, v0, v0, 1.0
	s_delay_alu instid0(VALU_DEP_1) | instskip(SKIP_2) | instid1(VALU_DEP_1)
	v_rcp_f32_e32 v5, v4
	s_waitcnt_depctr 0xfff
	v_fma_f32 v6, -v4, v5, 1.0
	v_fmac_f32_e32 v5, v6, v5
	v_div_scale_f32 v6, vcc_lo, 1.0, v0, 1.0
	s_delay_alu instid0(VALU_DEP_1) | instskip(NEXT) | instid1(VALU_DEP_1)
	v_mul_f32_e32 v7, v6, v5
	v_fma_f32 v8, -v4, v7, v6
	s_delay_alu instid0(VALU_DEP_1) | instskip(NEXT) | instid1(VALU_DEP_1)
	v_fmac_f32_e32 v7, v8, v5
	v_fma_f32 v4, -v4, v7, v6
	s_delay_alu instid0(VALU_DEP_1) | instskip(NEXT) | instid1(VALU_DEP_1)
	v_div_fmas_f32 v4, v4, v5, v7
	v_div_fixup_f32 v5, v4, v0, 1.0
.LBB24_36:
	v_mad_u64_u32 v[6:7], null, s11, s38, v[50:51]
	s_delay_alu instid0(VALU_DEP_1) | instskip(NEXT) | instid1(VALU_DEP_1)
	v_mul_lo_u32 v0, v6, s39
	v_add3_u32 v0, s15, v62, v0
	s_delay_alu instid0(VALU_DEP_1) | instskip(NEXT) | instid1(VALU_DEP_1)
	v_mul_lo_u32 v0, s0, v0
	v_add_nc_u32_e32 v4, s14, v0
	s_and_saveexec_b32 s4, s2
	s_cbranch_execz .LBB24_38
; %bb.37:
	v_lshrrev_b32_e32 v8, 16, v68
	s_delay_alu instid0(VALU_DEP_2) | instskip(SKIP_2) | instid1(VALU_DEP_4)
	v_mad_u64_u32 v[6:7], null, 0x50, v4, v[48:49]
	v_lshrrev_b32_e32 v9, 16, v67
	v_cvt_f32_f16_e32 v11, v68
	v_cvt_f32_f16_e32 v8, v8
	v_mov_b32_e32 v7, 0
	v_cvt_f32_f16_e32 v13, v67
	v_cvt_f32_f16_e32 v12, v9
	s_delay_alu instid0(VALU_DEP_4) | instskip(NEXT) | instid1(VALU_DEP_4)
	v_mul_f32_e32 v8, v5, v8
	v_lshlrev_b64 v[9:10], 2, v[6:7]
	v_mul_f32_e32 v7, v5, v11
	s_delay_alu instid0(VALU_DEP_4) | instskip(SKIP_1) | instid1(VALU_DEP_4)
	v_mul_f32_e32 v6, v5, v12
	v_mul_f32_e32 v5, v5, v13
	v_add_co_u32 v9, vcc_lo, s28, v9
	v_add_co_ci_u32_e32 v10, vcc_lo, s29, v10, vcc_lo
	global_store_b128 v[9:10], v[5:8], off
.LBB24_38:
	s_or_b32 exec_lo, exec_lo, s4
	v_cmp_eq_u32_e32 vcc_lo, 0, v49
	s_and_b32 s3, vcc_lo, s3
	s_delay_alu instid0(SALU_CYCLE_1)
	s_and_saveexec_b32 s4, s3
	s_cbranch_execnz .LBB24_42
; %bb.39:
	s_or_b32 exec_lo, exec_lo, s4
	v_mov_b32_e32 v2, 1.0
	s_and_not1_b32 vcc_lo, exec_lo, s1
	s_cbranch_vccz .LBB24_43
.LBB24_40:
	v_add3_u32 v0, s14, s0, v0
	s_and_saveexec_b32 s0, s2
	s_cbranch_execnz .LBB24_44
.LBB24_41:
	s_or_b32 exec_lo, exec_lo, s0
	s_delay_alu instid0(SALU_CYCLE_1)
	s_and_b32 exec_lo, exec_lo, s3
	s_cbranch_execz .LBB24_32
	s_branch .LBB24_45
.LBB24_42:
	v_ashrrev_i32_e32 v5, 31, v4
	v_dual_mov_b32 v6, v60 :: v_dual_mov_b32 v7, v2
	s_delay_alu instid0(VALU_DEP_2) | instskip(NEXT) | instid1(VALU_DEP_1)
	v_lshlrev_b64 v[4:5], 3, v[4:5]
	v_add_co_u32 v4, vcc_lo, s30, v4
	s_delay_alu instid0(VALU_DEP_2)
	v_add_co_ci_u32_e32 v5, vcc_lo, s31, v5, vcc_lo
	global_store_b64 v[4:5], v[6:7], off
	s_or_b32 exec_lo, exec_lo, s4
	v_mov_b32_e32 v2, 1.0
	s_and_not1_b32 vcc_lo, exec_lo, s1
	s_cbranch_vccnz .LBB24_40
.LBB24_43:
	v_div_scale_f32 v2, null, v1, v1, 1.0
	s_delay_alu instid0(VALU_DEP_1) | instskip(SKIP_2) | instid1(VALU_DEP_1)
	v_rcp_f32_e32 v4, v2
	s_waitcnt_depctr 0xfff
	v_fma_f32 v5, -v2, v4, 1.0
	v_fmac_f32_e32 v4, v5, v4
	v_div_scale_f32 v5, vcc_lo, 1.0, v1, 1.0
	s_delay_alu instid0(VALU_DEP_1) | instskip(NEXT) | instid1(VALU_DEP_1)
	v_mul_f32_e32 v6, v5, v4
	v_fma_f32 v7, -v2, v6, v5
	s_delay_alu instid0(VALU_DEP_1) | instskip(NEXT) | instid1(VALU_DEP_1)
	v_fmac_f32_e32 v6, v7, v4
	v_fma_f32 v2, -v2, v6, v5
	s_delay_alu instid0(VALU_DEP_1) | instskip(NEXT) | instid1(VALU_DEP_1)
	v_div_fmas_f32 v2, v2, v4, v6
	v_div_fixup_f32 v2, v2, v1, 1.0
	v_add3_u32 v0, s14, s0, v0
	s_and_saveexec_b32 s0, s2
	s_cbranch_execz .LBB24_41
.LBB24_44:
	s_delay_alu instid0(VALU_DEP_1)
	v_mad_u64_u32 v[4:5], null, 0x50, v0, v[48:49]
	v_lshrrev_b32_e32 v6, 16, v65
	v_cvt_f32_f16_e32 v10, v64
	v_mov_b32_e32 v5, 0
	v_lshrrev_b32_e32 v1, 16, v64
	v_cvt_f32_f16_e32 v12, v65
	v_cvt_f32_f16_e32 v11, v6
	v_mul_f32_e32 v6, v2, v10
	v_lshlrev_b64 v[8:9], 2, v[4:5]
	v_cvt_f32_f16_e32 v1, v1
	v_mul_f32_e32 v4, v2, v12
	v_mul_f32_e32 v5, v2, v11
	s_delay_alu instid0(VALU_DEP_3) | instskip(SKIP_4) | instid1(SALU_CYCLE_1)
	v_mul_f32_e32 v7, v2, v1
	v_add_co_u32 v1, vcc_lo, s28, v8
	v_add_co_ci_u32_e32 v2, vcc_lo, s29, v9, vcc_lo
	global_store_b128 v[1:2], v[4:7], off
	s_or_b32 exec_lo, exec_lo, s0
	s_and_b32 exec_lo, exec_lo, s3
	s_cbranch_execz .LBB24_32
.LBB24_45:
	v_ashrrev_i32_e32 v1, 31, v0
	v_mov_b32_e32 v2, v61
	s_delay_alu instid0(VALU_DEP_2) | instskip(NEXT) | instid1(VALU_DEP_1)
	v_lshlrev_b64 v[0:1], 3, v[0:1]
	v_add_co_u32 v0, vcc_lo, s30, v0
	s_delay_alu instid0(VALU_DEP_2)
	v_add_co_ci_u32_e32 v1, vcc_lo, s31, v1, vcc_lo
	global_store_b64 v[0:1], v[2:3], off
	s_nop 0
	s_sendmsg sendmsg(MSG_DEALLOC_VGPRS)
	s_endpgm
	.section	.rodata,"a",@progbits
	.p2align	6, 0x0
	.amdhsa_kernel _ZL15flash_attn_tileILi80ELi80ELi4ELi4ELb0EEvPKcS1_S1_S1_S1_PKiPfP15HIP_vector_typeIfLj2EEffffjfiS5_IjLj3EEiiiiiiiiiiiliiliiiiil
		.amdhsa_group_segment_fixed_size 6848
		.amdhsa_private_segment_fixed_size 0
		.amdhsa_kernarg_size 464
		.amdhsa_user_sgpr_count 13
		.amdhsa_user_sgpr_dispatch_ptr 0
		.amdhsa_user_sgpr_queue_ptr 0
		.amdhsa_user_sgpr_kernarg_segment_ptr 1
		.amdhsa_user_sgpr_dispatch_id 0
		.amdhsa_user_sgpr_private_segment_size 0
		.amdhsa_wavefront_size32 1
		.amdhsa_uses_dynamic_stack 0
		.amdhsa_enable_private_segment 0
		.amdhsa_system_sgpr_workgroup_id_x 1
		.amdhsa_system_sgpr_workgroup_id_y 1
		.amdhsa_system_sgpr_workgroup_id_z 1
		.amdhsa_system_sgpr_workgroup_info 0
		.amdhsa_system_vgpr_workitem_id 1
		.amdhsa_next_free_vgpr 100
		.amdhsa_next_free_sgpr 42
		.amdhsa_reserve_vcc 1
		.amdhsa_float_round_mode_32 0
		.amdhsa_float_round_mode_16_64 0
		.amdhsa_float_denorm_mode_32 3
		.amdhsa_float_denorm_mode_16_64 3
		.amdhsa_dx10_clamp 1
		.amdhsa_ieee_mode 1
		.amdhsa_fp16_overflow 0
		.amdhsa_workgroup_processor_mode 1
		.amdhsa_memory_ordered 1
		.amdhsa_forward_progress 0
		.amdhsa_shared_vgpr_count 0
		.amdhsa_exception_fp_ieee_invalid_op 0
		.amdhsa_exception_fp_denorm_src 0
		.amdhsa_exception_fp_ieee_div_zero 0
		.amdhsa_exception_fp_ieee_overflow 0
		.amdhsa_exception_fp_ieee_underflow 0
		.amdhsa_exception_fp_ieee_inexact 0
		.amdhsa_exception_int_div_zero 0
	.end_amdhsa_kernel
	.section	.text._ZL15flash_attn_tileILi80ELi80ELi4ELi4ELb0EEvPKcS1_S1_S1_S1_PKiPfP15HIP_vector_typeIfLj2EEffffjfiS5_IjLj3EEiiiiiiiiiiiliiliiiiil,"axG",@progbits,_ZL15flash_attn_tileILi80ELi80ELi4ELi4ELb0EEvPKcS1_S1_S1_S1_PKiPfP15HIP_vector_typeIfLj2EEffffjfiS5_IjLj3EEiiiiiiiiiiiliiliiiiil,comdat
.Lfunc_end24:
	.size	_ZL15flash_attn_tileILi80ELi80ELi4ELi4ELb0EEvPKcS1_S1_S1_S1_PKiPfP15HIP_vector_typeIfLj2EEffffjfiS5_IjLj3EEiiiiiiiiiiiliiliiiiil, .Lfunc_end24-_ZL15flash_attn_tileILi80ELi80ELi4ELi4ELb0EEvPKcS1_S1_S1_S1_PKiPfP15HIP_vector_typeIfLj2EEffffjfiS5_IjLj3EEiiiiiiiiiiiliiliiiiil
                                        ; -- End function
	.section	.AMDGPU.csdata,"",@progbits
; Kernel info:
; codeLenInByte = 8484
; NumSgprs: 44
; NumVgprs: 100
; ScratchSize: 0
; MemoryBound: 0
; FloatMode: 240
; IeeeMode: 1
; LDSByteSize: 6848 bytes/workgroup (compile time only)
; SGPRBlocks: 5
; VGPRBlocks: 12
; NumSGPRsForWavesPerEU: 44
; NumVGPRsForWavesPerEU: 100
; Occupancy: 12
; WaveLimiterHint : 1
; COMPUTE_PGM_RSRC2:SCRATCH_EN: 0
; COMPUTE_PGM_RSRC2:USER_SGPR: 13
; COMPUTE_PGM_RSRC2:TRAP_HANDLER: 0
; COMPUTE_PGM_RSRC2:TGID_X_EN: 1
; COMPUTE_PGM_RSRC2:TGID_Y_EN: 1
; COMPUTE_PGM_RSRC2:TGID_Z_EN: 1
; COMPUTE_PGM_RSRC2:TIDIG_COMP_CNT: 1
	.section	.text._ZL33flash_attn_stream_k_fixup_uniformILi80ELi4ELi4EEvPfPK15HIP_vector_typeIfLj2EEiiiiiiS1_IjLj3EES5_S5_,"axG",@progbits,_ZL33flash_attn_stream_k_fixup_uniformILi80ELi4ELi4EEvPfPK15HIP_vector_typeIfLj2EEiiiiiiS1_IjLj3EES5_S5_,comdat
	.globl	_ZL33flash_attn_stream_k_fixup_uniformILi80ELi4ELi4EEvPfPK15HIP_vector_typeIfLj2EEiiiiiiS1_IjLj3EES5_S5_ ; -- Begin function _ZL33flash_attn_stream_k_fixup_uniformILi80ELi4ELi4EEvPfPK15HIP_vector_typeIfLj2EEiiiiiiS1_IjLj3EES5_S5_
	.p2align	8
	.type	_ZL33flash_attn_stream_k_fixup_uniformILi80ELi4ELi4EEvPfPK15HIP_vector_typeIfLj2EEiiiiiiS1_IjLj3EES5_S5_,@function
_ZL33flash_attn_stream_k_fixup_uniformILi80ELi4ELi4EEvPfPK15HIP_vector_typeIfLj2EEiiiiiiS1_IjLj3EES5_S5_: ; @_ZL33flash_attn_stream_k_fixup_uniformILi80ELi4ELi4EEvPfPK15HIP_vector_typeIfLj2EEiiiiiiS1_IjLj3EES5_S5_
; %bb.0:
	s_clause 0x1
	s_load_b256 s[4:11], s[0:1], 0x1c
	s_load_b128 s[16:19], s[0:1], 0x3c
	s_waitcnt lgkmcnt(0)
	s_mul_hi_u32 s2, s7, s13
	s_delay_alu instid0(SALU_CYCLE_1) | instskip(NEXT) | instid1(SALU_CYCLE_1)
	s_add_i32 s2, s13, s2
	s_lshr_b32 s2, s2, s8
	s_delay_alu instid0(SALU_CYCLE_1) | instskip(SKIP_2) | instid1(SALU_CYCLE_1)
	s_mul_i32 s3, s2, s9
	s_load_b64 s[8:9], s[0:1], 0x10
	s_sub_i32 s3, s13, s3
	s_mul_hi_u32 s7, s3, s10
	s_delay_alu instid0(SALU_CYCLE_1) | instskip(NEXT) | instid1(SALU_CYCLE_1)
	s_add_i32 s7, s3, s7
	s_lshr_b32 s7, s7, s11
	s_delay_alu instid0(SALU_CYCLE_1) | instskip(NEXT) | instid1(SALU_CYCLE_1)
	s_mul_i32 s10, s7, s16
	s_sub_i32 s3, s3, s10
	s_delay_alu instid0(SALU_CYCLE_1) | instskip(NEXT) | instid1(SALU_CYCLE_1)
	s_mul_hi_u32 s10, s3, s17
	s_add_i32 s10, s3, s10
	s_delay_alu instid0(SALU_CYCLE_1) | instskip(NEXT) | instid1(SALU_CYCLE_1)
	s_lshr_b32 s11, s10, s18
	s_mul_i32 s10, s11, s19
	s_lshl_b32 s11, s11, 2
	s_sub_i32 s10, s3, s10
	s_delay_alu instid0(SALU_CYCLE_1) | instskip(NEXT) | instid1(SALU_CYCLE_1)
	s_lshl_b32 s3, s10, 2
	s_add_i32 s3, s3, s14
	s_waitcnt lgkmcnt(0)
	s_cmp_lt_i32 s3, s8
	s_cselect_b32 s3, -1, 0
	s_add_i32 s11, s11, s15
	s_delay_alu instid0(SALU_CYCLE_1) | instskip(SKIP_1) | instid1(SALU_CYCLE_1)
	s_cmp_lt_i32 s11, s5
	s_cselect_b32 s12, -1, 0
	s_and_b32 s3, s3, s12
	s_delay_alu instid0(SALU_CYCLE_1)
	s_and_not1_b32 vcc_lo, exec_lo, s3
	s_cbranch_vccnz .LBB25_6
; %bb.1:
	s_mul_i32 s8, s2, s8
	s_mul_i32 s7, s7, s5
	s_add_i32 s8, s8, s14
	s_add_i32 s5, s11, s7
	s_mul_i32 s8, s8, s9
	s_load_b128 s[0:3], s[0:1], 0x0
	s_mul_i32 s7, s9, s10
	s_add_i32 s5, s5, s8
	s_mulk_i32 s7, 0x140
	s_mulk_i32 s5, 0x50
	s_lshl_b32 s9, s14, 2
	v_add3_u32 v1, s5, s7, v0
	s_mul_i32 s5, s13, s6
	s_delay_alu instid0(SALU_CYCLE_1) | instskip(NEXT) | instid1(VALU_DEP_1)
	s_add_i32 s10, s5, s6
	v_ashrrev_i32_e32 v2, 31, v1
	s_delay_alu instid0(VALU_DEP_1) | instskip(SKIP_1) | instid1(VALU_DEP_1)
	v_lshlrev_b64 v[1:2], 2, v[1:2]
	s_waitcnt lgkmcnt(0)
	v_add_co_u32 v1, vcc_lo, s0, v1
	s_delay_alu instid0(VALU_DEP_2) | instskip(SKIP_4) | instid1(SALU_CYCLE_1)
	v_add_co_ci_u32_e32 v2, vcc_lo, s1, v2, vcc_lo
	s_add_i32 s0, s9, s15
	s_lshl_b32 s1, s10, 4
	global_load_b32 v5, v[1:2], off
	s_add_i32 s0, s0, s1
	s_add_i32 s0, s0, -16
	s_delay_alu instid0(SALU_CYCLE_1) | instskip(NEXT) | instid1(SALU_CYCLE_1)
	s_ashr_i32 s1, s0, 31
	s_lshl_b64 s[0:1], s[0:1], 3
	s_delay_alu instid0(SALU_CYCLE_1)
	s_add_u32 s0, s2, s0
	s_addc_u32 s1, s3, s1
	s_add_i32 s7, s10, -2
	s_load_b32 s11, s[0:1], 0x4
	s_cmp_lt_i32 s7, s5
	s_cbranch_scc1 .LBB25_4
; %bb.2:
	s_load_b32 s12, s[0:1], 0x0
	s_lshl_b32 s16, s4, 6
	s_mulk_i32 s14, 0x140
	s_ashr_i32 s17, s16, 31
	s_waitcnt lgkmcnt(0)
	v_mov_b32_e32 v6, s11
	s_lshl_b64 s[0:1], s[16:17], 2
	s_delay_alu instid0(SALU_CYCLE_1)
	s_add_u32 s7, s2, s0
	s_addc_u32 s8, s3, s1
	s_add_i32 s13, s13, 1
	s_lshl_b32 s4, s4, 4
	s_mul_i32 s0, s6, s13
	s_mul_i32 s6, s15, 0x50
	s_lshl_b32 s1, s0, 4
	s_mulk_i32 s0, 0x500
	s_add_i32 s6, s6, s14
	s_add_i32 s1, s15, s1
	;; [unrolled: 1-line block ×4, first 2 shown]
	v_add3_u32 v3, s6, v0, 0xfffff600
	v_mov_b32_e32 v0, s12
	s_add_i32 s0, s0, s9
	s_add_i32 s4, s10, -1
	s_sub_i32 s0, s0, 32
.LBB25_3:                               ; =>This Inner Loop Header: Depth=1
	s_delay_alu instid0(VALU_DEP_2) | instskip(SKIP_1) | instid1(SALU_CYCLE_1)
	v_ashrrev_i32_e32 v4, 31, v3
	s_ashr_i32 s1, s0, 31
	s_lshl_b64 s[10:11], s[0:1], 3
	s_delay_alu instid0(SALU_CYCLE_1) | instskip(NEXT) | instid1(VALU_DEP_1)
	s_add_u32 s10, s2, s10
	v_lshlrev_b64 v[7:8], 2, v[3:4]
	s_addc_u32 s11, s3, s11
	s_add_i32 s4, s4, -1
	s_add_i32 s0, s0, -16
	s_cmp_le_i32 s4, s5
	s_load_b64 s[10:11], s[10:11], 0x0
	v_add_co_u32 v7, vcc_lo, s7, v7
	v_add_co_ci_u32_e32 v8, vcc_lo, s8, v8, vcc_lo
	global_load_b32 v4, v[7:8], off
	v_max_f32_e32 v7, v0, v0
	s_waitcnt lgkmcnt(0)
	v_max_f32_e64 v8, s10, s10
	s_delay_alu instid0(VALU_DEP_1) | instskip(NEXT) | instid1(VALU_DEP_1)
	v_max_f32_e32 v7, v7, v8
	v_sub_f32_e32 v8, s10, v7
	s_delay_alu instid0(VALU_DEP_1) | instskip(NEXT) | instid1(VALU_DEP_1)
	v_dual_sub_f32 v0, v0, v7 :: v_dual_mul_f32 v9, 0x3fb8aa3b, v8
	v_fma_f32 v10, 0x3fb8aa3b, v8, -v9
	v_rndne_f32_e32 v11, v9
	s_delay_alu instid0(VALU_DEP_3) | instskip(NEXT) | instid1(VALU_DEP_2)
	v_mul_f32_e32 v12, 0x3fb8aa3b, v0
	v_dual_fmac_f32 v10, 0x32a5705f, v8 :: v_dual_sub_f32 v9, v9, v11
	v_cvt_i32_f32_e32 v11, v11
	s_delay_alu instid0(VALU_DEP_3) | instskip(SKIP_1) | instid1(VALU_DEP_4)
	v_fma_f32 v13, 0x3fb8aa3b, v0, -v12
	v_rndne_f32_e32 v14, v12
	v_add_f32_e32 v9, v9, v10
	v_cmp_ngt_f32_e32 vcc_lo, 0xc2ce8ed0, v8
	s_delay_alu instid0(VALU_DEP_3) | instskip(NEXT) | instid1(VALU_DEP_3)
	v_sub_f32_e32 v10, v12, v14
	v_exp_f32_e32 v9, v9
	s_waitcnt_depctr 0xfff
	v_ldexp_f32 v9, v9, v11
	v_cvt_i32_f32_e32 v11, v14
	s_delay_alu instid0(VALU_DEP_2) | instskip(SKIP_1) | instid1(VALU_DEP_2)
	v_cndmask_b32_e32 v9, 0, v9, vcc_lo
	v_cmp_nlt_f32_e32 vcc_lo, 0x42b17218, v8
	v_cndmask_b32_e32 v9, 0x7f800000, v9, vcc_lo
	v_cmp_ngt_f32_e32 vcc_lo, 0xc2ce8ed0, v0
	v_fmac_f32_e32 v13, 0x32a5705f, v0
	s_delay_alu instid0(VALU_DEP_1) | instskip(NEXT) | instid1(VALU_DEP_1)
	v_add_f32_e32 v10, v10, v13
	v_exp_f32_e32 v10, v10
	s_waitcnt_depctr 0xfff
	v_ldexp_f32 v10, v10, v11
	s_delay_alu instid0(VALU_DEP_1)
	v_dual_mov_b32 v11, v6 :: v_dual_cndmask_b32 v10, 0, v10
	v_cmp_le_f32_e32 vcc_lo, 0xc1a00000, v8
	s_waitcnt vmcnt(1)
	v_dual_cndmask_b32 v8, 0, v9 :: v_dual_mov_b32 v9, v5
	v_cmp_nlt_f32_e32 vcc_lo, 0x42b17218, v0
	v_cndmask_b32_e32 v5, 0x7f800000, v10, vcc_lo
	s_delay_alu instid0(VALU_DEP_3) | instskip(SKIP_2) | instid1(VALU_DEP_3)
	v_mul_f32_e32 v10, s11, v8
	v_cmp_le_f32_e32 vcc_lo, 0xc1a00000, v0
	v_mov_b32_e32 v0, v7
	v_mov_b32_e32 v6, v10
	s_waitcnt vmcnt(0)
	v_dual_cndmask_b32 v12, 0, v5 :: v_dual_mul_f32 v5, v4, v8
	s_delay_alu instid0(VALU_DEP_1) | instskip(NEXT) | instid1(VALU_DEP_2)
	v_dual_fmac_f32 v6, v11, v12 :: v_dual_add_nc_u32 v3, 0xfffffb00, v3
	v_fmac_f32_e32 v5, v9, v12
	s_cbranch_scc0 .LBB25_3
	s_branch .LBB25_5
.LBB25_4:
	s_waitcnt lgkmcnt(0)
	v_mov_b32_e32 v6, s11
.LBB25_5:
	s_waitcnt vmcnt(0)
	s_delay_alu instid0(VALU_DEP_1) | instskip(NEXT) | instid1(VALU_DEP_1)
	v_div_scale_f32 v0, null, v6, v6, v5
	v_rcp_f32_e32 v3, v0
	s_waitcnt_depctr 0xfff
	v_fma_f32 v4, -v0, v3, 1.0
	s_delay_alu instid0(VALU_DEP_1) | instskip(SKIP_1) | instid1(VALU_DEP_1)
	v_fmac_f32_e32 v3, v4, v3
	v_div_scale_f32 v4, vcc_lo, v5, v6, v5
	v_mul_f32_e32 v7, v4, v3
	s_delay_alu instid0(VALU_DEP_1) | instskip(NEXT) | instid1(VALU_DEP_1)
	v_fma_f32 v8, -v0, v7, v4
	v_fmac_f32_e32 v7, v8, v3
	s_delay_alu instid0(VALU_DEP_1) | instskip(NEXT) | instid1(VALU_DEP_1)
	v_fma_f32 v0, -v0, v7, v4
	v_div_fmas_f32 v0, v0, v3, v7
	s_delay_alu instid0(VALU_DEP_1)
	v_div_fixup_f32 v0, v0, v6, v5
	global_store_b32 v[1:2], v0, off
.LBB25_6:
	s_nop 0
	s_sendmsg sendmsg(MSG_DEALLOC_VGPRS)
	s_endpgm
	.section	.rodata,"a",@progbits
	.p2align	6, 0x0
	.amdhsa_kernel _ZL33flash_attn_stream_k_fixup_uniformILi80ELi4ELi4EEvPfPK15HIP_vector_typeIfLj2EEiiiiiiS1_IjLj3EES5_S5_
		.amdhsa_group_segment_fixed_size 0
		.amdhsa_private_segment_fixed_size 0
		.amdhsa_kernarg_size 76
		.amdhsa_user_sgpr_count 13
		.amdhsa_user_sgpr_dispatch_ptr 0
		.amdhsa_user_sgpr_queue_ptr 0
		.amdhsa_user_sgpr_kernarg_segment_ptr 1
		.amdhsa_user_sgpr_dispatch_id 0
		.amdhsa_user_sgpr_private_segment_size 0
		.amdhsa_wavefront_size32 1
		.amdhsa_uses_dynamic_stack 0
		.amdhsa_enable_private_segment 0
		.amdhsa_system_sgpr_workgroup_id_x 1
		.amdhsa_system_sgpr_workgroup_id_y 1
		.amdhsa_system_sgpr_workgroup_id_z 1
		.amdhsa_system_sgpr_workgroup_info 0
		.amdhsa_system_vgpr_workitem_id 0
		.amdhsa_next_free_vgpr 15
		.amdhsa_next_free_sgpr 20
		.amdhsa_reserve_vcc 1
		.amdhsa_float_round_mode_32 0
		.amdhsa_float_round_mode_16_64 0
		.amdhsa_float_denorm_mode_32 3
		.amdhsa_float_denorm_mode_16_64 3
		.amdhsa_dx10_clamp 1
		.amdhsa_ieee_mode 1
		.amdhsa_fp16_overflow 0
		.amdhsa_workgroup_processor_mode 1
		.amdhsa_memory_ordered 1
		.amdhsa_forward_progress 0
		.amdhsa_shared_vgpr_count 0
		.amdhsa_exception_fp_ieee_invalid_op 0
		.amdhsa_exception_fp_denorm_src 0
		.amdhsa_exception_fp_ieee_div_zero 0
		.amdhsa_exception_fp_ieee_overflow 0
		.amdhsa_exception_fp_ieee_underflow 0
		.amdhsa_exception_fp_ieee_inexact 0
		.amdhsa_exception_int_div_zero 0
	.end_amdhsa_kernel
	.section	.text._ZL33flash_attn_stream_k_fixup_uniformILi80ELi4ELi4EEvPfPK15HIP_vector_typeIfLj2EEiiiiiiS1_IjLj3EES5_S5_,"axG",@progbits,_ZL33flash_attn_stream_k_fixup_uniformILi80ELi4ELi4EEvPfPK15HIP_vector_typeIfLj2EEiiiiiiS1_IjLj3EES5_S5_,comdat
.Lfunc_end25:
	.size	_ZL33flash_attn_stream_k_fixup_uniformILi80ELi4ELi4EEvPfPK15HIP_vector_typeIfLj2EEiiiiiiS1_IjLj3EES5_S5_, .Lfunc_end25-_ZL33flash_attn_stream_k_fixup_uniformILi80ELi4ELi4EEvPfPK15HIP_vector_typeIfLj2EEiiiiiiS1_IjLj3EES5_S5_
                                        ; -- End function
	.section	.AMDGPU.csdata,"",@progbits
; Kernel info:
; codeLenInByte = 992
; NumSgprs: 22
; NumVgprs: 15
; ScratchSize: 0
; MemoryBound: 0
; FloatMode: 240
; IeeeMode: 1
; LDSByteSize: 0 bytes/workgroup (compile time only)
; SGPRBlocks: 2
; VGPRBlocks: 1
; NumSGPRsForWavesPerEU: 22
; NumVGPRsForWavesPerEU: 15
; Occupancy: 16
; WaveLimiterHint : 0
; COMPUTE_PGM_RSRC2:SCRATCH_EN: 0
; COMPUTE_PGM_RSRC2:USER_SGPR: 13
; COMPUTE_PGM_RSRC2:TRAP_HANDLER: 0
; COMPUTE_PGM_RSRC2:TGID_X_EN: 1
; COMPUTE_PGM_RSRC2:TGID_Y_EN: 1
; COMPUTE_PGM_RSRC2:TGID_Z_EN: 1
; COMPUTE_PGM_RSRC2:TIDIG_COMP_CNT: 0
	.section	.text._ZL33flash_attn_stream_k_fixup_generalILi80ELi4ELi4EEvPfPK15HIP_vector_typeIfLj2EEiiiiS1_IjLj3EES5_S5_S5_,"axG",@progbits,_ZL33flash_attn_stream_k_fixup_generalILi80ELi4ELi4EEvPfPK15HIP_vector_typeIfLj2EEiiiiS1_IjLj3EES5_S5_S5_,comdat
	.globl	_ZL33flash_attn_stream_k_fixup_generalILi80ELi4ELi4EEvPfPK15HIP_vector_typeIfLj2EEiiiiS1_IjLj3EES5_S5_S5_ ; -- Begin function _ZL33flash_attn_stream_k_fixup_generalILi80ELi4ELi4EEvPfPK15HIP_vector_typeIfLj2EEiiiiS1_IjLj3EES5_S5_S5_
	.p2align	8
	.type	_ZL33flash_attn_stream_k_fixup_generalILi80ELi4ELi4EEvPfPK15HIP_vector_typeIfLj2EEiiiiS1_IjLj3EES5_S5_S5_,@function
_ZL33flash_attn_stream_k_fixup_generalILi80ELi4ELi4EEvPfPK15HIP_vector_typeIfLj2EEiiiiS1_IjLj3EES5_S5_S5_: ; @_ZL33flash_attn_stream_k_fixup_generalILi80ELi4ELi4EEvPfPK15HIP_vector_typeIfLj2EEiiiiS1_IjLj3EES5_S5_S5_
; %bb.0:
	s_clause 0x1
	s_load_b128 s[4:7], s[0:1], 0x10
	s_load_b32 s20, s[0:1], 0x50
	s_mov_b32 s2, 0
	s_waitcnt lgkmcnt(0)
	s_mul_hi_i32 s3, s7, s13
	s_mul_i32 s12, s7, s13
	s_cmp_lg_u64 s[2:3], 0
	s_cbranch_scc0 .LBB26_21
; %bb.1:
	v_cvt_f32_ubyte0_e32 v1, 0
	v_cvt_f32_u32_e32 v2, s20
	s_sub_u32 s10, 0, s20
	s_subb_u32 s11, 0, 0
	s_delay_alu instid0(VALU_DEP_1) | instskip(NEXT) | instid1(VALU_DEP_1)
	v_fmamk_f32 v1, v1, 0x4f800000, v2
	v_rcp_f32_e32 v1, v1
	s_waitcnt_depctr 0xfff
	v_mul_f32_e32 v1, 0x5f7ffffc, v1
	s_delay_alu instid0(VALU_DEP_1) | instskip(NEXT) | instid1(VALU_DEP_1)
	v_mul_f32_e32 v2, 0x2f800000, v1
	v_trunc_f32_e32 v2, v2
	s_delay_alu instid0(VALU_DEP_1) | instskip(SKIP_1) | instid1(VALU_DEP_2)
	v_fmamk_f32 v1, v2, 0xcf800000, v1
	v_cvt_u32_f32_e32 v2, v2
	v_cvt_u32_f32_e32 v1, v1
	s_delay_alu instid0(VALU_DEP_2) | instskip(NEXT) | instid1(VALU_DEP_2)
	v_readfirstlane_b32 s8, v2
	v_readfirstlane_b32 s9, v1
	s_delay_alu instid0(VALU_DEP_2) | instskip(NEXT) | instid1(VALU_DEP_1)
	s_mul_i32 s16, s10, s8
	s_mul_hi_u32 s18, s10, s9
	s_mul_i32 s17, s11, s9
	s_add_i32 s16, s18, s16
	s_mul_i32 s19, s10, s9
	s_add_i32 s16, s16, s17
	s_mul_hi_u32 s18, s9, s19
	s_mul_hi_u32 s21, s8, s19
	s_mul_i32 s17, s8, s19
	s_mul_hi_u32 s19, s9, s16
	s_mul_i32 s9, s9, s16
	s_mul_hi_u32 s22, s8, s16
	s_add_u32 s9, s18, s9
	s_addc_u32 s18, 0, s19
	s_add_u32 s9, s9, s17
	s_mul_i32 s16, s8, s16
	s_addc_u32 s9, s18, s21
	s_addc_u32 s17, s22, 0
	s_add_u32 s9, s9, s16
	s_addc_u32 s16, 0, s17
	v_add_co_u32 v1, s9, v1, s9
	s_delay_alu instid0(VALU_DEP_1) | instskip(SKIP_1) | instid1(VALU_DEP_1)
	s_cmp_lg_u32 s9, 0
	s_addc_u32 s8, s8, s16
	v_readfirstlane_b32 s9, v1
	s_mul_i32 s16, s10, s8
	s_delay_alu instid0(VALU_DEP_1)
	s_mul_hi_u32 s17, s10, s9
	s_mul_i32 s11, s11, s9
	s_add_i32 s16, s17, s16
	s_mul_i32 s10, s10, s9
	s_add_i32 s16, s16, s11
	s_mul_hi_u32 s17, s8, s10
	s_mul_i32 s18, s8, s10
	s_mul_hi_u32 s10, s9, s10
	s_mul_hi_u32 s19, s9, s16
	s_mul_i32 s9, s9, s16
	s_mul_hi_u32 s11, s8, s16
	s_add_u32 s9, s10, s9
	s_addc_u32 s10, 0, s19
	s_add_u32 s9, s9, s18
	s_mul_i32 s16, s8, s16
	s_addc_u32 s9, s10, s17
	s_addc_u32 s10, s11, 0
	s_add_u32 s9, s9, s16
	s_addc_u32 s10, 0, s10
	v_add_co_u32 v1, s9, v1, s9
	s_delay_alu instid0(VALU_DEP_1) | instskip(SKIP_2) | instid1(SALU_CYCLE_1)
	s_cmp_lg_u32 s9, 0
	s_addc_u32 s16, s8, s10
	s_ashr_i32 s8, s3, 31
	s_add_u32 s10, s12, s8
	s_addc_u32 s11, s3, s8
	v_readfirstlane_b32 s3, v1
	s_mov_b32 s9, s8
	s_delay_alu instid0(SALU_CYCLE_1) | instskip(NEXT) | instid1(SALU_CYCLE_1)
	s_xor_b64 s[10:11], s[10:11], s[8:9]
	s_mul_i32 s18, s10, s16
	s_delay_alu instid0(VALU_DEP_1)
	s_mul_hi_u32 s19, s10, s3
	s_mul_hi_u32 s17, s10, s16
	;; [unrolled: 1-line block ×3, first 2 shown]
	s_mul_i32 s3, s11, s3
	s_add_u32 s18, s19, s18
	s_addc_u32 s17, 0, s17
	s_mul_hi_u32 s21, s11, s16
	s_add_u32 s3, s18, s3
	s_mul_i32 s16, s11, s16
	s_addc_u32 s3, s17, s22
	s_addc_u32 s17, s21, 0
	s_add_u32 s3, s3, s16
	s_addc_u32 s16, 0, s17
	s_mul_i32 s18, s20, s3
	s_add_u32 s17, s3, 1
	v_sub_co_u32 v1, s10, s10, s18
	s_mul_hi_u32 s18, s20, s3
	s_addc_u32 s19, s16, 0
	s_mul_i32 s21, s20, s16
	s_delay_alu instid0(VALU_DEP_1)
	v_sub_co_u32 v2, s22, v1, s20
	s_add_u32 s23, s3, 2
	s_addc_u32 s24, s16, 0
	s_add_i32 s18, s18, s21
	s_cmp_lg_u32 s10, 0
	v_readfirstlane_b32 s10, v2
	s_subb_u32 s11, s11, s18
	s_cmp_lg_u32 s22, 0
	s_subb_u32 s18, s11, 0
	s_delay_alu instid0(VALU_DEP_1) | instskip(SKIP_4) | instid1(SALU_CYCLE_1)
	s_cmp_ge_u32 s10, s20
	s_cselect_b32 s10, -1, 0
	s_cmp_eq_u32 s18, 0
	v_readfirstlane_b32 s18, v1
	s_cselect_b32 s10, s10, -1
	s_cmp_lg_u32 s10, 0
	s_cselect_b32 s10, s23, s17
	s_cselect_b32 s17, s24, s19
	s_cmp_ge_u32 s18, s20
	s_cselect_b32 s18, -1, 0
	s_cmp_eq_u32 s11, 0
	s_cselect_b32 s11, s18, -1
	s_delay_alu instid0(SALU_CYCLE_1) | instskip(SKIP_2) | instid1(SALU_CYCLE_1)
	s_cmp_lg_u32 s11, 0
	s_cselect_b32 s11, s17, s16
	s_cselect_b32 s10, s10, s3
	s_xor_b64 s[10:11], s[10:11], s[8:9]
	s_delay_alu instid0(SALU_CYCLE_1)
	s_sub_u32 s16, s10, s8
	s_load_b128 s[8:11], s[0:1], 0x44
	s_and_not1_b32 vcc_lo, exec_lo, s2
	s_cbranch_vccnz .LBB26_3
.LBB26_2:
	v_cvt_f32_u32_e32 v1, s20
	s_sub_i32 s3, 0, s20
	s_delay_alu instid0(VALU_DEP_1) | instskip(SKIP_2) | instid1(VALU_DEP_1)
	v_rcp_iflag_f32_e32 v1, v1
	s_waitcnt_depctr 0xfff
	v_mul_f32_e32 v1, 0x4f7ffffe, v1
	v_cvt_u32_f32_e32 v1, v1
	s_delay_alu instid0(VALU_DEP_1) | instskip(NEXT) | instid1(VALU_DEP_1)
	v_readfirstlane_b32 s2, v1
	s_mul_i32 s3, s3, s2
	s_delay_alu instid0(SALU_CYCLE_1) | instskip(NEXT) | instid1(SALU_CYCLE_1)
	s_mul_hi_u32 s3, s2, s3
	s_add_i32 s2, s2, s3
	s_delay_alu instid0(SALU_CYCLE_1) | instskip(NEXT) | instid1(SALU_CYCLE_1)
	s_mul_hi_u32 s2, s12, s2
	s_mul_i32 s3, s2, s20
	s_waitcnt lgkmcnt(0)
	s_add_i32 s11, s2, 1
	s_sub_i32 s3, s12, s3
	s_delay_alu instid0(SALU_CYCLE_1)
	s_sub_i32 s12, s3, s20
	s_cmp_ge_u32 s3, s20
	s_cselect_b32 s2, s11, s2
	s_cselect_b32 s3, s12, s3
	s_add_i32 s11, s2, 1
	s_cmp_ge_u32 s3, s20
	s_cselect_b32 s16, s11, s2
.LBB26_3:
	s_waitcnt lgkmcnt(0)
	s_add_i32 s11, s13, 1
	s_mov_b32 s2, 0
	s_mul_hi_i32 s3, s7, s11
	s_mul_i32 s11, s7, s11
	s_cmp_lg_u64 s[2:3], 0
	s_cbranch_scc0 .LBB26_22
; %bb.4:
	v_cvt_f32_ubyte0_e32 v1, 0
	v_cvt_f32_u32_e32 v2, s20
	s_sub_u32 s18, 0, s20
	s_subb_u32 s19, 0, 0
	s_delay_alu instid0(VALU_DEP_1) | instskip(NEXT) | instid1(VALU_DEP_1)
	v_fmamk_f32 v1, v1, 0x4f800000, v2
	v_rcp_f32_e32 v1, v1
	s_waitcnt_depctr 0xfff
	v_mul_f32_e32 v1, 0x5f7ffffc, v1
	s_delay_alu instid0(VALU_DEP_1) | instskip(NEXT) | instid1(VALU_DEP_1)
	v_mul_f32_e32 v2, 0x2f800000, v1
	v_trunc_f32_e32 v2, v2
	s_delay_alu instid0(VALU_DEP_1) | instskip(SKIP_1) | instid1(VALU_DEP_2)
	v_fmamk_f32 v1, v2, 0xcf800000, v1
	v_cvt_u32_f32_e32 v2, v2
	v_cvt_u32_f32_e32 v1, v1
	s_delay_alu instid0(VALU_DEP_2) | instskip(NEXT) | instid1(VALU_DEP_2)
	v_readfirstlane_b32 s12, v2
	v_readfirstlane_b32 s17, v1
	s_delay_alu instid0(VALU_DEP_2) | instskip(NEXT) | instid1(VALU_DEP_1)
	s_mul_i32 s21, s18, s12
	s_mul_hi_u32 s23, s18, s17
	s_mul_i32 s22, s19, s17
	s_add_i32 s21, s23, s21
	s_mul_i32 s24, s18, s17
	s_add_i32 s21, s21, s22
	s_mul_hi_u32 s23, s17, s24
	s_mul_hi_u32 s25, s12, s24
	s_mul_i32 s22, s12, s24
	s_mul_hi_u32 s24, s17, s21
	s_mul_i32 s17, s17, s21
	s_mul_hi_u32 s26, s12, s21
	s_add_u32 s17, s23, s17
	s_addc_u32 s23, 0, s24
	s_add_u32 s17, s17, s22
	s_mul_i32 s21, s12, s21
	s_addc_u32 s17, s23, s25
	s_addc_u32 s22, s26, 0
	s_add_u32 s17, s17, s21
	s_addc_u32 s21, 0, s22
	v_add_co_u32 v1, s17, v1, s17
	s_delay_alu instid0(VALU_DEP_1) | instskip(SKIP_1) | instid1(VALU_DEP_1)
	s_cmp_lg_u32 s17, 0
	s_addc_u32 s12, s12, s21
	v_readfirstlane_b32 s17, v1
	s_mul_i32 s21, s18, s12
	s_delay_alu instid0(VALU_DEP_1)
	s_mul_hi_u32 s22, s18, s17
	s_mul_i32 s19, s19, s17
	s_add_i32 s21, s22, s21
	s_mul_i32 s18, s18, s17
	s_add_i32 s21, s21, s19
	s_mul_hi_u32 s22, s12, s18
	s_mul_i32 s23, s12, s18
	s_mul_hi_u32 s18, s17, s18
	s_mul_hi_u32 s24, s17, s21
	s_mul_i32 s17, s17, s21
	s_mul_hi_u32 s19, s12, s21
	s_add_u32 s17, s18, s17
	s_addc_u32 s18, 0, s24
	s_add_u32 s17, s17, s23
	s_mul_i32 s21, s12, s21
	s_addc_u32 s17, s18, s22
	s_addc_u32 s18, s19, 0
	s_add_u32 s17, s17, s21
	s_addc_u32 s18, 0, s18
	v_add_co_u32 v1, s17, v1, s17
	s_delay_alu instid0(VALU_DEP_1) | instskip(SKIP_2) | instid1(SALU_CYCLE_1)
	s_cmp_lg_u32 s17, 0
	s_addc_u32 s12, s12, s18
	s_ashr_i32 s18, s3, 31
	s_add_u32 s22, s11, s18
	s_addc_u32 s23, s3, s18
	v_readfirstlane_b32 s3, v1
	s_mov_b32 s19, s18
	s_delay_alu instid0(SALU_CYCLE_1) | instskip(NEXT) | instid1(SALU_CYCLE_1)
	s_xor_b64 s[22:23], s[22:23], s[18:19]
	s_mul_i32 s21, s22, s12
	s_delay_alu instid0(VALU_DEP_1)
	s_mul_hi_u32 s24, s22, s3
	s_mul_hi_u32 s17, s22, s12
	;; [unrolled: 1-line block ×3, first 2 shown]
	s_mul_i32 s3, s23, s3
	s_add_u32 s21, s24, s21
	s_addc_u32 s17, 0, s17
	s_mul_hi_u32 s25, s23, s12
	s_add_u32 s3, s21, s3
	s_mul_i32 s12, s23, s12
	s_addc_u32 s3, s17, s26
	s_addc_u32 s17, s25, 0
	s_add_u32 s3, s3, s12
	s_addc_u32 s12, 0, s17
	s_mul_i32 s21, s20, s3
	s_add_u32 s17, s3, 1
	v_sub_co_u32 v1, s21, s22, s21
	s_mul_hi_u32 s22, s20, s3
	s_addc_u32 s24, s12, 0
	s_mul_i32 s25, s20, s12
	s_delay_alu instid0(VALU_DEP_1)
	v_sub_co_u32 v2, s26, v1, s20
	s_add_u32 s27, s3, 2
	s_addc_u32 s28, s12, 0
	s_add_i32 s22, s22, s25
	s_cmp_lg_u32 s21, 0
	v_readfirstlane_b32 s21, v2
	s_subb_u32 s22, s23, s22
	s_cmp_lg_u32 s26, 0
	s_subb_u32 s23, s22, 0
	s_delay_alu instid0(VALU_DEP_1) | instskip(SKIP_4) | instid1(SALU_CYCLE_1)
	s_cmp_ge_u32 s21, s20
	s_cselect_b32 s21, -1, 0
	s_cmp_eq_u32 s23, 0
	v_readfirstlane_b32 s23, v1
	s_cselect_b32 s21, s21, -1
	s_cmp_lg_u32 s21, 0
	s_cselect_b32 s17, s27, s17
	s_cselect_b32 s21, s28, s24
	s_cmp_ge_u32 s23, s20
	s_cselect_b32 s23, -1, 0
	s_cmp_eq_u32 s22, 0
	s_cselect_b32 s22, s23, -1
	s_delay_alu instid0(SALU_CYCLE_1) | instskip(SKIP_2) | instid1(SALU_CYCLE_1)
	s_cmp_lg_u32 s22, 0
	s_cselect_b32 s23, s21, s12
	s_cselect_b32 s22, s17, s3
	s_xor_b64 s[22:23], s[22:23], s[18:19]
	s_delay_alu instid0(SALU_CYCLE_1)
	s_sub_u32 s18, s22, s18
	s_and_not1_b32 vcc_lo, exec_lo, s2
	s_cbranch_vccnz .LBB26_6
.LBB26_5:
	v_cvt_f32_u32_e32 v1, s20
	s_sub_i32 s3, 0, s20
	s_delay_alu instid0(VALU_DEP_1) | instskip(SKIP_2) | instid1(VALU_DEP_1)
	v_rcp_iflag_f32_e32 v1, v1
	s_waitcnt_depctr 0xfff
	v_mul_f32_e32 v1, 0x4f7ffffe, v1
	v_cvt_u32_f32_e32 v1, v1
	s_delay_alu instid0(VALU_DEP_1) | instskip(NEXT) | instid1(VALU_DEP_1)
	v_readfirstlane_b32 s2, v1
	s_mul_i32 s3, s3, s2
	s_delay_alu instid0(SALU_CYCLE_1) | instskip(NEXT) | instid1(SALU_CYCLE_1)
	s_mul_hi_u32 s3, s2, s3
	s_add_i32 s2, s2, s3
	s_delay_alu instid0(SALU_CYCLE_1) | instskip(NEXT) | instid1(SALU_CYCLE_1)
	s_mul_hi_u32 s2, s11, s2
	s_mul_i32 s3, s2, s20
	s_delay_alu instid0(SALU_CYCLE_1)
	s_sub_i32 s3, s11, s3
	s_add_i32 s11, s2, 1
	s_sub_i32 s12, s3, s20
	s_cmp_ge_u32 s3, s20
	s_cselect_b32 s2, s11, s2
	s_cselect_b32 s3, s12, s3
	s_add_i32 s11, s2, 1
	s_cmp_ge_u32 s3, s20
	s_cselect_b32 s18, s11, s2
.LBB26_6:
	s_delay_alu instid0(SALU_CYCLE_1) | instskip(SKIP_3) | instid1(SALU_CYCLE_1)
	s_cmp_eq_u32 s16, s18
	s_mul_hi_u32 s2, s16, s8
	s_cselect_b32 s3, -1, 0
	s_add_i32 s2, s2, s16
	s_lshr_b32 s11, s2, s9
	s_delay_alu instid0(SALU_CYCLE_1) | instskip(NEXT) | instid1(SALU_CYCLE_1)
	s_mul_i32 s2, s11, s10
	s_cmp_eq_u32 s2, s16
	s_mul_hi_u32 s2, s18, s8
	s_cselect_b32 s12, -1, 0
	s_add_i32 s2, s2, s18
	s_delay_alu instid0(SALU_CYCLE_1) | instskip(NEXT) | instid1(SALU_CYCLE_1)
	s_lshr_b32 s2, s2, s9
	s_cmp_eq_u32 s11, s2
	s_mul_i32 s2, s2, s10
	s_cselect_b32 s17, -1, 0
	s_cmp_lg_u32 s2, s18
	s_cselect_b32 s2, -1, 0
	s_or_b32 s3, s3, s12
	s_and_b32 s2, s17, s2
	s_delay_alu instid0(SALU_CYCLE_1) | instskip(NEXT) | instid1(SALU_CYCLE_1)
	s_or_b32 s2, s3, s2
	s_and_b32 vcc_lo, exec_lo, s2
	s_cbranch_vccnz .LBB26_24
; %bb.7:
	s_load_b256 s[24:31], s[0:1], 0x20
	s_waitcnt lgkmcnt(0)
	s_mul_hi_u32 s2, s16, s24
	s_delay_alu instid0(SALU_CYCLE_1) | instskip(NEXT) | instid1(SALU_CYCLE_1)
	s_add_i32 s2, s2, s16
	s_lshr_b32 s17, s2, s25
	s_load_b32 s2, s[0:1], 0x40
	s_mul_i32 s3, s17, s26
	s_delay_alu instid0(SALU_CYCLE_1) | instskip(NEXT) | instid1(SALU_CYCLE_1)
	s_sub_i32 s3, s16, s3
	s_mul_hi_u32 s12, s3, s27
	s_delay_alu instid0(SALU_CYCLE_1) | instskip(NEXT) | instid1(SALU_CYCLE_1)
	s_add_i32 s12, s3, s12
	s_lshr_b32 s19, s12, s28
	s_delay_alu instid0(SALU_CYCLE_1) | instskip(NEXT) | instid1(SALU_CYCLE_1)
	s_mul_i32 s12, s19, s29
	s_sub_i32 s3, s3, s12
	s_delay_alu instid0(SALU_CYCLE_1) | instskip(NEXT) | instid1(SALU_CYCLE_1)
	s_mul_hi_u32 s12, s3, s30
	s_add_i32 s12, s3, s12
	s_delay_alu instid0(SALU_CYCLE_1)
	s_lshr_b32 s12, s12, s31
	s_waitcnt lgkmcnt(0)
	s_mul_i32 s2, s12, s2
	s_lshl_b32 s21, s12, 2
	s_sub_i32 s2, s3, s2
	s_mov_b32 s12, 0
	s_mul_hi_u32 s3, s2, s8
	s_delay_alu instid0(SALU_CYCLE_1) | instskip(NEXT) | instid1(SALU_CYCLE_1)
	s_add_i32 s2, s2, s3
	s_lshr_b32 s18, s2, s9
	s_delay_alu instid0(SALU_CYCLE_1) | instskip(NEXT) | instid1(SALU_CYCLE_1)
	s_lshl_b32 s2, s18, 2
	s_add_i32 s2, s2, s14
	s_delay_alu instid0(SALU_CYCLE_1) | instskip(SKIP_2) | instid1(SALU_CYCLE_1)
	s_cmp_lt_i32 s2, s4
	s_cselect_b32 s2, -1, 0
	s_add_i32 s21, s21, s15
	s_cmp_lt_i32 s21, s6
	s_cselect_b32 s3, -1, 0
	s_delay_alu instid0(SALU_CYCLE_1) | instskip(NEXT) | instid1(SALU_CYCLE_1)
	s_and_b32 s2, s2, s3
	s_and_not1_b32 vcc_lo, exec_lo, s2
	s_cbranch_vccnz .LBB26_24
; %bb.8:
	s_load_b128 s[0:3], s[0:1], 0x0
	s_lshl_b32 s22, s20, 6
	s_mov_b32 s23, s12
	s_lshl_b32 s24, s14, 2
	s_lshl_b64 s[22:23], s[22:23], 2
	s_mul_i32 s19, s19, s6
	s_mul_i32 s4, s17, s4
	s_add_i32 s6, s24, s15
	v_cvt_f32_ubyte0_e32 v3, 0
	v_cvt_f32_u32_e32 v4, s20
	s_waitcnt lgkmcnt(0)
	s_add_u32 s15, s2, s22
	s_addc_u32 s17, s3, s23
	s_add_i32 s4, s4, s14
	s_add_i32 s14, s21, s19
	s_mul_i32 s4, s4, s5
	s_mul_i32 s5, s5, s18
	s_add_i32 s4, s14, s4
	s_mulk_i32 s5, 0x140
	s_mulk_i32 s4, 0x50
	s_delay_alu instid0(SALU_CYCLE_1) | instskip(NEXT) | instid1(VALU_DEP_1)
	v_add3_u32 v1, s5, s4, v0
	v_ashrrev_i32_e32 v2, 31, v1
	s_delay_alu instid0(VALU_DEP_1) | instskip(NEXT) | instid1(VALU_DEP_1)
	v_lshlrev_b64 v[1:2], 2, v[1:2]
	v_add_co_u32 v1, vcc_lo, s0, v1
	s_delay_alu instid0(VALU_DEP_2) | instskip(SKIP_1) | instid1(SALU_CYCLE_1)
	v_add_co_ci_u32_e32 v2, vcc_lo, s1, v2, vcc_lo
	s_lshl_b32 s0, s13, 4
	s_add_i32 s0, s6, s0
	global_load_b32 v5, v[1:2], off
	s_ashr_i32 s1, s0, 31
	s_delay_alu instid0(SALU_CYCLE_1) | instskip(NEXT) | instid1(SALU_CYCLE_1)
	s_lshl_b64 s[0:1], s[0:1], 3
	s_add_u32 s0, s2, s0
	s_addc_u32 s1, s3, s1
	s_add_i32 s18, s13, -1
	s_load_b64 s[0:1], s[0:1], 0x0
	v_fmac_f32_e32 v4, 0x4f800000, v3
	s_sub_i32 s14, 0, s20
	s_delay_alu instid0(VALU_DEP_1)
	v_rcp_f32_e32 v3, v4
	s_waitcnt_depctr 0xfff
	v_mul_f32_e32 v6, 0x5f7ffffc, v3
	v_cvt_f32_u32_e32 v3, s20
	s_waitcnt lgkmcnt(0)
	v_mov_b32_e32 v8, s0
	s_delay_alu instid0(VALU_DEP_3) | instskip(NEXT) | instid1(VALU_DEP_3)
	v_mul_f32_e32 v4, 0x2f800000, v6
	v_rcp_iflag_f32_e32 v7, v3
	s_delay_alu instid0(VALU_DEP_1) | instskip(SKIP_1) | instid1(VALU_DEP_2)
	v_trunc_f32_e32 v9, v4
	v_mad_u64_u32 v[3:4], null, 0x50, s6, v[0:1]
	v_fmac_f32_e32 v6, 0xcf800000, v9
	s_waitcnt_depctr 0xfff
	v_dual_mul_f32 v10, 0x4f7ffffe, v7 :: v_dual_mov_b32 v7, s1
	v_cvt_u32_f32_e32 v4, v9
	v_cvt_u32_f32_e32 v0, v6
	s_delay_alu instid0(VALU_DEP_3)
	v_cvt_u32_f32_e32 v6, v10
.LBB26_9:                               ; =>This Inner Loop Header: Depth=1
	s_mul_hi_i32 s13, s18, s7
	s_mul_i32 s4, s18, s7
	s_cmp_lg_u64 s[12:13], 0
	s_mov_b32 s5, -1
                                        ; implicit-def: $sgpr0_sgpr1
	s_cbranch_scc0 .LBB26_11
; %bb.10:                               ;   in Loop: Header=BB26_9 Depth=1
	v_readfirstlane_b32 s0, v0
	v_readfirstlane_b32 s1, v4
	s_sub_u32 s5, 0, s20
	s_subb_u32 s19, 0, 0
	s_delay_alu instid0(VALU_DEP_2) | instskip(NEXT) | instid1(VALU_DEP_1)
	s_mul_hi_u32 s21, s5, s0
	s_mul_i32 s22, s5, s1
	s_mul_i32 s23, s19, s0
	s_add_i32 s21, s21, s22
	s_mul_i32 s22, s5, s0
	s_add_i32 s21, s21, s23
	s_mul_hi_u32 s23, s0, s22
	s_mul_i32 s24, s0, s21
	s_mul_hi_u32 s0, s0, s21
	s_add_u32 s23, s23, s24
	s_mul_i32 s25, s1, s22
	s_addc_u32 s0, 0, s0
	s_mul_hi_u32 s22, s1, s22
	s_mul_hi_u32 s24, s1, s21
	s_add_u32 s23, s23, s25
	s_addc_u32 s0, s0, s22
	s_mul_i32 s21, s1, s21
	s_addc_u32 s22, s24, 0
	s_add_u32 s0, s0, s21
	s_addc_u32 s21, 0, s22
	v_add_co_u32 v9, s0, v0, s0
	s_delay_alu instid0(VALU_DEP_1) | instskip(SKIP_1) | instid1(VALU_DEP_1)
	s_cmp_lg_u32 s0, 0
	s_addc_u32 s1, s1, s21
	v_readfirstlane_b32 s0, v9
	s_mul_i32 s21, s5, s1
	s_delay_alu instid0(VALU_DEP_1)
	s_mul_hi_u32 s22, s5, s0
	s_mul_i32 s19, s19, s0
	s_add_i32 s21, s22, s21
	s_mul_i32 s5, s5, s0
	s_add_i32 s21, s21, s19
	s_mul_hi_u32 s19, s1, s5
	s_mul_i32 s23, s1, s5
	s_mul_i32 s24, s0, s21
	s_mul_hi_u32 s5, s0, s5
	s_mul_hi_u32 s0, s0, s21
	s_add_u32 s5, s5, s24
	s_addc_u32 s0, 0, s0
	s_mul_hi_u32 s22, s1, s21
	s_add_u32 s5, s5, s23
	s_addc_u32 s0, s0, s19
	s_mul_i32 s5, s1, s21
	s_addc_u32 s19, s22, 0
	s_add_u32 s0, s0, s5
	s_addc_u32 s5, 0, s19
	v_add_co_u32 v9, s0, v9, s0
	s_delay_alu instid0(VALU_DEP_1) | instskip(SKIP_2) | instid1(SALU_CYCLE_1)
	s_cmp_lg_u32 s0, 0
	s_addc_u32 s5, s1, s5
	s_ashr_i32 s0, s13, 31
	s_add_u32 s22, s4, s0
	s_addc_u32 s23, s13, s0
	v_readfirstlane_b32 s13, v9
	s_mov_b32 s1, s0
	s_delay_alu instid0(SALU_CYCLE_1) | instskip(NEXT) | instid1(SALU_CYCLE_1)
	s_xor_b64 s[22:23], s[22:23], s[0:1]
	s_mul_i32 s19, s22, s5
	s_delay_alu instid0(VALU_DEP_1)
	s_mul_hi_u32 s21, s22, s13
	s_mul_hi_u32 s24, s22, s5
	s_add_u32 s19, s21, s19
	s_mul_i32 s25, s23, s13
	s_addc_u32 s21, 0, s24
	s_mul_hi_u32 s13, s23, s13
	s_mul_hi_u32 s24, s23, s5
	s_add_u32 s19, s19, s25
	s_addc_u32 s13, s21, s13
	s_mul_i32 s5, s23, s5
	s_addc_u32 s19, s24, 0
	s_add_u32 s5, s13, s5
	s_addc_u32 s13, 0, s19
	s_mul_i32 s21, s20, s5
	s_add_u32 s19, s5, 1
	v_sub_co_u32 v9, s21, s22, s21
	s_addc_u32 s22, s13, 0
	s_mul_i32 s25, s20, s13
	s_mul_hi_u32 s27, s20, s5
	s_delay_alu instid0(VALU_DEP_1)
	v_sub_co_u32 v10, s26, v9, s20
	s_add_u32 s24, s5, 2
	s_addc_u32 s28, s13, 0
	s_add_i32 s27, s27, s25
	s_cmp_lg_u32 s21, 0
	v_readfirstlane_b32 s21, v10
	s_subb_u32 s23, s23, s27
	s_cmp_lg_u32 s26, 0
	s_subb_u32 s25, s23, 0
	s_delay_alu instid0(VALU_DEP_1) | instskip(SKIP_4) | instid1(SALU_CYCLE_1)
	s_cmp_ge_u32 s21, s20
	s_cselect_b32 s21, -1, 0
	s_cmp_eq_u32 s25, 0
	v_readfirstlane_b32 s25, v9
	s_cselect_b32 s21, s21, -1
	s_cmp_lg_u32 s21, 0
	s_cselect_b32 s19, s24, s19
	s_cselect_b32 s21, s28, s22
	s_cmp_ge_u32 s25, s20
	s_cselect_b32 s22, -1, 0
	s_cmp_eq_u32 s23, 0
	s_cselect_b32 s22, s22, -1
	s_delay_alu instid0(SALU_CYCLE_1) | instskip(SKIP_4) | instid1(SALU_CYCLE_1)
	s_cmp_lg_u32 s22, 0
	s_cselect_b32 s23, s21, s13
	s_cselect_b32 s22, s19, s5
	s_mov_b32 s5, 0
	s_xor_b64 s[22:23], s[22:23], s[0:1]
	s_sub_u32 s0, s22, s0
.LBB26_11:                              ;   in Loop: Header=BB26_9 Depth=1
	s_and_not1_b32 vcc_lo, exec_lo, s5
	s_cbranch_vccnz .LBB26_13
; %bb.12:                               ;   in Loop: Header=BB26_9 Depth=1
	v_readfirstlane_b32 s0, v6
	s_delay_alu instid0(VALU_DEP_1) | instskip(NEXT) | instid1(SALU_CYCLE_1)
	s_mul_i32 s1, s14, s0
	s_mul_hi_u32 s1, s0, s1
	s_delay_alu instid0(SALU_CYCLE_1) | instskip(NEXT) | instid1(SALU_CYCLE_1)
	s_add_i32 s0, s0, s1
	s_mul_hi_u32 s0, s4, s0
	s_delay_alu instid0(SALU_CYCLE_1) | instskip(NEXT) | instid1(SALU_CYCLE_1)
	s_mul_i32 s1, s0, s20
	s_sub_i32 s1, s4, s1
	s_add_i32 s4, s0, 1
	s_sub_i32 s5, s1, s20
	s_cmp_ge_u32 s1, s20
	s_cselect_b32 s0, s4, s0
	s_cselect_b32 s1, s5, s1
	s_add_i32 s4, s0, 1
	s_cmp_ge_u32 s1, s20
	s_cselect_b32 s0, s4, s0
.LBB26_13:                              ;   in Loop: Header=BB26_9 Depth=1
	s_delay_alu instid0(SALU_CYCLE_1)
	s_cmp_lg_u32 s16, s0
	s_cbranch_scc0 .LBB26_17
; %bb.14:                               ;   in Loop: Header=BB26_9 Depth=1
	s_add_i32 s1, s18, s20
	s_mov_b32 s5, s12
	s_lshl_b32 s1, s1, 4
	s_mov_b32 s19, s16
	s_add_i32 s4, s1, s6
	s_mul_hi_u32 s1, s0, s8
	s_lshl_b64 s[4:5], s[4:5], 3
	s_delay_alu instid0(SALU_CYCLE_1) | instskip(SKIP_2) | instid1(SALU_CYCLE_1)
	s_add_u32 s4, s2, s4
	s_addc_u32 s5, s3, s5
	s_add_i32 s1, s1, s0
	s_lshr_b32 s1, s1, s9
	s_delay_alu instid0(SALU_CYCLE_1) | instskip(NEXT) | instid1(SALU_CYCLE_1)
	s_mul_i32 s13, s1, s10
	s_cmp_eq_u32 s13, s0
	s_cselect_b32 s13, -1, 0
	s_cmp_lt_u32 s1, s11
	s_cselect_b32 s1, -1, 0
	s_delay_alu instid0(SALU_CYCLE_1)
	s_or_b32 s1, s1, s13
	s_mov_b32 s13, -1
	s_and_b32 vcc_lo, exec_lo, s1
	s_mov_b32 s1, s18
	s_cbranch_vccnz .LBB26_16
; %bb.15:                               ;   in Loop: Header=BB26_9 Depth=1
	s_add_i32 s1, s18, -1
	s_mov_b32 s13, 0
	s_mov_b32 s19, s0
.LBB26_16:                              ;   in Loop: Header=BB26_9 Depth=1
	v_mad_u64_u32 v[9:10], null, 0x500, s18, v[3:4]
	s_load_b64 s[4:5], s[4:5], 0x0
	s_delay_alu instid0(VALU_DEP_1) | instskip(NEXT) | instid1(VALU_DEP_1)
	v_ashrrev_i32_e32 v10, 31, v9
	v_lshlrev_b64 v[9:10], 2, v[9:10]
	s_delay_alu instid0(VALU_DEP_1) | instskip(NEXT) | instid1(VALU_DEP_2)
	v_add_co_u32 v9, vcc_lo, s15, v9
	v_add_co_ci_u32_e32 v10, vcc_lo, s17, v10, vcc_lo
	s_waitcnt lgkmcnt(0)
	v_max_f32_e64 v11, s4, s4
	global_load_b32 v10, v[9:10], off
	v_max_f32_e32 v9, v8, v8
	s_delay_alu instid0(VALU_DEP_1) | instskip(NEXT) | instid1(VALU_DEP_1)
	v_max_f32_e32 v9, v9, v11
	v_sub_f32_e32 v12, v8, v9
	s_delay_alu instid0(VALU_DEP_1) | instskip(NEXT) | instid1(VALU_DEP_1)
	v_dual_mul_f32 v14, 0x3fb8aa3b, v12 :: v_dual_sub_f32 v11, s4, v9
	v_rndne_f32_e32 v18, v14
	s_delay_alu instid0(VALU_DEP_2) | instskip(SKIP_2) | instid1(VALU_DEP_4)
	v_mul_f32_e32 v13, 0x3fb8aa3b, v11
	v_fma_f32 v17, 0x3fb8aa3b, v12, -v14
	v_cmp_ngt_f32_e32 vcc_lo, 0xc2ce8ed0, v11
	v_sub_f32_e32 v14, v14, v18
	s_delay_alu instid0(VALU_DEP_4) | instskip(SKIP_2) | instid1(VALU_DEP_3)
	v_fma_f32 v15, 0x3fb8aa3b, v11, -v13
	v_rndne_f32_e32 v16, v13
	v_fmac_f32_e32 v17, 0x32a5705f, v12
	v_fmac_f32_e32 v15, 0x32a5705f, v11
	s_delay_alu instid0(VALU_DEP_2) | instskip(NEXT) | instid1(VALU_DEP_1)
	v_dual_sub_f32 v13, v13, v16 :: v_dual_add_f32 v14, v14, v17
	v_add_f32_e32 v13, v13, v15
	s_delay_alu instid0(VALU_DEP_2) | instskip(SKIP_2) | instid1(VALU_DEP_3)
	v_exp_f32_e32 v14, v14
	v_cvt_i32_f32_e32 v15, v16
	v_cvt_i32_f32_e32 v16, v18
	v_exp_f32_e32 v13, v13
	s_waitcnt_depctr 0xfff
	v_ldexp_f32 v14, v14, v16
	v_ldexp_f32 v13, v13, v15
	s_delay_alu instid0(VALU_DEP_1) | instskip(SKIP_1) | instid1(VALU_DEP_4)
	v_cndmask_b32_e32 v13, 0, v13, vcc_lo
	v_cmp_ngt_f32_e32 vcc_lo, 0xc2ce8ed0, v12
	v_cndmask_b32_e32 v14, 0, v14, vcc_lo
	v_cmp_nlt_f32_e32 vcc_lo, 0x42b17218, v11
	s_delay_alu instid0(VALU_DEP_4) | instskip(SKIP_1) | instid1(VALU_DEP_4)
	v_cndmask_b32_e32 v13, 0x7f800000, v13, vcc_lo
	v_cmp_nlt_f32_e32 vcc_lo, 0x42b17218, v12
	v_cndmask_b32_e32 v14, 0x7f800000, v14, vcc_lo
	v_cmp_le_f32_e32 vcc_lo, 0xc1a00000, v11
	s_delay_alu instid0(VALU_DEP_4) | instskip(SKIP_1) | instid1(VALU_DEP_4)
	v_cndmask_b32_e32 v11, 0, v13, vcc_lo
	v_cmp_le_f32_e32 vcc_lo, 0xc1a00000, v12
	v_cndmask_b32_e32 v12, 0, v14, vcc_lo
	s_waitcnt vmcnt(0)
	s_delay_alu instid0(VALU_DEP_3) | instskip(NEXT) | instid1(VALU_DEP_1)
	v_mul_f32_e32 v10, v10, v11
	v_dual_mul_f32 v11, s5, v11 :: v_dual_fmac_f32 v10, v5, v12
	s_delay_alu instid0(VALU_DEP_1)
	v_fmac_f32_e32 v11, v7, v12
	s_cbranch_execz .LBB26_18
	s_branch .LBB26_19
.LBB26_17:                              ;   in Loop: Header=BB26_9 Depth=1
                                        ; implicit-def: $sgpr13
                                        ; implicit-def: $vgpr10
                                        ; implicit-def: $vgpr9
                                        ; implicit-def: $vgpr11
                                        ; implicit-def: $sgpr1
                                        ; implicit-def: $sgpr19
.LBB26_18:                              ;   in Loop: Header=BB26_9 Depth=1
	s_waitcnt vmcnt(0)
	v_dual_mov_b32 v11, v7 :: v_dual_mov_b32 v10, v5
	v_mov_b32_e32 v9, v8
	s_add_i32 s1, s18, -1
	s_mov_b32 s13, 0
	s_mov_b32 s19, s16
.LBB26_19:                              ;   in Loop: Header=BB26_9 Depth=1
	s_and_not1_b32 vcc_lo, exec_lo, s13
	s_cbranch_vccz .LBB26_23
; %bb.20:                               ;   in Loop: Header=BB26_9 Depth=1
	v_dual_mov_b32 v7, v11 :: v_dual_mov_b32 v8, v9
	s_waitcnt vmcnt(0)
	v_mov_b32_e32 v5, v10
	s_mov_b32 s16, s19
	s_mov_b32 s18, s1
	s_branch .LBB26_9
.LBB26_21:
                                        ; implicit-def: $sgpr16_sgpr17
	s_load_b128 s[8:11], s[0:1], 0x44
	s_branch .LBB26_2
.LBB26_22:
                                        ; implicit-def: $sgpr18_sgpr19
	s_branch .LBB26_5
.LBB26_23:
	v_div_scale_f32 v0, null, v11, v11, v10
	s_delay_alu instid0(VALU_DEP_1) | instskip(SKIP_2) | instid1(VALU_DEP_1)
	v_rcp_f32_e32 v3, v0
	s_waitcnt_depctr 0xfff
	v_fma_f32 v4, -v0, v3, 1.0
	v_fmac_f32_e32 v3, v4, v3
	v_div_scale_f32 v4, vcc_lo, v10, v11, v10
	s_waitcnt vmcnt(0)
	s_delay_alu instid0(VALU_DEP_1) | instskip(NEXT) | instid1(VALU_DEP_1)
	v_mul_f32_e32 v5, v4, v3
	v_fma_f32 v6, -v0, v5, v4
	s_delay_alu instid0(VALU_DEP_1) | instskip(NEXT) | instid1(VALU_DEP_1)
	v_fmac_f32_e32 v5, v6, v3
	v_fma_f32 v0, -v0, v5, v4
	s_delay_alu instid0(VALU_DEP_1) | instskip(NEXT) | instid1(VALU_DEP_1)
	v_div_fmas_f32 v0, v0, v3, v5
	v_div_fixup_f32 v0, v0, v11, v10
	global_store_b32 v[1:2], v0, off
.LBB26_24:
	s_nop 0
	s_sendmsg sendmsg(MSG_DEALLOC_VGPRS)
	s_endpgm
	.section	.rodata,"a",@progbits
	.p2align	6, 0x0
	.amdhsa_kernel _ZL33flash_attn_stream_k_fixup_generalILi80ELi4ELi4EEvPfPK15HIP_vector_typeIfLj2EEiiiiS1_IjLj3EES5_S5_S5_
		.amdhsa_group_segment_fixed_size 0
		.amdhsa_private_segment_fixed_size 0
		.amdhsa_kernarg_size 336
		.amdhsa_user_sgpr_count 13
		.amdhsa_user_sgpr_dispatch_ptr 0
		.amdhsa_user_sgpr_queue_ptr 0
		.amdhsa_user_sgpr_kernarg_segment_ptr 1
		.amdhsa_user_sgpr_dispatch_id 0
		.amdhsa_user_sgpr_private_segment_size 0
		.amdhsa_wavefront_size32 1
		.amdhsa_uses_dynamic_stack 0
		.amdhsa_enable_private_segment 0
		.amdhsa_system_sgpr_workgroup_id_x 1
		.amdhsa_system_sgpr_workgroup_id_y 1
		.amdhsa_system_sgpr_workgroup_id_z 1
		.amdhsa_system_sgpr_workgroup_info 0
		.amdhsa_system_vgpr_workitem_id 0
		.amdhsa_next_free_vgpr 19
		.amdhsa_next_free_sgpr 32
		.amdhsa_reserve_vcc 1
		.amdhsa_float_round_mode_32 0
		.amdhsa_float_round_mode_16_64 0
		.amdhsa_float_denorm_mode_32 3
		.amdhsa_float_denorm_mode_16_64 3
		.amdhsa_dx10_clamp 1
		.amdhsa_ieee_mode 1
		.amdhsa_fp16_overflow 0
		.amdhsa_workgroup_processor_mode 1
		.amdhsa_memory_ordered 1
		.amdhsa_forward_progress 0
		.amdhsa_shared_vgpr_count 0
		.amdhsa_exception_fp_ieee_invalid_op 0
		.amdhsa_exception_fp_denorm_src 0
		.amdhsa_exception_fp_ieee_div_zero 0
		.amdhsa_exception_fp_ieee_overflow 0
		.amdhsa_exception_fp_ieee_underflow 0
		.amdhsa_exception_fp_ieee_inexact 0
		.amdhsa_exception_int_div_zero 0
	.end_amdhsa_kernel
	.section	.text._ZL33flash_attn_stream_k_fixup_generalILi80ELi4ELi4EEvPfPK15HIP_vector_typeIfLj2EEiiiiS1_IjLj3EES5_S5_S5_,"axG",@progbits,_ZL33flash_attn_stream_k_fixup_generalILi80ELi4ELi4EEvPfPK15HIP_vector_typeIfLj2EEiiiiS1_IjLj3EES5_S5_S5_,comdat
.Lfunc_end26:
	.size	_ZL33flash_attn_stream_k_fixup_generalILi80ELi4ELi4EEvPfPK15HIP_vector_typeIfLj2EEiiiiS1_IjLj3EES5_S5_S5_, .Lfunc_end26-_ZL33flash_attn_stream_k_fixup_generalILi80ELi4ELi4EEvPfPK15HIP_vector_typeIfLj2EEiiiiS1_IjLj3EES5_S5_S5_
                                        ; -- End function
	.section	.AMDGPU.csdata,"",@progbits
; Kernel info:
; codeLenInByte = 3224
; NumSgprs: 34
; NumVgprs: 19
; ScratchSize: 0
; MemoryBound: 0
; FloatMode: 240
; IeeeMode: 1
; LDSByteSize: 0 bytes/workgroup (compile time only)
; SGPRBlocks: 4
; VGPRBlocks: 2
; NumSGPRsForWavesPerEU: 34
; NumVGPRsForWavesPerEU: 19
; Occupancy: 16
; WaveLimiterHint : 0
; COMPUTE_PGM_RSRC2:SCRATCH_EN: 0
; COMPUTE_PGM_RSRC2:USER_SGPR: 13
; COMPUTE_PGM_RSRC2:TRAP_HANDLER: 0
; COMPUTE_PGM_RSRC2:TGID_X_EN: 1
; COMPUTE_PGM_RSRC2:TGID_Y_EN: 1
; COMPUTE_PGM_RSRC2:TGID_Z_EN: 1
; COMPUTE_PGM_RSRC2:TIDIG_COMP_CNT: 0
	.section	.text._ZL15flash_attn_tileILi80ELi80ELi2ELi4ELb0EEvPKcS1_S1_S1_S1_PKiPfP15HIP_vector_typeIfLj2EEffffjfiS5_IjLj3EEiiiiiiiiiiiliiliiiiil,"axG",@progbits,_ZL15flash_attn_tileILi80ELi80ELi2ELi4ELb0EEvPKcS1_S1_S1_S1_PKiPfP15HIP_vector_typeIfLj2EEffffjfiS5_IjLj3EEiiiiiiiiiiiliiliiiiil,comdat
	.globl	_ZL15flash_attn_tileILi80ELi80ELi2ELi4ELb0EEvPKcS1_S1_S1_S1_PKiPfP15HIP_vector_typeIfLj2EEffffjfiS5_IjLj3EEiiiiiiiiiiiliiliiiiil ; -- Begin function _ZL15flash_attn_tileILi80ELi80ELi2ELi4ELb0EEvPKcS1_S1_S1_S1_PKiPfP15HIP_vector_typeIfLj2EEffffjfiS5_IjLj3EEiiiiiiiiiiiliiliiiiil
	.p2align	8
	.type	_ZL15flash_attn_tileILi80ELi80ELi2ELi4ELb0EEvPKcS1_S1_S1_S1_PKiPfP15HIP_vector_typeIfLj2EEffffjfiS5_IjLj3EEiiiiiiiiiiiliiliiiiil,@function
_ZL15flash_attn_tileILi80ELi80ELi2ELi4ELb0EEvPKcS1_S1_S1_S1_PKiPfP15HIP_vector_typeIfLj2EEffffjfiS5_IjLj3EEiiiiiiiiiiiliiliiiiil: ; @_ZL15flash_attn_tileILi80ELi80ELi2ELi4ELb0EEvPKcS1_S1_S1_S1_PKiPfP15HIP_vector_typeIfLj2EEffffjfiS5_IjLj3EEiiiiiiiiiiiliiliiiiil
; %bb.0:
	s_clause 0x1
	s_load_b128 s[8:11], s[0:1], 0x5c
	s_load_b64 s[34:35], s[0:1], 0x80
	s_mov_b64 s[36:37], 0
	s_waitcnt lgkmcnt(0)
	s_ashr_i32 s2, s11, 31
	s_delay_alu instid0(SALU_CYCLE_1) | instskip(NEXT) | instid1(SALU_CYCLE_1)
	s_lshr_b32 s2, s2, 30
	s_add_i32 s2, s11, s2
	s_delay_alu instid0(SALU_CYCLE_1) | instskip(NEXT) | instid1(SALU_CYCLE_1)
	s_ashr_i32 s2, s2, 2
	v_cvt_f32_u32_e32 v1, s2
	s_sub_i32 s4, 0, s2
	s_delay_alu instid0(VALU_DEP_1) | instskip(SKIP_2) | instid1(VALU_DEP_1)
	v_rcp_iflag_f32_e32 v1, v1
	s_waitcnt_depctr 0xfff
	v_mul_f32_e32 v1, 0x4f7ffffe, v1
	v_cvt_u32_f32_e32 v1, v1
	s_delay_alu instid0(VALU_DEP_1) | instskip(NEXT) | instid1(VALU_DEP_1)
	v_readfirstlane_b32 s3, v1
	s_mul_i32 s4, s4, s3
	s_delay_alu instid0(SALU_CYCLE_1) | instskip(NEXT) | instid1(SALU_CYCLE_1)
	s_mul_hi_u32 s4, s3, s4
	s_add_i32 s3, s3, s4
	s_delay_alu instid0(SALU_CYCLE_1) | instskip(NEXT) | instid1(SALU_CYCLE_1)
	s_mul_hi_u32 s3, s15, s3
	s_mul_i32 s4, s3, s2
	s_add_i32 s5, s3, 1
	s_sub_i32 s4, s15, s4
	s_delay_alu instid0(SALU_CYCLE_1)
	s_sub_i32 s6, s4, s2
	s_cmp_ge_u32 s4, s2
	s_cselect_b32 s3, s5, s3
	s_cselect_b32 s4, s6, s4
	s_add_i32 s5, s3, 1
	s_cmp_ge_u32 s4, s2
	s_cselect_b32 s33, s5, s3
	s_abs_i32 s2, s35
	s_abs_i32 s5, s11
	v_cvt_f32_u32_e32 v1, s2
	s_sub_i32 s4, 0, s2
	s_xor_b32 s6, s11, s35
	s_delay_alu instid0(SALU_CYCLE_1) | instskip(NEXT) | instid1(VALU_DEP_1)
	s_ashr_i32 s6, s6, 31
	v_rcp_iflag_f32_e32 v1, v1
	s_waitcnt_depctr 0xfff
	v_mul_f32_e32 v1, 0x4f7ffffe, v1
	s_delay_alu instid0(VALU_DEP_1) | instskip(NEXT) | instid1(VALU_DEP_1)
	v_cvt_u32_f32_e32 v1, v1
	v_readfirstlane_b32 s3, v1
	s_delay_alu instid0(VALU_DEP_1) | instskip(NEXT) | instid1(SALU_CYCLE_1)
	s_mul_i32 s4, s4, s3
	s_mul_hi_u32 s4, s3, s4
	s_delay_alu instid0(SALU_CYCLE_1) | instskip(SKIP_2) | instid1(SALU_CYCLE_1)
	s_add_i32 s3, s3, s4
	s_lshl_b32 s4, s15, 2
	s_mul_hi_u32 s3, s5, s3
	s_mul_i32 s7, s3, s2
	s_delay_alu instid0(SALU_CYCLE_1)
	s_sub_i32 s5, s5, s7
	s_add_i32 s7, s3, 1
	s_sub_i32 s12, s5, s2
	s_cmp_ge_u32 s5, s2
	s_cselect_b32 s3, s7, s3
	s_cselect_b32 s5, s12, s5
	s_add_i32 s7, s3, 1
	s_cmp_ge_u32 s5, s2
	s_mul_i32 s5, s33, s11
	s_cselect_b32 s2, s7, s3
	s_delay_alu instid0(SALU_CYCLE_1) | instskip(NEXT) | instid1(SALU_CYCLE_1)
	s_xor_b32 s2, s2, s6
	s_sub_i32 s35, s2, s6
	s_clause 0x1
	s_load_b512 s[16:31], s[0:1], 0x0
	s_load_b64 s[2:3], s[0:1], 0xb8
	s_abs_i32 s12, s35
	s_delay_alu instid0(SALU_CYCLE_1) | instskip(NEXT) | instid1(VALU_DEP_1)
	v_cvt_f32_u32_e32 v1, s12
	v_rcp_iflag_f32_e32 v1, v1
	s_waitcnt_depctr 0xfff
	v_mul_f32_e32 v1, 0x4f7ffffe, v1
	s_waitcnt lgkmcnt(0)
	s_cmp_eq_u64 s[22:23], 0
	s_delay_alu instid0(VALU_DEP_1) | instskip(NEXT) | instid1(VALU_DEP_1)
	v_cvt_u32_f32_e32 v1, v1
	v_readfirstlane_b32 s38, v1
	s_cbranch_scc1 .LBB27_2
; %bb.1:
	s_abs_i32 s2, s2
	s_abs_i32 s15, s33
	v_cvt_f32_u32_e32 v1, s2
	s_sub_i32 s7, 0, s2
	s_delay_alu instid0(VALU_DEP_1) | instskip(SKIP_2) | instid1(VALU_DEP_1)
	v_rcp_iflag_f32_e32 v1, v1
	s_waitcnt_depctr 0xfff
	v_mul_f32_e32 v1, 0x4f7ffffe, v1
	v_cvt_u32_f32_e32 v1, v1
	s_delay_alu instid0(VALU_DEP_1) | instskip(NEXT) | instid1(VALU_DEP_1)
	v_readfirstlane_b32 s6, v1
	s_mul_i32 s7, s7, s6
	s_delay_alu instid0(SALU_CYCLE_1) | instskip(NEXT) | instid1(SALU_CYCLE_1)
	s_mul_hi_u32 s7, s6, s7
	s_add_i32 s36, s6, s7
	s_load_b64 s[6:7], s[0:1], 0xc8
	s_mul_hi_u32 s36, s15, s36
	s_delay_alu instid0(SALU_CYCLE_1) | instskip(NEXT) | instid1(SALU_CYCLE_1)
	s_mul_i32 s36, s36, s2
	s_sub_i32 s15, s15, s36
	s_ashr_i32 s36, s33, 31
	s_sub_i32 s37, s15, s2
	s_cmp_ge_u32 s15, s2
	s_cselect_b32 s15, s37, s15
	s_delay_alu instid0(SALU_CYCLE_1) | instskip(SKIP_2) | instid1(SALU_CYCLE_1)
	s_sub_i32 s37, s15, s2
	s_cmp_ge_u32 s15, s2
	s_cselect_b32 s2, s37, s15
	s_xor_b32 s2, s2, s36
	s_delay_alu instid0(SALU_CYCLE_1)
	s_sub_i32 s2, s2, s36
	s_waitcnt lgkmcnt(0)
	s_mul_i32 s7, s2, s7
	s_mul_hi_u32 s15, s2, s6
	s_ashr_i32 s36, s2, 31
	s_add_i32 s7, s15, s7
	s_mul_i32 s36, s36, s6
	s_mul_i32 s2, s2, s6
	s_add_i32 s7, s7, s36
	s_add_u32 s36, s22, s2
	s_addc_u32 s37, s23, s7
.LBB27_2:
	v_bfe_u32 v1, v0, 10, 10
	s_lshl_b32 s2, s13, 1
	v_and_b32_e32 v40, 0x3ff, v0
	s_sub_i32 s15, s4, s5
	s_delay_alu instid0(VALU_DEP_2) | instskip(SKIP_1) | instid1(VALU_DEP_2)
	v_lshrrev_b32_e32 v2, 2, v1
	v_and_b32_e32 v53, 3, v1
	v_add_nc_u32_e32 v41, s2, v2
	v_cmp_gt_u32_e64 s2, 20, v40
	s_delay_alu instid0(VALU_DEP_2) | instskip(NEXT) | instid1(VALU_DEP_2)
	v_mul_hi_u32 v0, s8, v41
	s_and_saveexec_b32 s4, s2
	s_cbranch_execz .LBB27_4
; %bb.3:
	s_load_b128 s[40:43], s[0:1], 0x70
	s_delay_alu instid0(VALU_DEP_1) | instskip(NEXT) | instid1(VALU_DEP_1)
	v_add_nc_u32_e32 v2, v41, v0
	v_lshrrev_b32_e32 v2, s9, v2
	s_delay_alu instid0(VALU_DEP_1) | instskip(NEXT) | instid1(VALU_DEP_1)
	v_mul_lo_u32 v2, v2, s10
	v_sub_nc_u32_e32 v9, v41, v2
	s_waitcnt lgkmcnt(0)
	s_mul_i32 s5, s33, s42
	s_mul_i32 s6, s15, s41
	s_ashr_i32 s7, s5, 31
	s_add_u32 s5, s16, s5
	s_addc_u32 s7, s17, s7
	s_ashr_i32 s8, s6, 31
	s_add_u32 s5, s5, s6
	s_addc_u32 s6, s7, s8
	s_ashr_i32 s7, s41, 31
	s_ashr_i32 s8, s40, 31
	v_alignbit_b32 v4, s7, s41, 2
	v_alignbit_b32 v6, s8, s40, 2
	s_lshr_b32 s7, s7, 2
	s_delay_alu instid0(VALU_DEP_2) | instskip(NEXT) | instid1(VALU_DEP_2)
	v_mad_u64_u32 v[2:3], null, v4, v53, 0
	v_mad_u64_u32 v[4:5], null, v6, v9, 0
	s_delay_alu instid0(VALU_DEP_1) | instskip(SKIP_1) | instid1(VALU_DEP_1)
	v_mad_u64_u32 v[6:7], null, s7, v53, v[3:4]
	s_lshr_b32 s7, s8, 2
	v_mov_b32_e32 v3, v6
	s_delay_alu instid0(VALU_DEP_3) | instskip(SKIP_2) | instid1(VALU_DEP_4)
	v_mad_u64_u32 v[7:8], null, s7, v9, v[5:6]
	v_mul_u32_u24_e32 v8, 40, v1
	v_lshlrev_b32_e32 v6, 4, v40
	v_lshlrev_b64 v[2:3], 2, v[2:3]
	v_lshlrev_b32_e32 v9, 1, v40
	v_mov_b32_e32 v5, v7
	s_delay_alu instid0(VALU_DEP_3) | instskip(NEXT) | instid1(VALU_DEP_4)
	v_add_co_u32 v2, vcc_lo, s5, v2
	v_add_co_ci_u32_e32 v3, vcc_lo, s6, v3, vcc_lo
	s_delay_alu instid0(VALU_DEP_3) | instskip(SKIP_1) | instid1(VALU_DEP_1)
	v_lshlrev_b64 v[4:5], 2, v[4:5]
	s_load_b32 s5, s[0:1], 0x40
	v_add_co_u32 v2, vcc_lo, v2, v4
	s_delay_alu instid0(VALU_DEP_2) | instskip(NEXT) | instid1(VALU_DEP_2)
	v_add_co_ci_u32_e32 v3, vcc_lo, v3, v5, vcc_lo
	v_add_co_u32 v2, vcc_lo, v2, v6
	s_delay_alu instid0(VALU_DEP_2)
	v_add_co_ci_u32_e32 v3, vcc_lo, 0, v3, vcc_lo
	global_load_b128 v[2:5], v[2:3], off
	s_waitcnt vmcnt(0) lgkmcnt(0)
	v_fma_mixlo_f16 v7, v4, s5, 0
	v_fma_mixlo_f16 v6, v2, s5, 0
	v_add_lshl_u32 v2, v8, v9, 2
	s_delay_alu instid0(VALU_DEP_3) | instskip(NEXT) | instid1(VALU_DEP_3)
	v_fma_mixhi_f16 v7, v5, s5, 0
	v_fma_mixhi_f16 v6, v3, s5, 0
	ds_store_b64 v2, v[6:7] offset:3264
.LBB27_4:
	s_or_b32 exec_lo, exec_lo, s4
	s_cmp_eq_u64 s[26:27], 0
	s_waitcnt lgkmcnt(0)
	s_barrier
	buffer_gl0_inv
	s_cbranch_scc1 .LBB27_6
; %bb.5:
	s_load_b32 s4, s[0:1], 0xd0
	s_mov_b32 s5, 0
	s_waitcnt lgkmcnt(0)
	s_mul_i32 s4, s4, s33
	s_delay_alu instid0(SALU_CYCLE_1) | instskip(NEXT) | instid1(SALU_CYCLE_1)
	s_add_i32 s4, s4, s13
	s_lshl_b64 s[4:5], s[4:5], 2
	s_delay_alu instid0(SALU_CYCLE_1)
	s_add_u32 s4, s26, s4
	s_addc_u32 s5, s27, s5
	s_load_b32 s34, s[4:5], 0x0
.LBB27_6:
	v_mbcnt_lo_u32_b32 v52, -1, 0
	s_lshl_b32 s16, s14, 5
	s_waitcnt lgkmcnt(0)
	s_cmp_lt_i32 s16, s34
	s_cbranch_scc1 .LBB27_8
; %bb.7:
	v_mbcnt_lo_u32_b32 v2, -1, 0
	v_mov_b32_e32 v55, 32
	s_mov_b32 s4, 0
	s_mov_b32 s5, 0xfeffffff
	s_delay_alu instid0(VALU_DEP_2)
	v_xor_b32_e32 v70, 16, v2
	v_xor_b32_e32 v72, 8, v2
	;; [unrolled: 1-line block ×5, first 2 shown]
	s_branch .LBB27_9
.LBB27_8:
	s_mov_b32 s4, -1
                                        ; implicit-def: $sgpr5
                                        ; implicit-def: $vgpr2
                                        ; implicit-def: $vgpr55
                                        ; implicit-def: $vgpr70
                                        ; implicit-def: $vgpr72
                                        ; implicit-def: $vgpr73
                                        ; implicit-def: $vgpr74
                                        ; implicit-def: $vgpr75
.LBB27_9:
	s_delay_alu instid0(SALU_CYCLE_1) | instskip(SKIP_3) | instid1(VALU_DEP_4)
	v_cndmask_b32_e64 v3, 0, 1, s4
	v_dual_mov_b32 v56, s4 :: v_dual_mov_b32 v51, s5
	v_mov_b32_e32 v76, s4
	v_mov_b32_e32 v54, s4
	v_cmp_ne_u32_e32 vcc_lo, 1, v3
	s_cbranch_vccnz .LBB27_30
; %bb.10:
	s_clause 0x1
	s_load_b128 s[4:7], s[0:1], 0x98
	s_load_b64 s[22:23], s[0:1], 0x8c
	s_sub_i32 s8, 0, s12
	s_abs_i32 s13, s15
	s_mul_i32 s8, s8, s38
	v_dual_mov_b32 v55, 32 :: v_dual_lshlrev_b32 v6, 2, v40
	s_mul_hi_u32 s8, s38, s8
	s_ashr_i32 s39, s15, 31
	s_add_i32 s38, s38, s8
	s_ashr_i32 s8, s3, 1
	s_mul_hi_u32 s3, s13, s38
	s_ashr_i32 s38, s33, 31
	s_ashr_i32 s35, s35, 31
	s_load_b64 s[26:27], s[0:1], 0xa8
	s_mul_i32 s40, s3, s12
	v_dual_mov_b32 v71, 0xfeffffff :: v_dual_add_nc_u32 v0, v41, v0
	v_lshrrev_b32_e32 v2, 2, v40
	v_dual_mov_b32 v69, 0 :: v_dual_and_b32 v8, 12, v6
	s_waitcnt lgkmcnt(0)
	s_ashr_i32 s17, s6, 2
	s_mul_i32 s5, s33, s5
	s_mul_hi_u32 s6, s33, s4
	s_mul_i32 s41, s38, s4
	s_add_i32 s5, s6, s5
	s_mul_i32 s4, s33, s4
	s_ashr_i32 s22, s22, 2
	s_add_i32 s5, s5, s41
	s_add_u32 s4, s18, s4
	s_addc_u32 s5, s19, s5
	s_sub_i32 s13, s13, s40
	s_xor_b32 s6, s39, s35
	s_add_i32 s18, s3, 1
	s_sub_i32 s19, s13, s12
	s_cmp_ge_u32 s13, s12
	v_lshrrev_b32_e32 v0, s9, v0
	s_cselect_b32 s3, s18, s3
	s_cselect_b32 s13, s19, s13
	v_lshl_add_u32 v5, v1, 3, v2
	v_dual_mov_b32 v54, 0 :: v_dual_lshlrev_b32 v7, 2, v8
	v_lshrrev_b32_e32 v9, 1, v40
	s_add_i32 s18, s3, 1
	s_cmp_ge_u32 s13, s12
	v_mul_lo_u32 v0, v0, s10
	s_cselect_b32 s3, s18, s3
	v_mad_u32_u24 v60, 0x60, v5, v7
	v_lshl_add_u32 v7, v1, 4, v9
	v_lshrrev_b32_e32 v9, 3, v40
	s_xor_b32 s3, s3, s6
	v_lshl_add_u32 v3, v1, 5, v40
	s_sub_i32 s3, s3, s6
	v_sub_nc_u32_e32 v0, v41, v0
	s_mul_i32 s6, s3, s23
	v_lshl_add_u32 v9, v1, 2, v9
	s_mul_i32 s12, s33, s27
	s_mul_hi_u32 s13, s33, s26
	s_ashr_i32 s19, s6, 31
	s_add_u32 s18, s4, s6
	v_and_b32_e32 v62, 4, v6
	v_mul_u32_u24_e32 v10, 0xa0, v7
	v_and_b32_e32 v64, 28, v6
	s_mul_i32 s38, s38, s26
	s_addc_u32 s19, s5, s19
	s_add_i32 s4, s13, s12
	s_mul_i32 s23, s33, s26
	v_mul_lo_u32 v2, s22, v3
	v_mul_lo_u32 v4, s22, v5
	v_mad_u64_u32 v[42:43], null, v0, s8, v[40:41]
	v_mul_lo_u32 v0, s17, v7
	v_mul_lo_u32 v6, s17, v9
	s_add_i32 s4, s4, s38
	s_add_u32 s5, s20, s23
	s_addc_u32 s6, s21, s4
	v_mul_u32_u24_e32 v58, 0xa0, v1
	v_lshl_add_u32 v61, v1, 6, 0x11c0
	v_lshl_or_b32 v1, v62, 2, v10
	v_cmp_gt_u32_e64 s4, 16, v7
	v_dual_mov_b32 v56, 0 :: v_dual_lshlrev_b32 v7, 2, v64
	s_mul_i32 s3, s3, s7
	v_cmp_gt_u32_e32 vcc_lo, 32, v3
	s_ashr_i32 s7, s3, 31
	s_add_u32 s20, s5, s3
	v_cmp_gt_u32_e64 s3, 32, v5
	v_mad_u32_u24 v59, 0x60, v3, 64
	v_ashrrev_i32_e32 v3, 31, v2
	v_ashrrev_i32_e32 v5, 31, v4
	v_add_nc_u32_e32 v66, 0x80, v1
	v_ashrrev_i32_e32 v1, 31, v0
	v_mad_u32_u24 v67, 0xa0, v9, v7
	v_ashrrev_i32_e32 v7, 31, v6
	v_lshlrev_b64 v[43:44], 2, v[2:3]
	v_lshlrev_b64 v[45:46], 2, v[4:5]
	;; [unrolled: 1-line block ×3, first 2 shown]
	v_mul_u32_u24_e32 v57, 0x60, v40
	v_lshlrev_b64 v[49:50], 2, v[6:7]
	v_lshl_add_u32 v63, v40, 1, v61
	v_cmp_gt_u32_e64 s5, 16, v9
	v_lshlrev_b32_e32 v65, 3, v40
	v_lshlrev_b32_e32 v68, 2, v8
	s_addc_u32 s9, s6, s7
	s_add_u32 s12, s0, 0xd0
	s_addc_u32 s13, s1, 0
.LBB27_11:                              ; =>This Inner Loop Header: Depth=1
	s_mul_hi_i32 s7, s16, s22
	s_mul_i32 s6, s16, s22
	s_delay_alu instid0(SALU_CYCLE_1) | instskip(NEXT) | instid1(SALU_CYCLE_1)
	s_lshl_b64 s[26:27], s[6:7], 2
	s_add_u32 s7, s18, s26
	s_addc_u32 s8, s19, s27
	s_and_saveexec_b32 s21, vcc_lo
	s_cbranch_execz .LBB27_13
; %bb.12:                               ;   in Loop: Header=BB27_11 Depth=1
	v_add_co_u32 v0, s6, s7, v43
	s_delay_alu instid0(VALU_DEP_1)
	v_add_co_ci_u32_e64 v1, s6, s8, v44, s6
	global_load_b128 v[0:3], v[0:1], off offset:64
	s_waitcnt vmcnt(0)
	ds_store_b128 v59, v[0:3]
.LBB27_13:                              ;   in Loop: Header=BB27_11 Depth=1
	s_or_b32 exec_lo, exec_lo, s21
	s_and_saveexec_b32 s21, s3
	s_cbranch_execz .LBB27_15
; %bb.14:                               ;   in Loop: Header=BB27_11 Depth=1
	v_add_co_u32 v0, s6, s7, v45
	s_delay_alu instid0(VALU_DEP_1) | instskip(NEXT) | instid1(VALU_DEP_2)
	v_add_co_ci_u32_e64 v1, s6, s8, v46, s6
	v_add_co_u32 v0, s6, v0, v68
	s_delay_alu instid0(VALU_DEP_1)
	v_add_co_ci_u32_e64 v1, s6, 0, v1, s6
	global_load_b128 v[0:3], v[0:1], off
	s_waitcnt vmcnt(0)
	ds_store_b128 v60, v[0:3]
.LBB27_15:                              ;   in Loop: Header=BB27_11 Depth=1
	s_or_b32 exec_lo, exec_lo, s21
	s_waitcnt lgkmcnt(0)
	s_barrier
	buffer_gl0_inv
	ds_load_b128 v[1:4], v57
	ds_load_b128 v[5:8], v58 offset:3264
	v_mov_b32_e32 v0, 0
	s_waitcnt lgkmcnt(0)
	;;#ASMSTART
	v_dot2_f32_f16 v0, v1, v5, v0
	;;#ASMEND
	;;#ASMSTART
	v_dot2_f32_f16 v0, v2, v6, v0
	;;#ASMEND
	;;#ASMSTART
	v_dot2_f32_f16 v0, v3, v7, v0
	;;#ASMEND
	;;#ASMSTART
	v_dot2_f32_f16 v0, v4, v8, v0
	;;#ASMEND
	ds_load_b128 v[1:4], v57 offset:16
	ds_load_b128 v[5:8], v58 offset:3280
	s_waitcnt lgkmcnt(0)
	;;#ASMSTART
	v_dot2_f32_f16 v0, v1, v5, v0
	;;#ASMEND
	;;#ASMSTART
	v_dot2_f32_f16 v0, v2, v6, v0
	;;#ASMEND
	;;#ASMSTART
	v_dot2_f32_f16 v0, v3, v7, v0
	;;#ASMEND
	;;#ASMSTART
	v_dot2_f32_f16 v0, v4, v8, v0
	;;#ASMEND
	ds_load_b128 v[1:4], v57 offset:32
	ds_load_b128 v[5:8], v58 offset:3296
	;; [unrolled: 15-line block ×4, first 2 shown]
	s_waitcnt lgkmcnt(0)
	;;#ASMSTART
	v_dot2_f32_f16 v0, v1, v5, v0
	;;#ASMEND
	;;#ASMSTART
	v_dot2_f32_f16 v0, v2, v6, v0
	;;#ASMEND
	;;#ASMSTART
	v_dot2_f32_f16 v0, v3, v7, v0
	;;#ASMEND
	;;#ASMSTART
	v_dot2_f32_f16 v0, v4, v8, v0
	;;#ASMEND
	s_barrier
	buffer_gl0_inv
	s_and_saveexec_b32 s21, vcc_lo
	s_cbranch_execz .LBB27_17
; %bb.16:                               ;   in Loop: Header=BB27_11 Depth=1
	v_add_co_u32 v1, s6, s7, v43
	s_delay_alu instid0(VALU_DEP_1)
	v_add_co_ci_u32_e64 v2, s6, s8, v44, s6
	global_load_b128 v[1:4], v[1:2], off offset:144
	s_waitcnt vmcnt(0)
	ds_store_b128 v59, v[1:4]
.LBB27_17:                              ;   in Loop: Header=BB27_11 Depth=1
	s_or_b32 exec_lo, exec_lo, s21
	s_and_saveexec_b32 s21, s3
	s_cbranch_execz .LBB27_19
; %bb.18:                               ;   in Loop: Header=BB27_11 Depth=1
	v_add_co_u32 v1, s6, s7, v45
	s_delay_alu instid0(VALU_DEP_1) | instskip(NEXT) | instid1(VALU_DEP_2)
	v_add_co_ci_u32_e64 v2, s6, s8, v46, s6
	v_add_co_u32 v1, s6, v1, v68
	s_delay_alu instid0(VALU_DEP_1)
	v_add_co_ci_u32_e64 v2, s6, 0, v2, s6
	global_load_b128 v[1:4], v[1:2], off offset:80
	s_waitcnt vmcnt(0)
	ds_store_b128 v60, v[1:4]
.LBB27_19:                              ;   in Loop: Header=BB27_11 Depth=1
	s_or_b32 exec_lo, exec_lo, s21
	s_waitcnt lgkmcnt(0)
	s_barrier
	buffer_gl0_inv
	ds_load_b128 v[1:4], v57
	ds_load_b128 v[5:8], v58 offset:3344
	v_xor_b32_e32 v70, 16, v52
	v_xor_b32_e32 v72, 8, v52
	;; [unrolled: 1-line block ×5, first 2 shown]
	s_mul_hi_i32 s7, s16, s17
	v_lshlrev_b32_e32 v79, 2, v62
	s_waitcnt lgkmcnt(0)
	;;#ASMSTART
	v_dot2_f32_f16 v0, v1, v5, v0
	;;#ASMEND
	;;#ASMSTART
	v_dot2_f32_f16 v0, v2, v6, v0
	;;#ASMEND
	;;#ASMSTART
	v_dot2_f32_f16 v0, v3, v7, v0
	;;#ASMEND
	;;#ASMSTART
	v_dot2_f32_f16 v0, v4, v8, v0
	;;#ASMEND
	ds_load_b128 v[1:4], v57 offset:16
	ds_load_b128 v[5:8], v58 offset:3360
	s_waitcnt lgkmcnt(0)
	;;#ASMSTART
	v_dot2_f32_f16 v0, v1, v5, v0
	;;#ASMEND
	;;#ASMSTART
	v_dot2_f32_f16 v0, v2, v6, v0
	;;#ASMEND
	;;#ASMSTART
	v_dot2_f32_f16 v0, v3, v7, v0
	;;#ASMEND
	;;#ASMSTART
	v_dot2_f32_f16 v0, v4, v8, v0
	;;#ASMEND
	ds_load_b128 v[1:4], v57 offset:32
	ds_load_b128 v[5:8], v58 offset:3376
	;; [unrolled: 15-line block ×4, first 2 shown]
	s_waitcnt lgkmcnt(0)
	;;#ASMSTART
	v_dot2_f32_f16 v0, v1, v5, v0
	;;#ASMEND
	;;#ASMSTART
	v_dot2_f32_f16 v0, v2, v6, v0
	;;#ASMEND
	;; [unrolled: 3-line block ×4, first 2 shown]
	v_add_nc_u32_e32 v9, s16, v42
	s_delay_alu instid0(VALU_DEP_1) | instskip(NEXT) | instid1(VALU_DEP_1)
	v_ashrrev_i32_e32 v10, 31, v9
	v_lshlrev_b64 v[9:10], 1, v[9:10]
	s_delay_alu instid0(VALU_DEP_1) | instskip(NEXT) | instid1(VALU_DEP_1)
	v_add_co_u32 v9, s6, s36, v9
	v_add_co_ci_u32_e64 v10, s6, s37, v10, s6
	v_cmp_gt_i32_e64 s6, 32, v70
	flat_load_u16 v1, v[9:10]
	s_waitcnt vmcnt(0) lgkmcnt(0)
	v_cndmask_b32_e64 v2, v52, v70, s6
	v_cmp_gt_i32_e64 s6, 32, v72
	s_barrier
	buffer_gl0_inv
	v_lshlrev_b32_e32 v2, 2, v2
	v_cvt_f32_f16_e32 v1, v1
	s_delay_alu instid0(VALU_DEP_1) | instskip(NEXT) | instid1(VALU_DEP_1)
	v_dual_add_f32 v0, v0, v1 :: v_dual_max_f32 v1, v71, v71
	v_add_f32_e32 v3, 0x40051340, v0
	s_delay_alu instid0(VALU_DEP_1)
	v_max_f32_e32 v1, v1, v3
	v_cndmask_b32_e64 v3, v52, v72, s6
	v_cmp_gt_i32_e64 s6, 32, v73
	ds_bpermute_b32 v2, v2, v1
	s_waitcnt lgkmcnt(0)
	v_dual_max_f32 v2, v2, v2 :: v_dual_lshlrev_b32 v3, 2, v3
	s_delay_alu instid0(VALU_DEP_1) | instskip(SKIP_4) | instid1(VALU_DEP_2)
	v_max_f32_e32 v1, v1, v2
	ds_bpermute_b32 v2, v3, v1
	v_cndmask_b32_e64 v3, v52, v73, s6
	v_cmp_gt_i32_e64 s6, 32, v74
	s_waitcnt lgkmcnt(0)
	v_dual_max_f32 v2, v2, v2 :: v_dual_lshlrev_b32 v3, 2, v3
	s_delay_alu instid0(VALU_DEP_1) | instskip(SKIP_4) | instid1(VALU_DEP_2)
	v_max_f32_e32 v1, v1, v2
	ds_bpermute_b32 v2, v3, v1
	v_cndmask_b32_e64 v3, v52, v74, s6
	v_cmp_gt_i32_e64 s6, 32, v75
	s_waitcnt lgkmcnt(0)
	v_dual_max_f32 v2, v2, v2 :: v_dual_lshlrev_b32 v3, 2, v3
	s_delay_alu instid0(VALU_DEP_1) | instskip(SKIP_3) | instid1(VALU_DEP_1)
	v_max_f32_e32 v1, v1, v2
	ds_bpermute_b32 v2, v3, v1
	v_cndmask_b32_e64 v3, v52, v75, s6
	s_waitcnt lgkmcnt(0)
	v_dual_max_f32 v2, v2, v2 :: v_dual_lshlrev_b32 v3, 2, v3
	s_delay_alu instid0(VALU_DEP_1) | instskip(SKIP_3) | instid1(VALU_DEP_1)
	v_max_f32_e32 v1, v1, v2
	ds_bpermute_b32 v2, v3, v1
	s_waitcnt lgkmcnt(0)
	v_max_f32_e32 v2, v2, v2
	v_max_f32_e32 v51, v1, v2
	s_delay_alu instid0(VALU_DEP_1) | instskip(NEXT) | instid1(VALU_DEP_1)
	v_sub_f32_e32 v0, v0, v51
	v_mul_f32_e32 v1, 0x3fb8aa3b, v0
	v_cmp_ngt_f32_e64 s6, 0xc2ce8ed0, v0
	s_delay_alu instid0(VALU_DEP_2) | instskip(SKIP_1) | instid1(VALU_DEP_1)
	v_fma_f32 v2, 0x3fb8aa3b, v0, -v1
	v_rndne_f32_e32 v3, v1
	v_dual_fmac_f32 v2, 0x32a5705f, v0 :: v_dual_sub_f32 v1, v1, v3
	s_delay_alu instid0(VALU_DEP_1) | instskip(SKIP_1) | instid1(VALU_DEP_2)
	v_add_f32_e32 v1, v1, v2
	v_cvt_i32_f32_e32 v2, v3
	v_exp_f32_e32 v1, v1
	s_waitcnt_depctr 0xfff
	v_ldexp_f32 v1, v1, v2
	s_delay_alu instid0(VALU_DEP_1) | instskip(SKIP_1) | instid1(VALU_DEP_1)
	v_cndmask_b32_e64 v1, 0, v1, s6
	v_cmp_nlt_f32_e64 s6, 0x42b17218, v0
	v_cndmask_b32_e64 v76, 0x7f800000, v1, s6
	s_mul_i32 s6, s16, s17
	s_delay_alu instid0(SALU_CYCLE_1) | instskip(NEXT) | instid1(VALU_DEP_1)
	s_lshl_b64 s[26:27], s[6:7], 2
	v_cvt_f16_f32_e32 v0, v76
	s_add_u32 s7, s20, s26
	s_addc_u32 s8, s9, s27
	ds_store_b16 v63, v0
	s_and_saveexec_b32 s21, s4
	s_cbranch_execz .LBB27_21
; %bb.20:                               ;   in Loop: Header=BB27_11 Depth=1
	v_add_co_u32 v0, s6, s7, v47
	s_delay_alu instid0(VALU_DEP_1) | instskip(NEXT) | instid1(VALU_DEP_2)
	v_add_co_ci_u32_e64 v1, s6, s8, v48, s6
	v_add_co_u32 v0, s6, v0, v79
	s_delay_alu instid0(VALU_DEP_1)
	v_add_co_ci_u32_e64 v1, s6, 0, v1, s6
	global_load_b128 v[0:3], v[0:1], off offset:128
	s_waitcnt vmcnt(0)
	ds_store_b128 v66, v[0:3]
.LBB27_21:                              ;   in Loop: Header=BB27_11 Depth=1
	s_or_b32 exec_lo, exec_lo, s21
	v_lshlrev_b32_e32 v80, 2, v64
	s_and_saveexec_b32 s21, s5
	s_cbranch_execz .LBB27_23
; %bb.22:                               ;   in Loop: Header=BB27_11 Depth=1
	v_add_co_u32 v0, s6, s7, v49
	s_delay_alu instid0(VALU_DEP_1) | instskip(NEXT) | instid1(VALU_DEP_2)
	v_add_co_ci_u32_e64 v1, s6, s8, v50, s6
	v_add_co_u32 v0, s6, v0, v80
	s_delay_alu instid0(VALU_DEP_1)
	v_add_co_ci_u32_e64 v1, s6, 0, v1, s6
	global_load_b128 v[0:3], v[0:1], off
	s_waitcnt vmcnt(0)
	ds_store_b128 v67, v[0:3]
.LBB27_23:                              ;   in Loop: Header=BB27_11 Depth=1
	s_or_b32 exec_lo, exec_lo, s21
	v_dual_sub_f32 v71, v71, v51 :: v_dual_add_nc_u32 v78, 0x400, v65
	v_add_nc_u32_e32 v77, 0x800, v65
	s_waitcnt lgkmcnt(0)
	s_barrier
	buffer_gl0_inv
	ds_load_2addr_b64 v[20:23], v65 offset1:20
	ds_load_b128 v[12:15], v61
	ds_load_b128 v[0:3], v61 offset:16
	ds_load_2addr_b64 v[28:31], v65 offset0:40 offset1:60
	ds_load_2addr_b64 v[24:27], v65 offset0:80 offset1:100
	;; [unrolled: 1-line block ×7, first 2 shown]
	s_or_b32 s8, s16, 16
	v_cmp_ngt_f32_e64 s6, 0xc2ce8ed0, v71
	s_mul_hi_i32 s27, s8, s17
	s_mul_i32 s26, s8, s17
	v_cmp_nlt_f32_e64 s7, 0x42b17218, v71
	s_lshl_b64 s[26:27], s[26:27], 2
	s_waitcnt lgkmcnt(0)
	s_add_u32 s21, s20, s26
	s_addc_u32 s23, s9, s27
	s_barrier
	buffer_gl0_inv
	s_and_saveexec_b32 s26, s4
	s_cbranch_execz .LBB27_25
; %bb.24:                               ;   in Loop: Header=BB27_11 Depth=1
	v_add_co_u32 v81, s8, s21, v47
	s_delay_alu instid0(VALU_DEP_1) | instskip(NEXT) | instid1(VALU_DEP_2)
	v_add_co_ci_u32_e64 v82, s8, s23, v48, s8
	v_add_co_u32 v81, s8, v81, v79
	s_delay_alu instid0(VALU_DEP_1)
	v_add_co_ci_u32_e64 v82, s8, 0, v82, s8
	global_load_b128 v[81:84], v[81:82], off offset:128
	s_waitcnt vmcnt(0)
	ds_store_b128 v66, v[81:84]
.LBB27_25:                              ;   in Loop: Header=BB27_11 Depth=1
	s_or_b32 exec_lo, exec_lo, s26
	s_and_saveexec_b32 s26, s5
	s_cbranch_execz .LBB27_27
; %bb.26:                               ;   in Loop: Header=BB27_11 Depth=1
	v_add_co_u32 v79, s8, s21, v49
	s_delay_alu instid0(VALU_DEP_1) | instskip(NEXT) | instid1(VALU_DEP_2)
	v_add_co_ci_u32_e64 v81, s8, s23, v50, s8
	v_add_co_u32 v79, s8, v79, v80
	s_delay_alu instid0(VALU_DEP_1)
	v_add_co_ci_u32_e64 v80, s8, 0, v81, s8
	global_load_b128 v[79:82], v[79:80], off
	s_waitcnt vmcnt(0)
	ds_store_b128 v67, v[79:82]
.LBB27_27:                              ;   in Loop: Header=BB27_11 Depth=1
	s_or_b32 exec_lo, exec_lo, s26
	v_mul_f32_e32 v79, 0x3fb8aa3b, v71
	v_pk_mul_f16 v20, v20, v12 op_sel_hi:[1,0]
	v_pk_mul_f16 v21, v21, v12 op_sel_hi:[1,0]
	s_waitcnt lgkmcnt(0)
	s_barrier
	v_fma_f32 v80, 0x3fb8aa3b, v71, -v79
	v_rndne_f32_e32 v81, v79
	buffer_gl0_inv
	v_dual_fmac_f32 v80, 0x32a5705f, v71 :: v_dual_sub_f32 v71, v79, v81
	v_cvt_i32_f32_e32 v79, v81
	s_delay_alu instid0(VALU_DEP_2) | instskip(NEXT) | instid1(VALU_DEP_1)
	v_add_f32_e32 v71, v71, v80
	v_exp_f32_e32 v71, v71
	s_waitcnt_depctr 0xfff
	v_ldexp_f32 v71, v71, v79
	s_delay_alu instid0(VALU_DEP_1) | instskip(NEXT) | instid1(VALU_DEP_1)
	v_cndmask_b32_e64 v71, 0, v71, s6
	v_cndmask_b32_e64 v71, 0x7f800000, v71, s7
	s_delay_alu instid0(VALU_DEP_1) | instskip(SKIP_1) | instid1(VALU_DEP_2)
	v_cvt_f16_f32_e32 v79, v71
	v_fmac_f32_e32 v76, v69, v71
	v_pk_fma_f16 v20, v54, v79, v20 op_sel_hi:[1,0,1]
	v_pk_fma_f16 v21, v56, v79, v21 op_sel_hi:[1,0,1]
	s_delay_alu instid0(VALU_DEP_2) | instskip(NEXT) | instid1(VALU_DEP_2)
	v_pk_fma_f16 v20, v22, v12, v20 op_sel:[0,1,0]
	v_pk_fma_f16 v12, v23, v12, v21 op_sel:[0,1,0]
	s_delay_alu instid0(VALU_DEP_2) | instskip(NEXT) | instid1(VALU_DEP_2)
	v_pk_fma_f16 v20, v28, v13, v20 op_sel_hi:[1,0,1]
	v_pk_fma_f16 v12, v29, v13, v12 op_sel_hi:[1,0,1]
	s_delay_alu instid0(VALU_DEP_2) | instskip(NEXT) | instid1(VALU_DEP_2)
	v_pk_fma_f16 v20, v30, v13, v20 op_sel:[0,1,0]
	v_pk_fma_f16 v12, v31, v13, v12 op_sel:[0,1,0]
	s_delay_alu instid0(VALU_DEP_2) | instskip(NEXT) | instid1(VALU_DEP_2)
	;; [unrolled: 6-line block ×5, first 2 shown]
	v_pk_fma_f16 v12, v16, v1, v13 op_sel_hi:[1,0,1]
	v_pk_fma_f16 v0, v17, v1, v0 op_sel_hi:[1,0,1]
	s_delay_alu instid0(VALU_DEP_2) | instskip(NEXT) | instid1(VALU_DEP_2)
	v_pk_fma_f16 v16, v18, v1, v12 op_sel:[0,1,0]
	v_pk_fma_f16 v0, v19, v1, v0 op_sel:[0,1,0]
	ds_load_2addr_b64 v[12:15], v65 offset1:20
	v_pk_fma_f16 v1, v8, v2, v16 op_sel_hi:[1,0,1]
	ds_load_b128 v[16:19], v61 offset:32
	v_pk_fma_f16 v0, v9, v2, v0 op_sel_hi:[1,0,1]
	v_pk_fma_f16 v1, v10, v2, v1 op_sel:[0,1,0]
	s_delay_alu instid0(VALU_DEP_2) | instskip(SKIP_3) | instid1(VALU_DEP_2)
	v_pk_fma_f16 v0, v11, v2, v0 op_sel:[0,1,0]
	ds_load_2addr_b64 v[8:11], v65 offset0:40 offset1:60
	v_pk_fma_f16 v1, v4, v3, v1 op_sel_hi:[1,0,1]
	v_pk_fma_f16 v0, v5, v3, v0 op_sel_hi:[1,0,1]
	v_pk_fma_f16 v20, v6, v3, v1 op_sel:[0,1,0]
	s_delay_alu instid0(VALU_DEP_2)
	v_pk_fma_f16 v21, v7, v3, v0 op_sel:[0,1,0]
	ds_load_b128 v[0:3], v61 offset:48
	ds_load_2addr_b64 v[4:7], v65 offset0:80 offset1:100
	s_waitcnt lgkmcnt(3)
	v_pk_fma_f16 v12, v12, v16, v20 op_sel_hi:[1,0,1]
	v_pk_fma_f16 v13, v13, v16, v21 op_sel_hi:[1,0,1]
	s_delay_alu instid0(VALU_DEP_2) | instskip(NEXT) | instid1(VALU_DEP_2)
	v_pk_fma_f16 v20, v14, v16, v12 op_sel:[0,1,0]
	v_pk_fma_f16 v16, v15, v16, v13 op_sel:[0,1,0]
	ds_load_2addr_b64 v[12:15], v65 offset0:120 offset1:140
	s_waitcnt lgkmcnt(3)
	v_pk_fma_f16 v8, v8, v17, v20 op_sel_hi:[1,0,1]
	v_pk_fma_f16 v9, v9, v17, v16 op_sel_hi:[1,0,1]
	s_delay_alu instid0(VALU_DEP_2) | instskip(NEXT) | instid1(VALU_DEP_2)
	v_pk_fma_f16 v16, v10, v17, v8 op_sel:[0,1,0]
	v_pk_fma_f16 v17, v11, v17, v9 op_sel:[0,1,0]
	;; [unrolled: 7-line block ×5, first 2 shown]
	ds_load_2addr_b64 v[8:11], v77 offset0:24 offset1:44
	s_waitcnt lgkmcnt(0)
	s_barrier
	v_pk_fma_f16 v4, v4, v1, v16 op_sel_hi:[1,0,1]
	v_pk_fma_f16 v0, v5, v1, v0 op_sel_hi:[1,0,1]
	buffer_gl0_inv
	s_load_b32 s6, s[12:13], 0x4
	v_pk_fma_f16 v4, v6, v1, v4 op_sel:[0,1,0]
	v_pk_fma_f16 v0, v7, v1, v0 op_sel:[0,1,0]
	s_delay_alu instid0(VALU_DEP_2) | instskip(NEXT) | instid1(VALU_DEP_2)
	v_pk_fma_f16 v1, v12, v2, v4 op_sel_hi:[1,0,1]
	v_pk_fma_f16 v0, v13, v2, v0 op_sel_hi:[1,0,1]
	s_delay_alu instid0(VALU_DEP_2) | instskip(NEXT) | instid1(VALU_DEP_2)
	v_pk_fma_f16 v1, v14, v2, v1 op_sel:[0,1,0]
	v_pk_fma_f16 v0, v15, v2, v0 op_sel:[0,1,0]
	s_delay_alu instid0(VALU_DEP_2) | instskip(NEXT) | instid1(VALU_DEP_2)
	v_pk_fma_f16 v1, v8, v3, v1 op_sel_hi:[1,0,1]
	v_pk_fma_f16 v0, v9, v3, v0 op_sel_hi:[1,0,1]
	s_waitcnt lgkmcnt(0)
	s_lshl_b32 s6, s6, 5
	s_delay_alu instid0(VALU_DEP_2) | instskip(NEXT) | instid1(VALU_DEP_2)
	v_pk_fma_f16 v54, v10, v3, v1 op_sel:[0,1,0]
	v_pk_fma_f16 v56, v11, v3, v0 op_sel:[0,1,0]
	s_add_i32 s16, s6, s16
	s_delay_alu instid0(SALU_CYCLE_1)
	s_cmp_lt_i32 s16, s34
	s_cbranch_scc0 .LBB27_29
; %bb.28:                               ;   in Loop: Header=BB27_11 Depth=1
	v_mov_b32_e32 v71, v51
	v_mov_b32_e32 v69, v76
	s_branch .LBB27_11
.LBB27_29:
	v_mov_b32_e32 v2, v52
.LBB27_30:
	v_cmp_lt_i32_e32 vcc_lo, v70, v55
	s_cmp_eq_u64 s[24:25], 0
	s_cselect_b32 s3, -1, 0
	s_cmp_lg_u32 s14, 0
	v_cndmask_b32_e32 v0, v2, v70, vcc_lo
	v_cmp_lt_i32_e32 vcc_lo, v72, v55
	s_cselect_b32 s4, -1, 0
	s_delay_alu instid0(SALU_CYCLE_1) | instskip(SKIP_2) | instid1(VALU_DEP_2)
	s_or_b32 s3, s4, s3
	v_cndmask_b32_e32 v1, v2, v72, vcc_lo
	v_cmp_lt_i32_e32 vcc_lo, v73, v55
	v_lshlrev_b32_e32 v1, 2, v1
	v_dual_cndmask_b32 v3, v2, v73 :: v_dual_lshlrev_b32 v0, 2, v0
	v_cmp_lt_i32_e32 vcc_lo, v74, v55
	ds_bpermute_b32 v0, v0, v76
	s_waitcnt lgkmcnt(0)
	v_dual_add_f32 v0, v76, v0 :: v_dual_lshlrev_b32 v3, 2, v3
	ds_bpermute_b32 v1, v1, v0
	s_waitcnt lgkmcnt(0)
	v_add_f32_e32 v0, v0, v1
	ds_bpermute_b32 v1, v3, v0
	v_cndmask_b32_e32 v3, v2, v74, vcc_lo
	v_cmp_lt_i32_e32 vcc_lo, v75, v55
	s_delay_alu instid0(VALU_DEP_2) | instskip(SKIP_2) | instid1(VALU_DEP_1)
	v_lshlrev_b32_e32 v3, 2, v3
	v_cndmask_b32_e32 v2, v2, v75, vcc_lo
	s_and_b32 vcc_lo, exec_lo, s3
	v_lshlrev_b32_e32 v2, 2, v2
	s_waitcnt lgkmcnt(0)
	v_add_f32_e32 v0, v0, v1
	ds_bpermute_b32 v1, v3, v0
	s_waitcnt lgkmcnt(0)
	v_add_f32_e32 v0, v0, v1
	ds_bpermute_b32 v1, v2, v0
	s_waitcnt lgkmcnt(0)
	v_add_f32_e32 v52, v0, v1
	s_cbranch_vccnz .LBB27_32
; %bb.31:
	v_add_nc_u32_e32 v0, s15, v53
	s_delay_alu instid0(VALU_DEP_1) | instskip(NEXT) | instid1(VALU_DEP_1)
	v_ashrrev_i32_e32 v1, 31, v0
	v_lshlrev_b64 v[0:1], 2, v[0:1]
	s_delay_alu instid0(VALU_DEP_1) | instskip(NEXT) | instid1(VALU_DEP_2)
	v_add_co_u32 v0, vcc_lo, s24, v0
	v_add_co_ci_u32_e32 v1, vcc_lo, s25, v1, vcc_lo
	global_load_b32 v0, v[0:1], off
	s_waitcnt vmcnt(0)
	v_dual_max_f32 v1, v51, v51 :: v_dual_max_f32 v2, v0, v0
	s_delay_alu instid0(VALU_DEP_1) | instskip(NEXT) | instid1(VALU_DEP_1)
	v_max_f32_e32 v1, v1, v2
	v_sub_f32_e32 v0, v0, v1
	s_delay_alu instid0(VALU_DEP_1) | instskip(NEXT) | instid1(VALU_DEP_1)
	v_mul_f32_e32 v4, 0x3fb8aa3b, v0
	v_fma_f32 v7, 0x3fb8aa3b, v0, -v4
	v_sub_f32_e32 v2, v51, v1
	v_rndne_f32_e32 v8, v4
	v_mov_b32_e32 v51, v1
	s_delay_alu instid0(VALU_DEP_4) | instskip(NEXT) | instid1(VALU_DEP_3)
	v_fmac_f32_e32 v7, 0x32a5705f, v0
	v_dual_mul_f32 v3, 0x3fb8aa3b, v2 :: v_dual_sub_f32 v4, v4, v8
	v_cmp_ngt_f32_e32 vcc_lo, 0xc2ce8ed0, v2
	s_delay_alu instid0(VALU_DEP_2) | instskip(SKIP_1) | instid1(VALU_DEP_2)
	v_fma_f32 v5, 0x3fb8aa3b, v2, -v3
	v_rndne_f32_e32 v6, v3
	v_dual_add_f32 v4, v4, v7 :: v_dual_fmac_f32 v5, 0x32a5705f, v2
	s_delay_alu instid0(VALU_DEP_2) | instskip(NEXT) | instid1(VALU_DEP_2)
	v_sub_f32_e32 v3, v3, v6
	v_exp_f32_e32 v4, v4
	s_delay_alu instid0(VALU_DEP_1) | instskip(SKIP_2) | instid1(VALU_DEP_3)
	v_add_f32_e32 v3, v3, v5
	v_cvt_i32_f32_e32 v5, v6
	v_cvt_i32_f32_e32 v6, v8
	v_exp_f32_e32 v3, v3
	s_waitcnt_depctr 0xfff
	v_ldexp_f32 v4, v4, v6
	v_ldexp_f32 v3, v3, v5
	s_delay_alu instid0(VALU_DEP_1) | instskip(SKIP_1) | instid1(VALU_DEP_4)
	v_cndmask_b32_e32 v3, 0, v3, vcc_lo
	v_cmp_ngt_f32_e32 vcc_lo, 0xc2ce8ed0, v0
	v_cndmask_b32_e32 v4, 0, v4, vcc_lo
	v_cmp_nlt_f32_e32 vcc_lo, 0x42b17218, v2
	s_delay_alu instid0(VALU_DEP_4) | instskip(SKIP_1) | instid1(VALU_DEP_2)
	v_cndmask_b32_e32 v2, 0x7f800000, v3, vcc_lo
	v_cmp_nlt_f32_e32 vcc_lo, 0x42b17218, v0
	v_cvt_f16_f32_e32 v3, v2
	v_cndmask_b32_e32 v0, 0x7f800000, v4, vcc_lo
	s_delay_alu instid0(VALU_DEP_2) | instskip(NEXT) | instid1(VALU_DEP_2)
	v_pk_mul_f16 v54, v3, v54 op_sel_hi:[0,1]
	v_fmac_f32_e32 v0, v52, v2
	v_pk_mul_f16 v56, v3, v56 op_sel_hi:[0,1]
	s_delay_alu instid0(VALU_DEP_2)
	v_mov_b32_e32 v52, v0
.LBB27_32:
	s_mov_b32 s3, exec_lo
	v_cmpx_gt_i32_e64 s10, v41
	s_cbranch_execz .LBB27_37
; %bb.33:
	v_mad_u64_u32 v[0:1], null, s33, s10, v[41:42]
	s_load_b32 s0, s[0:1], 0xd4
	s_delay_alu instid0(VALU_DEP_1) | instskip(NEXT) | instid1(VALU_DEP_1)
	v_mul_lo_u32 v0, v0, s11
	v_add3_u32 v2, s15, v53, v0
	s_waitcnt lgkmcnt(0)
	s_cmp_lg_u32 s0, 1
	s_delay_alu instid0(VALU_DEP_1)
	v_mad_u64_u32 v[0:1], null, s0, v2, s[14:15]
	s_cselect_b32 s0, -1, 0
	s_and_saveexec_b32 s1, s2
	s_cbranch_execz .LBB27_35
; %bb.34:
	v_div_scale_f32 v1, null, v52, v52, 1.0
	v_div_scale_f32 v4, vcc_lo, 1.0, v52, 1.0
	v_lshrrev_b32_e32 v6, 16, v54
	s_delay_alu instid0(VALU_DEP_3) | instskip(SKIP_1) | instid1(VALU_DEP_2)
	v_rcp_f32_e32 v2, v1
	v_cvt_f32_f16_e32 v9, v54
	v_cvt_f32_f16_e32 v8, v6
	s_waitcnt_depctr 0xfff
	v_fma_f32 v3, -v1, v2, 1.0
	s_delay_alu instid0(VALU_DEP_1) | instskip(NEXT) | instid1(VALU_DEP_1)
	v_fmac_f32_e32 v2, v3, v2
	v_mul_f32_e32 v3, v4, v2
	s_delay_alu instid0(VALU_DEP_1) | instskip(NEXT) | instid1(VALU_DEP_1)
	v_fma_f32 v5, -v1, v3, v4
	v_fmac_f32_e32 v3, v5, v2
	s_delay_alu instid0(VALU_DEP_1) | instskip(SKIP_1) | instid1(VALU_DEP_2)
	v_fma_f32 v1, -v1, v3, v4
	v_lshrrev_b32_e32 v4, 16, v56
	v_div_fmas_f32 v1, v1, v2, v3
	v_mul_lo_u32 v3, 0x50, v0
	v_mov_b32_e32 v2, 0
	s_delay_alu instid0(VALU_DEP_4) | instskip(NEXT) | instid1(VALU_DEP_4)
	v_cvt_f32_f16_e32 v4, v4
	v_div_fixup_f32 v5, v1, v52, 1.0
	s_delay_alu instid0(VALU_DEP_4) | instskip(NEXT) | instid1(VALU_DEP_2)
	v_lshl_add_u32 v1, v40, 2, v3
	v_cndmask_b32_e64 v7, v5, 1.0, s0
	v_cvt_f32_f16_e32 v3, v56
	s_delay_alu instid0(VALU_DEP_3) | instskip(NEXT) | instid1(VALU_DEP_3)
	v_lshlrev_b64 v[5:6], 2, v[1:2]
	v_mul_f32_e32 v4, v7, v4
	s_delay_alu instid0(VALU_DEP_3)
	v_mul_f32_e32 v3, v7, v3
	v_mul_f32_e32 v2, v7, v8
	;; [unrolled: 1-line block ×3, first 2 shown]
	v_add_co_u32 v5, vcc_lo, s28, v5
	v_add_co_ci_u32_e32 v6, vcc_lo, s29, v6, vcc_lo
	global_store_b128 v[5:6], v[1:4], off
.LBB27_35:
	s_or_b32 exec_lo, exec_lo, s1
	v_cmp_eq_u32_e32 vcc_lo, 0, v40
	s_and_b32 s0, vcc_lo, s0
	s_delay_alu instid0(SALU_CYCLE_1)
	s_and_b32 exec_lo, exec_lo, s0
	s_cbranch_execz .LBB27_37
; %bb.36:
	v_ashrrev_i32_e32 v1, 31, v0
	s_delay_alu instid0(VALU_DEP_1) | instskip(NEXT) | instid1(VALU_DEP_1)
	v_lshlrev_b64 v[0:1], 3, v[0:1]
	v_add_co_u32 v0, vcc_lo, s30, v0
	s_delay_alu instid0(VALU_DEP_2)
	v_add_co_ci_u32_e32 v1, vcc_lo, s31, v1, vcc_lo
	global_store_b64 v[0:1], v[51:52], off
.LBB27_37:
	s_nop 0
	s_sendmsg sendmsg(MSG_DEALLOC_VGPRS)
	s_endpgm
	.section	.rodata,"a",@progbits
	.p2align	6, 0x0
	.amdhsa_kernel _ZL15flash_attn_tileILi80ELi80ELi2ELi4ELb0EEvPKcS1_S1_S1_S1_PKiPfP15HIP_vector_typeIfLj2EEffffjfiS5_IjLj3EEiiiiiiiiiiiliiliiiiil
		.amdhsa_group_segment_fixed_size 5056
		.amdhsa_private_segment_fixed_size 0
		.amdhsa_kernarg_size 464
		.amdhsa_user_sgpr_count 13
		.amdhsa_user_sgpr_dispatch_ptr 0
		.amdhsa_user_sgpr_queue_ptr 0
		.amdhsa_user_sgpr_kernarg_segment_ptr 1
		.amdhsa_user_sgpr_dispatch_id 0
		.amdhsa_user_sgpr_private_segment_size 0
		.amdhsa_wavefront_size32 1
		.amdhsa_uses_dynamic_stack 0
		.amdhsa_enable_private_segment 0
		.amdhsa_system_sgpr_workgroup_id_x 1
		.amdhsa_system_sgpr_workgroup_id_y 1
		.amdhsa_system_sgpr_workgroup_id_z 1
		.amdhsa_system_sgpr_workgroup_info 0
		.amdhsa_system_vgpr_workitem_id 1
		.amdhsa_next_free_vgpr 85
		.amdhsa_next_free_sgpr 44
		.amdhsa_reserve_vcc 1
		.amdhsa_float_round_mode_32 0
		.amdhsa_float_round_mode_16_64 0
		.amdhsa_float_denorm_mode_32 3
		.amdhsa_float_denorm_mode_16_64 3
		.amdhsa_dx10_clamp 1
		.amdhsa_ieee_mode 1
		.amdhsa_fp16_overflow 0
		.amdhsa_workgroup_processor_mode 1
		.amdhsa_memory_ordered 1
		.amdhsa_forward_progress 0
		.amdhsa_shared_vgpr_count 0
		.amdhsa_exception_fp_ieee_invalid_op 0
		.amdhsa_exception_fp_denorm_src 0
		.amdhsa_exception_fp_ieee_div_zero 0
		.amdhsa_exception_fp_ieee_overflow 0
		.amdhsa_exception_fp_ieee_underflow 0
		.amdhsa_exception_fp_ieee_inexact 0
		.amdhsa_exception_int_div_zero 0
	.end_amdhsa_kernel
	.section	.text._ZL15flash_attn_tileILi80ELi80ELi2ELi4ELb0EEvPKcS1_S1_S1_S1_PKiPfP15HIP_vector_typeIfLj2EEffffjfiS5_IjLj3EEiiiiiiiiiiiliiliiiiil,"axG",@progbits,_ZL15flash_attn_tileILi80ELi80ELi2ELi4ELb0EEvPKcS1_S1_S1_S1_PKiPfP15HIP_vector_typeIfLj2EEffffjfiS5_IjLj3EEiiiiiiiiiiiliiliiiiil,comdat
.Lfunc_end27:
	.size	_ZL15flash_attn_tileILi80ELi80ELi2ELi4ELb0EEvPKcS1_S1_S1_S1_PKiPfP15HIP_vector_typeIfLj2EEffffjfiS5_IjLj3EEiiiiiiiiiiiliiliiiiil, .Lfunc_end27-_ZL15flash_attn_tileILi80ELi80ELi2ELi4ELb0EEvPKcS1_S1_S1_S1_PKiPfP15HIP_vector_typeIfLj2EEffffjfiS5_IjLj3EEiiiiiiiiiiiliiliiiiil
                                        ; -- End function
	.section	.AMDGPU.csdata,"",@progbits
; Kernel info:
; codeLenInByte = 5732
; NumSgprs: 46
; NumVgprs: 85
; ScratchSize: 0
; MemoryBound: 0
; FloatMode: 240
; IeeeMode: 1
; LDSByteSize: 5056 bytes/workgroup (compile time only)
; SGPRBlocks: 5
; VGPRBlocks: 10
; NumSGPRsForWavesPerEU: 46
; NumVGPRsForWavesPerEU: 85
; Occupancy: 16
; WaveLimiterHint : 1
; COMPUTE_PGM_RSRC2:SCRATCH_EN: 0
; COMPUTE_PGM_RSRC2:USER_SGPR: 13
; COMPUTE_PGM_RSRC2:TRAP_HANDLER: 0
; COMPUTE_PGM_RSRC2:TGID_X_EN: 1
; COMPUTE_PGM_RSRC2:TGID_Y_EN: 1
; COMPUTE_PGM_RSRC2:TGID_Z_EN: 1
; COMPUTE_PGM_RSRC2:TIDIG_COMP_CNT: 1
	.section	.text._ZL33flash_attn_stream_k_fixup_uniformILi80ELi2ELi4EEvPfPK15HIP_vector_typeIfLj2EEiiiiiiS1_IjLj3EES5_S5_,"axG",@progbits,_ZL33flash_attn_stream_k_fixup_uniformILi80ELi2ELi4EEvPfPK15HIP_vector_typeIfLj2EEiiiiiiS1_IjLj3EES5_S5_,comdat
	.globl	_ZL33flash_attn_stream_k_fixup_uniformILi80ELi2ELi4EEvPfPK15HIP_vector_typeIfLj2EEiiiiiiS1_IjLj3EES5_S5_ ; -- Begin function _ZL33flash_attn_stream_k_fixup_uniformILi80ELi2ELi4EEvPfPK15HIP_vector_typeIfLj2EEiiiiiiS1_IjLj3EES5_S5_
	.p2align	8
	.type	_ZL33flash_attn_stream_k_fixup_uniformILi80ELi2ELi4EEvPfPK15HIP_vector_typeIfLj2EEiiiiiiS1_IjLj3EES5_S5_,@function
_ZL33flash_attn_stream_k_fixup_uniformILi80ELi2ELi4EEvPfPK15HIP_vector_typeIfLj2EEiiiiiiS1_IjLj3EES5_S5_: ; @_ZL33flash_attn_stream_k_fixup_uniformILi80ELi2ELi4EEvPfPK15HIP_vector_typeIfLj2EEiiiiiiS1_IjLj3EES5_S5_
; %bb.0:
	s_clause 0x1
	s_load_b256 s[4:11], s[0:1], 0x1c
	s_load_b128 s[16:19], s[0:1], 0x3c
	s_waitcnt lgkmcnt(0)
	s_mul_hi_u32 s2, s7, s13
	s_delay_alu instid0(SALU_CYCLE_1) | instskip(NEXT) | instid1(SALU_CYCLE_1)
	s_add_i32 s2, s13, s2
	s_lshr_b32 s2, s2, s8
	s_delay_alu instid0(SALU_CYCLE_1) | instskip(SKIP_2) | instid1(SALU_CYCLE_1)
	s_mul_i32 s3, s2, s9
	s_load_b64 s[8:9], s[0:1], 0x10
	s_sub_i32 s3, s13, s3
	s_mul_hi_u32 s7, s3, s10
	s_delay_alu instid0(SALU_CYCLE_1) | instskip(NEXT) | instid1(SALU_CYCLE_1)
	s_add_i32 s7, s3, s7
	s_lshr_b32 s7, s7, s11
	s_delay_alu instid0(SALU_CYCLE_1) | instskip(NEXT) | instid1(SALU_CYCLE_1)
	s_mul_i32 s10, s7, s16
	s_sub_i32 s3, s3, s10
	s_delay_alu instid0(SALU_CYCLE_1) | instskip(NEXT) | instid1(SALU_CYCLE_1)
	s_mul_hi_u32 s10, s3, s17
	s_add_i32 s10, s3, s10
	s_delay_alu instid0(SALU_CYCLE_1) | instskip(NEXT) | instid1(SALU_CYCLE_1)
	s_lshr_b32 s11, s10, s18
	s_mul_i32 s10, s11, s19
	s_lshl_b32 s11, s11, 2
	s_sub_i32 s10, s3, s10
	s_delay_alu instid0(SALU_CYCLE_1) | instskip(NEXT) | instid1(SALU_CYCLE_1)
	s_lshl_b32 s3, s10, 1
	s_add_i32 s3, s3, s14
	s_waitcnt lgkmcnt(0)
	s_cmp_lt_i32 s3, s8
	s_cselect_b32 s3, -1, 0
	s_add_i32 s11, s11, s15
	s_delay_alu instid0(SALU_CYCLE_1) | instskip(SKIP_1) | instid1(SALU_CYCLE_1)
	s_cmp_lt_i32 s11, s5
	s_cselect_b32 s12, -1, 0
	s_and_b32 s3, s3, s12
	s_delay_alu instid0(SALU_CYCLE_1)
	s_and_not1_b32 vcc_lo, exec_lo, s3
	s_cbranch_vccnz .LBB28_6
; %bb.1:
	s_mul_i32 s8, s2, s8
	s_mul_i32 s7, s7, s5
	s_add_i32 s8, s8, s14
	s_add_i32 s5, s11, s7
	s_mul_i32 s8, s8, s9
	s_load_b128 s[0:3], s[0:1], 0x0
	s_mul_i32 s7, s9, s10
	s_add_i32 s5, s5, s8
	s_mulk_i32 s7, 0xa0
	s_mulk_i32 s5, 0x50
	s_lshl_b32 s9, s14, 2
	v_add3_u32 v1, s5, s7, v0
	s_mul_i32 s5, s13, s6
	s_delay_alu instid0(SALU_CYCLE_1) | instskip(NEXT) | instid1(VALU_DEP_1)
	s_add_i32 s10, s5, s6
	v_ashrrev_i32_e32 v2, 31, v1
	s_delay_alu instid0(VALU_DEP_1) | instskip(SKIP_1) | instid1(VALU_DEP_1)
	v_lshlrev_b64 v[1:2], 2, v[1:2]
	s_waitcnt lgkmcnt(0)
	v_add_co_u32 v1, vcc_lo, s0, v1
	s_delay_alu instid0(VALU_DEP_2) | instskip(SKIP_4) | instid1(SALU_CYCLE_1)
	v_add_co_ci_u32_e32 v2, vcc_lo, s1, v2, vcc_lo
	s_add_i32 s0, s9, s15
	s_lshl_b32 s1, s10, 3
	global_load_b32 v5, v[1:2], off
	s_add_i32 s0, s0, s1
	s_add_i32 s0, s0, -8
	s_delay_alu instid0(SALU_CYCLE_1) | instskip(NEXT) | instid1(SALU_CYCLE_1)
	s_ashr_i32 s1, s0, 31
	s_lshl_b64 s[0:1], s[0:1], 3
	s_delay_alu instid0(SALU_CYCLE_1)
	s_add_u32 s0, s2, s0
	s_addc_u32 s1, s3, s1
	s_add_i32 s7, s10, -2
	s_load_b32 s11, s[0:1], 0x4
	s_cmp_lt_i32 s7, s5
	s_cbranch_scc1 .LBB28_4
; %bb.2:
	s_load_b32 s12, s[0:1], 0x0
	s_lshl_b32 s16, s4, 5
	s_mulk_i32 s14, 0x140
	s_ashr_i32 s17, s16, 31
	s_waitcnt lgkmcnt(0)
	v_mov_b32_e32 v6, s11
	s_lshl_b64 s[0:1], s[16:17], 2
	s_delay_alu instid0(SALU_CYCLE_1)
	s_add_u32 s7, s2, s0
	s_addc_u32 s8, s3, s1
	s_add_i32 s13, s13, 1
	s_lshl_b32 s4, s4, 3
	s_mul_i32 s0, s6, s13
	s_mul_i32 s6, s15, 0x50
	s_lshl_b32 s1, s0, 3
	s_mulk_i32 s0, 0x280
	s_add_i32 s6, s6, s14
	s_add_i32 s1, s15, s1
	;; [unrolled: 1-line block ×4, first 2 shown]
	v_add3_u32 v3, s6, v0, 0xfffffb00
	v_mov_b32_e32 v0, s12
	s_add_i32 s0, s0, s9
	s_add_i32 s4, s10, -1
	s_add_i32 s0, s0, -16
.LBB28_3:                               ; =>This Inner Loop Header: Depth=1
	s_delay_alu instid0(VALU_DEP_2) | instskip(SKIP_1) | instid1(SALU_CYCLE_1)
	v_ashrrev_i32_e32 v4, 31, v3
	s_ashr_i32 s1, s0, 31
	s_lshl_b64 s[10:11], s[0:1], 3
	s_delay_alu instid0(SALU_CYCLE_1) | instskip(NEXT) | instid1(VALU_DEP_1)
	s_add_u32 s10, s2, s10
	v_lshlrev_b64 v[7:8], 2, v[3:4]
	s_addc_u32 s11, s3, s11
	s_add_i32 s4, s4, -1
	s_add_i32 s0, s0, -8
	s_cmp_le_i32 s4, s5
	s_load_b64 s[10:11], s[10:11], 0x0
	v_add_co_u32 v7, vcc_lo, s7, v7
	v_add_co_ci_u32_e32 v8, vcc_lo, s8, v8, vcc_lo
	global_load_b32 v4, v[7:8], off
	v_max_f32_e32 v7, v0, v0
	s_waitcnt lgkmcnt(0)
	v_max_f32_e64 v8, s10, s10
	s_delay_alu instid0(VALU_DEP_1) | instskip(NEXT) | instid1(VALU_DEP_1)
	v_max_f32_e32 v7, v7, v8
	v_sub_f32_e32 v8, s10, v7
	s_delay_alu instid0(VALU_DEP_1) | instskip(NEXT) | instid1(VALU_DEP_1)
	v_dual_sub_f32 v0, v0, v7 :: v_dual_mul_f32 v9, 0x3fb8aa3b, v8
	v_fma_f32 v10, 0x3fb8aa3b, v8, -v9
	v_rndne_f32_e32 v11, v9
	s_delay_alu instid0(VALU_DEP_3) | instskip(NEXT) | instid1(VALU_DEP_2)
	v_mul_f32_e32 v12, 0x3fb8aa3b, v0
	v_dual_fmac_f32 v10, 0x32a5705f, v8 :: v_dual_sub_f32 v9, v9, v11
	v_cvt_i32_f32_e32 v11, v11
	s_delay_alu instid0(VALU_DEP_3) | instskip(SKIP_1) | instid1(VALU_DEP_4)
	v_fma_f32 v13, 0x3fb8aa3b, v0, -v12
	v_rndne_f32_e32 v14, v12
	v_add_f32_e32 v9, v9, v10
	v_cmp_ngt_f32_e32 vcc_lo, 0xc2ce8ed0, v8
	s_delay_alu instid0(VALU_DEP_3) | instskip(NEXT) | instid1(VALU_DEP_3)
	v_sub_f32_e32 v10, v12, v14
	v_exp_f32_e32 v9, v9
	s_waitcnt_depctr 0xfff
	v_ldexp_f32 v9, v9, v11
	v_cvt_i32_f32_e32 v11, v14
	s_delay_alu instid0(VALU_DEP_2) | instskip(SKIP_1) | instid1(VALU_DEP_2)
	v_cndmask_b32_e32 v9, 0, v9, vcc_lo
	v_cmp_nlt_f32_e32 vcc_lo, 0x42b17218, v8
	v_cndmask_b32_e32 v9, 0x7f800000, v9, vcc_lo
	v_cmp_ngt_f32_e32 vcc_lo, 0xc2ce8ed0, v0
	v_fmac_f32_e32 v13, 0x32a5705f, v0
	s_delay_alu instid0(VALU_DEP_1) | instskip(NEXT) | instid1(VALU_DEP_1)
	v_add_f32_e32 v10, v10, v13
	v_exp_f32_e32 v10, v10
	s_waitcnt_depctr 0xfff
	v_ldexp_f32 v10, v10, v11
	s_delay_alu instid0(VALU_DEP_1)
	v_dual_mov_b32 v11, v6 :: v_dual_cndmask_b32 v10, 0, v10
	v_cmp_le_f32_e32 vcc_lo, 0xc1a00000, v8
	s_waitcnt vmcnt(1)
	v_dual_cndmask_b32 v8, 0, v9 :: v_dual_mov_b32 v9, v5
	v_cmp_nlt_f32_e32 vcc_lo, 0x42b17218, v0
	v_cndmask_b32_e32 v5, 0x7f800000, v10, vcc_lo
	s_delay_alu instid0(VALU_DEP_3) | instskip(SKIP_2) | instid1(VALU_DEP_3)
	v_mul_f32_e32 v10, s11, v8
	v_cmp_le_f32_e32 vcc_lo, 0xc1a00000, v0
	v_mov_b32_e32 v0, v7
	v_mov_b32_e32 v6, v10
	s_waitcnt vmcnt(0)
	v_dual_cndmask_b32 v12, 0, v5 :: v_dual_mul_f32 v5, v4, v8
	s_delay_alu instid0(VALU_DEP_1) | instskip(NEXT) | instid1(VALU_DEP_2)
	v_dual_fmac_f32 v6, v11, v12 :: v_dual_add_nc_u32 v3, 0xfffffd80, v3
	v_fmac_f32_e32 v5, v9, v12
	s_cbranch_scc0 .LBB28_3
	s_branch .LBB28_5
.LBB28_4:
	s_waitcnt lgkmcnt(0)
	v_mov_b32_e32 v6, s11
.LBB28_5:
	s_waitcnt vmcnt(0)
	s_delay_alu instid0(VALU_DEP_1) | instskip(NEXT) | instid1(VALU_DEP_1)
	v_div_scale_f32 v0, null, v6, v6, v5
	v_rcp_f32_e32 v3, v0
	s_waitcnt_depctr 0xfff
	v_fma_f32 v4, -v0, v3, 1.0
	s_delay_alu instid0(VALU_DEP_1) | instskip(SKIP_1) | instid1(VALU_DEP_1)
	v_fmac_f32_e32 v3, v4, v3
	v_div_scale_f32 v4, vcc_lo, v5, v6, v5
	v_mul_f32_e32 v7, v4, v3
	s_delay_alu instid0(VALU_DEP_1) | instskip(NEXT) | instid1(VALU_DEP_1)
	v_fma_f32 v8, -v0, v7, v4
	v_fmac_f32_e32 v7, v8, v3
	s_delay_alu instid0(VALU_DEP_1) | instskip(NEXT) | instid1(VALU_DEP_1)
	v_fma_f32 v0, -v0, v7, v4
	v_div_fmas_f32 v0, v0, v3, v7
	s_delay_alu instid0(VALU_DEP_1)
	v_div_fixup_f32 v0, v0, v6, v5
	global_store_b32 v[1:2], v0, off
.LBB28_6:
	s_nop 0
	s_sendmsg sendmsg(MSG_DEALLOC_VGPRS)
	s_endpgm
	.section	.rodata,"a",@progbits
	.p2align	6, 0x0
	.amdhsa_kernel _ZL33flash_attn_stream_k_fixup_uniformILi80ELi2ELi4EEvPfPK15HIP_vector_typeIfLj2EEiiiiiiS1_IjLj3EES5_S5_
		.amdhsa_group_segment_fixed_size 0
		.amdhsa_private_segment_fixed_size 0
		.amdhsa_kernarg_size 76
		.amdhsa_user_sgpr_count 13
		.amdhsa_user_sgpr_dispatch_ptr 0
		.amdhsa_user_sgpr_queue_ptr 0
		.amdhsa_user_sgpr_kernarg_segment_ptr 1
		.amdhsa_user_sgpr_dispatch_id 0
		.amdhsa_user_sgpr_private_segment_size 0
		.amdhsa_wavefront_size32 1
		.amdhsa_uses_dynamic_stack 0
		.amdhsa_enable_private_segment 0
		.amdhsa_system_sgpr_workgroup_id_x 1
		.amdhsa_system_sgpr_workgroup_id_y 1
		.amdhsa_system_sgpr_workgroup_id_z 1
		.amdhsa_system_sgpr_workgroup_info 0
		.amdhsa_system_vgpr_workitem_id 0
		.amdhsa_next_free_vgpr 15
		.amdhsa_next_free_sgpr 20
		.amdhsa_reserve_vcc 1
		.amdhsa_float_round_mode_32 0
		.amdhsa_float_round_mode_16_64 0
		.amdhsa_float_denorm_mode_32 3
		.amdhsa_float_denorm_mode_16_64 3
		.amdhsa_dx10_clamp 1
		.amdhsa_ieee_mode 1
		.amdhsa_fp16_overflow 0
		.amdhsa_workgroup_processor_mode 1
		.amdhsa_memory_ordered 1
		.amdhsa_forward_progress 0
		.amdhsa_shared_vgpr_count 0
		.amdhsa_exception_fp_ieee_invalid_op 0
		.amdhsa_exception_fp_denorm_src 0
		.amdhsa_exception_fp_ieee_div_zero 0
		.amdhsa_exception_fp_ieee_overflow 0
		.amdhsa_exception_fp_ieee_underflow 0
		.amdhsa_exception_fp_ieee_inexact 0
		.amdhsa_exception_int_div_zero 0
	.end_amdhsa_kernel
	.section	.text._ZL33flash_attn_stream_k_fixup_uniformILi80ELi2ELi4EEvPfPK15HIP_vector_typeIfLj2EEiiiiiiS1_IjLj3EES5_S5_,"axG",@progbits,_ZL33flash_attn_stream_k_fixup_uniformILi80ELi2ELi4EEvPfPK15HIP_vector_typeIfLj2EEiiiiiiS1_IjLj3EES5_S5_,comdat
.Lfunc_end28:
	.size	_ZL33flash_attn_stream_k_fixup_uniformILi80ELi2ELi4EEvPfPK15HIP_vector_typeIfLj2EEiiiiiiS1_IjLj3EES5_S5_, .Lfunc_end28-_ZL33flash_attn_stream_k_fixup_uniformILi80ELi2ELi4EEvPfPK15HIP_vector_typeIfLj2EEiiiiiiS1_IjLj3EES5_S5_
                                        ; -- End function
	.section	.AMDGPU.csdata,"",@progbits
; Kernel info:
; codeLenInByte = 992
; NumSgprs: 22
; NumVgprs: 15
; ScratchSize: 0
; MemoryBound: 0
; FloatMode: 240
; IeeeMode: 1
; LDSByteSize: 0 bytes/workgroup (compile time only)
; SGPRBlocks: 2
; VGPRBlocks: 1
; NumSGPRsForWavesPerEU: 22
; NumVGPRsForWavesPerEU: 15
; Occupancy: 16
; WaveLimiterHint : 0
; COMPUTE_PGM_RSRC2:SCRATCH_EN: 0
; COMPUTE_PGM_RSRC2:USER_SGPR: 13
; COMPUTE_PGM_RSRC2:TRAP_HANDLER: 0
; COMPUTE_PGM_RSRC2:TGID_X_EN: 1
; COMPUTE_PGM_RSRC2:TGID_Y_EN: 1
; COMPUTE_PGM_RSRC2:TGID_Z_EN: 1
; COMPUTE_PGM_RSRC2:TIDIG_COMP_CNT: 0
	.section	.text._ZL33flash_attn_stream_k_fixup_generalILi80ELi2ELi4EEvPfPK15HIP_vector_typeIfLj2EEiiiiS1_IjLj3EES5_S5_S5_,"axG",@progbits,_ZL33flash_attn_stream_k_fixup_generalILi80ELi2ELi4EEvPfPK15HIP_vector_typeIfLj2EEiiiiS1_IjLj3EES5_S5_S5_,comdat
	.globl	_ZL33flash_attn_stream_k_fixup_generalILi80ELi2ELi4EEvPfPK15HIP_vector_typeIfLj2EEiiiiS1_IjLj3EES5_S5_S5_ ; -- Begin function _ZL33flash_attn_stream_k_fixup_generalILi80ELi2ELi4EEvPfPK15HIP_vector_typeIfLj2EEiiiiS1_IjLj3EES5_S5_S5_
	.p2align	8
	.type	_ZL33flash_attn_stream_k_fixup_generalILi80ELi2ELi4EEvPfPK15HIP_vector_typeIfLj2EEiiiiS1_IjLj3EES5_S5_S5_,@function
_ZL33flash_attn_stream_k_fixup_generalILi80ELi2ELi4EEvPfPK15HIP_vector_typeIfLj2EEiiiiS1_IjLj3EES5_S5_S5_: ; @_ZL33flash_attn_stream_k_fixup_generalILi80ELi2ELi4EEvPfPK15HIP_vector_typeIfLj2EEiiiiS1_IjLj3EES5_S5_S5_
; %bb.0:
	s_clause 0x1
	s_load_b128 s[4:7], s[0:1], 0x10
	s_load_b32 s20, s[0:1], 0x50
	s_mov_b32 s2, 0
	s_waitcnt lgkmcnt(0)
	s_mul_hi_i32 s3, s7, s13
	s_mul_i32 s12, s7, s13
	s_cmp_lg_u64 s[2:3], 0
	s_cbranch_scc0 .LBB29_21
; %bb.1:
	v_cvt_f32_ubyte0_e32 v1, 0
	v_cvt_f32_u32_e32 v2, s20
	s_sub_u32 s10, 0, s20
	s_subb_u32 s11, 0, 0
	s_delay_alu instid0(VALU_DEP_1) | instskip(NEXT) | instid1(VALU_DEP_1)
	v_fmamk_f32 v1, v1, 0x4f800000, v2
	v_rcp_f32_e32 v1, v1
	s_waitcnt_depctr 0xfff
	v_mul_f32_e32 v1, 0x5f7ffffc, v1
	s_delay_alu instid0(VALU_DEP_1) | instskip(NEXT) | instid1(VALU_DEP_1)
	v_mul_f32_e32 v2, 0x2f800000, v1
	v_trunc_f32_e32 v2, v2
	s_delay_alu instid0(VALU_DEP_1) | instskip(SKIP_1) | instid1(VALU_DEP_2)
	v_fmamk_f32 v1, v2, 0xcf800000, v1
	v_cvt_u32_f32_e32 v2, v2
	v_cvt_u32_f32_e32 v1, v1
	s_delay_alu instid0(VALU_DEP_2) | instskip(NEXT) | instid1(VALU_DEP_2)
	v_readfirstlane_b32 s8, v2
	v_readfirstlane_b32 s9, v1
	s_delay_alu instid0(VALU_DEP_2) | instskip(NEXT) | instid1(VALU_DEP_1)
	s_mul_i32 s16, s10, s8
	s_mul_hi_u32 s18, s10, s9
	s_mul_i32 s17, s11, s9
	s_add_i32 s16, s18, s16
	s_mul_i32 s19, s10, s9
	s_add_i32 s16, s16, s17
	s_mul_hi_u32 s18, s9, s19
	s_mul_hi_u32 s21, s8, s19
	s_mul_i32 s17, s8, s19
	s_mul_hi_u32 s19, s9, s16
	s_mul_i32 s9, s9, s16
	s_mul_hi_u32 s22, s8, s16
	s_add_u32 s9, s18, s9
	s_addc_u32 s18, 0, s19
	s_add_u32 s9, s9, s17
	s_mul_i32 s16, s8, s16
	s_addc_u32 s9, s18, s21
	s_addc_u32 s17, s22, 0
	s_add_u32 s9, s9, s16
	s_addc_u32 s16, 0, s17
	v_add_co_u32 v1, s9, v1, s9
	s_delay_alu instid0(VALU_DEP_1) | instskip(SKIP_1) | instid1(VALU_DEP_1)
	s_cmp_lg_u32 s9, 0
	s_addc_u32 s8, s8, s16
	v_readfirstlane_b32 s9, v1
	s_mul_i32 s16, s10, s8
	s_delay_alu instid0(VALU_DEP_1)
	s_mul_hi_u32 s17, s10, s9
	s_mul_i32 s11, s11, s9
	s_add_i32 s16, s17, s16
	s_mul_i32 s10, s10, s9
	s_add_i32 s16, s16, s11
	s_mul_hi_u32 s17, s8, s10
	s_mul_i32 s18, s8, s10
	s_mul_hi_u32 s10, s9, s10
	s_mul_hi_u32 s19, s9, s16
	s_mul_i32 s9, s9, s16
	s_mul_hi_u32 s11, s8, s16
	s_add_u32 s9, s10, s9
	s_addc_u32 s10, 0, s19
	s_add_u32 s9, s9, s18
	s_mul_i32 s16, s8, s16
	s_addc_u32 s9, s10, s17
	s_addc_u32 s10, s11, 0
	s_add_u32 s9, s9, s16
	s_addc_u32 s10, 0, s10
	v_add_co_u32 v1, s9, v1, s9
	s_delay_alu instid0(VALU_DEP_1) | instskip(SKIP_2) | instid1(SALU_CYCLE_1)
	s_cmp_lg_u32 s9, 0
	s_addc_u32 s16, s8, s10
	s_ashr_i32 s8, s3, 31
	s_add_u32 s10, s12, s8
	s_addc_u32 s11, s3, s8
	v_readfirstlane_b32 s3, v1
	s_mov_b32 s9, s8
	s_delay_alu instid0(SALU_CYCLE_1) | instskip(NEXT) | instid1(SALU_CYCLE_1)
	s_xor_b64 s[10:11], s[10:11], s[8:9]
	s_mul_i32 s18, s10, s16
	s_delay_alu instid0(VALU_DEP_1)
	s_mul_hi_u32 s19, s10, s3
	s_mul_hi_u32 s17, s10, s16
	;; [unrolled: 1-line block ×3, first 2 shown]
	s_mul_i32 s3, s11, s3
	s_add_u32 s18, s19, s18
	s_addc_u32 s17, 0, s17
	s_mul_hi_u32 s21, s11, s16
	s_add_u32 s3, s18, s3
	s_mul_i32 s16, s11, s16
	s_addc_u32 s3, s17, s22
	s_addc_u32 s17, s21, 0
	s_add_u32 s3, s3, s16
	s_addc_u32 s16, 0, s17
	s_mul_i32 s18, s20, s3
	s_add_u32 s17, s3, 1
	v_sub_co_u32 v1, s10, s10, s18
	s_mul_hi_u32 s18, s20, s3
	s_addc_u32 s19, s16, 0
	s_mul_i32 s21, s20, s16
	s_delay_alu instid0(VALU_DEP_1)
	v_sub_co_u32 v2, s22, v1, s20
	s_add_u32 s23, s3, 2
	s_addc_u32 s24, s16, 0
	s_add_i32 s18, s18, s21
	s_cmp_lg_u32 s10, 0
	v_readfirstlane_b32 s10, v2
	s_subb_u32 s11, s11, s18
	s_cmp_lg_u32 s22, 0
	s_subb_u32 s18, s11, 0
	s_delay_alu instid0(VALU_DEP_1) | instskip(SKIP_4) | instid1(SALU_CYCLE_1)
	s_cmp_ge_u32 s10, s20
	s_cselect_b32 s10, -1, 0
	s_cmp_eq_u32 s18, 0
	v_readfirstlane_b32 s18, v1
	s_cselect_b32 s10, s10, -1
	s_cmp_lg_u32 s10, 0
	s_cselect_b32 s10, s23, s17
	s_cselect_b32 s17, s24, s19
	s_cmp_ge_u32 s18, s20
	s_cselect_b32 s18, -1, 0
	s_cmp_eq_u32 s11, 0
	s_cselect_b32 s11, s18, -1
	s_delay_alu instid0(SALU_CYCLE_1) | instskip(SKIP_2) | instid1(SALU_CYCLE_1)
	s_cmp_lg_u32 s11, 0
	s_cselect_b32 s11, s17, s16
	s_cselect_b32 s10, s10, s3
	s_xor_b64 s[10:11], s[10:11], s[8:9]
	s_delay_alu instid0(SALU_CYCLE_1)
	s_sub_u32 s16, s10, s8
	s_load_b128 s[8:11], s[0:1], 0x44
	s_and_not1_b32 vcc_lo, exec_lo, s2
	s_cbranch_vccnz .LBB29_3
.LBB29_2:
	v_cvt_f32_u32_e32 v1, s20
	s_sub_i32 s3, 0, s20
	s_delay_alu instid0(VALU_DEP_1) | instskip(SKIP_2) | instid1(VALU_DEP_1)
	v_rcp_iflag_f32_e32 v1, v1
	s_waitcnt_depctr 0xfff
	v_mul_f32_e32 v1, 0x4f7ffffe, v1
	v_cvt_u32_f32_e32 v1, v1
	s_delay_alu instid0(VALU_DEP_1) | instskip(NEXT) | instid1(VALU_DEP_1)
	v_readfirstlane_b32 s2, v1
	s_mul_i32 s3, s3, s2
	s_delay_alu instid0(SALU_CYCLE_1) | instskip(NEXT) | instid1(SALU_CYCLE_1)
	s_mul_hi_u32 s3, s2, s3
	s_add_i32 s2, s2, s3
	s_delay_alu instid0(SALU_CYCLE_1) | instskip(NEXT) | instid1(SALU_CYCLE_1)
	s_mul_hi_u32 s2, s12, s2
	s_mul_i32 s3, s2, s20
	s_waitcnt lgkmcnt(0)
	s_add_i32 s11, s2, 1
	s_sub_i32 s3, s12, s3
	s_delay_alu instid0(SALU_CYCLE_1)
	s_sub_i32 s12, s3, s20
	s_cmp_ge_u32 s3, s20
	s_cselect_b32 s2, s11, s2
	s_cselect_b32 s3, s12, s3
	s_add_i32 s11, s2, 1
	s_cmp_ge_u32 s3, s20
	s_cselect_b32 s16, s11, s2
.LBB29_3:
	s_waitcnt lgkmcnt(0)
	s_add_i32 s11, s13, 1
	s_mov_b32 s2, 0
	s_mul_hi_i32 s3, s7, s11
	s_mul_i32 s11, s7, s11
	s_cmp_lg_u64 s[2:3], 0
	s_cbranch_scc0 .LBB29_22
; %bb.4:
	v_cvt_f32_ubyte0_e32 v1, 0
	v_cvt_f32_u32_e32 v2, s20
	s_sub_u32 s18, 0, s20
	s_subb_u32 s19, 0, 0
	s_delay_alu instid0(VALU_DEP_1) | instskip(NEXT) | instid1(VALU_DEP_1)
	v_fmamk_f32 v1, v1, 0x4f800000, v2
	v_rcp_f32_e32 v1, v1
	s_waitcnt_depctr 0xfff
	v_mul_f32_e32 v1, 0x5f7ffffc, v1
	s_delay_alu instid0(VALU_DEP_1) | instskip(NEXT) | instid1(VALU_DEP_1)
	v_mul_f32_e32 v2, 0x2f800000, v1
	v_trunc_f32_e32 v2, v2
	s_delay_alu instid0(VALU_DEP_1) | instskip(SKIP_1) | instid1(VALU_DEP_2)
	v_fmamk_f32 v1, v2, 0xcf800000, v1
	v_cvt_u32_f32_e32 v2, v2
	v_cvt_u32_f32_e32 v1, v1
	s_delay_alu instid0(VALU_DEP_2) | instskip(NEXT) | instid1(VALU_DEP_2)
	v_readfirstlane_b32 s12, v2
	v_readfirstlane_b32 s17, v1
	s_delay_alu instid0(VALU_DEP_2) | instskip(NEXT) | instid1(VALU_DEP_1)
	s_mul_i32 s21, s18, s12
	s_mul_hi_u32 s23, s18, s17
	s_mul_i32 s22, s19, s17
	s_add_i32 s21, s23, s21
	s_mul_i32 s24, s18, s17
	s_add_i32 s21, s21, s22
	s_mul_hi_u32 s23, s17, s24
	s_mul_hi_u32 s25, s12, s24
	s_mul_i32 s22, s12, s24
	s_mul_hi_u32 s24, s17, s21
	s_mul_i32 s17, s17, s21
	s_mul_hi_u32 s26, s12, s21
	s_add_u32 s17, s23, s17
	s_addc_u32 s23, 0, s24
	s_add_u32 s17, s17, s22
	s_mul_i32 s21, s12, s21
	s_addc_u32 s17, s23, s25
	s_addc_u32 s22, s26, 0
	s_add_u32 s17, s17, s21
	s_addc_u32 s21, 0, s22
	v_add_co_u32 v1, s17, v1, s17
	s_delay_alu instid0(VALU_DEP_1) | instskip(SKIP_1) | instid1(VALU_DEP_1)
	s_cmp_lg_u32 s17, 0
	s_addc_u32 s12, s12, s21
	v_readfirstlane_b32 s17, v1
	s_mul_i32 s21, s18, s12
	s_delay_alu instid0(VALU_DEP_1)
	s_mul_hi_u32 s22, s18, s17
	s_mul_i32 s19, s19, s17
	s_add_i32 s21, s22, s21
	s_mul_i32 s18, s18, s17
	s_add_i32 s21, s21, s19
	s_mul_hi_u32 s22, s12, s18
	s_mul_i32 s23, s12, s18
	s_mul_hi_u32 s18, s17, s18
	s_mul_hi_u32 s24, s17, s21
	s_mul_i32 s17, s17, s21
	s_mul_hi_u32 s19, s12, s21
	s_add_u32 s17, s18, s17
	s_addc_u32 s18, 0, s24
	s_add_u32 s17, s17, s23
	s_mul_i32 s21, s12, s21
	s_addc_u32 s17, s18, s22
	s_addc_u32 s18, s19, 0
	s_add_u32 s17, s17, s21
	s_addc_u32 s18, 0, s18
	v_add_co_u32 v1, s17, v1, s17
	s_delay_alu instid0(VALU_DEP_1) | instskip(SKIP_2) | instid1(SALU_CYCLE_1)
	s_cmp_lg_u32 s17, 0
	s_addc_u32 s12, s12, s18
	s_ashr_i32 s18, s3, 31
	s_add_u32 s22, s11, s18
	s_addc_u32 s23, s3, s18
	v_readfirstlane_b32 s3, v1
	s_mov_b32 s19, s18
	s_delay_alu instid0(SALU_CYCLE_1) | instskip(NEXT) | instid1(SALU_CYCLE_1)
	s_xor_b64 s[22:23], s[22:23], s[18:19]
	s_mul_i32 s21, s22, s12
	s_delay_alu instid0(VALU_DEP_1)
	s_mul_hi_u32 s24, s22, s3
	s_mul_hi_u32 s17, s22, s12
	;; [unrolled: 1-line block ×3, first 2 shown]
	s_mul_i32 s3, s23, s3
	s_add_u32 s21, s24, s21
	s_addc_u32 s17, 0, s17
	s_mul_hi_u32 s25, s23, s12
	s_add_u32 s3, s21, s3
	s_mul_i32 s12, s23, s12
	s_addc_u32 s3, s17, s26
	s_addc_u32 s17, s25, 0
	s_add_u32 s3, s3, s12
	s_addc_u32 s12, 0, s17
	s_mul_i32 s21, s20, s3
	s_add_u32 s17, s3, 1
	v_sub_co_u32 v1, s21, s22, s21
	s_mul_hi_u32 s22, s20, s3
	s_addc_u32 s24, s12, 0
	s_mul_i32 s25, s20, s12
	s_delay_alu instid0(VALU_DEP_1)
	v_sub_co_u32 v2, s26, v1, s20
	s_add_u32 s27, s3, 2
	s_addc_u32 s28, s12, 0
	s_add_i32 s22, s22, s25
	s_cmp_lg_u32 s21, 0
	v_readfirstlane_b32 s21, v2
	s_subb_u32 s22, s23, s22
	s_cmp_lg_u32 s26, 0
	s_subb_u32 s23, s22, 0
	s_delay_alu instid0(VALU_DEP_1) | instskip(SKIP_4) | instid1(SALU_CYCLE_1)
	s_cmp_ge_u32 s21, s20
	s_cselect_b32 s21, -1, 0
	s_cmp_eq_u32 s23, 0
	v_readfirstlane_b32 s23, v1
	s_cselect_b32 s21, s21, -1
	s_cmp_lg_u32 s21, 0
	s_cselect_b32 s17, s27, s17
	s_cselect_b32 s21, s28, s24
	s_cmp_ge_u32 s23, s20
	s_cselect_b32 s23, -1, 0
	s_cmp_eq_u32 s22, 0
	s_cselect_b32 s22, s23, -1
	s_delay_alu instid0(SALU_CYCLE_1) | instskip(SKIP_2) | instid1(SALU_CYCLE_1)
	s_cmp_lg_u32 s22, 0
	s_cselect_b32 s23, s21, s12
	s_cselect_b32 s22, s17, s3
	s_xor_b64 s[22:23], s[22:23], s[18:19]
	s_delay_alu instid0(SALU_CYCLE_1)
	s_sub_u32 s18, s22, s18
	s_and_not1_b32 vcc_lo, exec_lo, s2
	s_cbranch_vccnz .LBB29_6
.LBB29_5:
	v_cvt_f32_u32_e32 v1, s20
	s_sub_i32 s3, 0, s20
	s_delay_alu instid0(VALU_DEP_1) | instskip(SKIP_2) | instid1(VALU_DEP_1)
	v_rcp_iflag_f32_e32 v1, v1
	s_waitcnt_depctr 0xfff
	v_mul_f32_e32 v1, 0x4f7ffffe, v1
	v_cvt_u32_f32_e32 v1, v1
	s_delay_alu instid0(VALU_DEP_1) | instskip(NEXT) | instid1(VALU_DEP_1)
	v_readfirstlane_b32 s2, v1
	s_mul_i32 s3, s3, s2
	s_delay_alu instid0(SALU_CYCLE_1) | instskip(NEXT) | instid1(SALU_CYCLE_1)
	s_mul_hi_u32 s3, s2, s3
	s_add_i32 s2, s2, s3
	s_delay_alu instid0(SALU_CYCLE_1) | instskip(NEXT) | instid1(SALU_CYCLE_1)
	s_mul_hi_u32 s2, s11, s2
	s_mul_i32 s3, s2, s20
	s_delay_alu instid0(SALU_CYCLE_1)
	s_sub_i32 s3, s11, s3
	s_add_i32 s11, s2, 1
	s_sub_i32 s12, s3, s20
	s_cmp_ge_u32 s3, s20
	s_cselect_b32 s2, s11, s2
	s_cselect_b32 s3, s12, s3
	s_add_i32 s11, s2, 1
	s_cmp_ge_u32 s3, s20
	s_cselect_b32 s18, s11, s2
.LBB29_6:
	s_delay_alu instid0(SALU_CYCLE_1) | instskip(SKIP_3) | instid1(SALU_CYCLE_1)
	s_cmp_eq_u32 s16, s18
	s_mul_hi_u32 s2, s16, s8
	s_cselect_b32 s3, -1, 0
	s_add_i32 s2, s2, s16
	s_lshr_b32 s11, s2, s9
	s_delay_alu instid0(SALU_CYCLE_1) | instskip(NEXT) | instid1(SALU_CYCLE_1)
	s_mul_i32 s2, s11, s10
	s_cmp_eq_u32 s2, s16
	s_mul_hi_u32 s2, s18, s8
	s_cselect_b32 s12, -1, 0
	s_add_i32 s2, s2, s18
	s_delay_alu instid0(SALU_CYCLE_1) | instskip(NEXT) | instid1(SALU_CYCLE_1)
	s_lshr_b32 s2, s2, s9
	s_cmp_eq_u32 s11, s2
	s_mul_i32 s2, s2, s10
	s_cselect_b32 s17, -1, 0
	s_cmp_lg_u32 s2, s18
	s_cselect_b32 s2, -1, 0
	s_or_b32 s3, s3, s12
	s_and_b32 s2, s17, s2
	s_delay_alu instid0(SALU_CYCLE_1) | instskip(NEXT) | instid1(SALU_CYCLE_1)
	s_or_b32 s2, s3, s2
	s_and_b32 vcc_lo, exec_lo, s2
	s_cbranch_vccnz .LBB29_24
; %bb.7:
	s_load_b256 s[24:31], s[0:1], 0x20
	s_waitcnt lgkmcnt(0)
	s_mul_hi_u32 s2, s16, s24
	s_delay_alu instid0(SALU_CYCLE_1) | instskip(NEXT) | instid1(SALU_CYCLE_1)
	s_add_i32 s2, s2, s16
	s_lshr_b32 s17, s2, s25
	s_load_b32 s2, s[0:1], 0x40
	s_mul_i32 s3, s17, s26
	s_delay_alu instid0(SALU_CYCLE_1) | instskip(NEXT) | instid1(SALU_CYCLE_1)
	s_sub_i32 s3, s16, s3
	s_mul_hi_u32 s12, s3, s27
	s_delay_alu instid0(SALU_CYCLE_1) | instskip(NEXT) | instid1(SALU_CYCLE_1)
	s_add_i32 s12, s3, s12
	s_lshr_b32 s19, s12, s28
	s_delay_alu instid0(SALU_CYCLE_1) | instskip(NEXT) | instid1(SALU_CYCLE_1)
	s_mul_i32 s12, s19, s29
	s_sub_i32 s3, s3, s12
	s_delay_alu instid0(SALU_CYCLE_1) | instskip(NEXT) | instid1(SALU_CYCLE_1)
	s_mul_hi_u32 s12, s3, s30
	s_add_i32 s12, s3, s12
	s_delay_alu instid0(SALU_CYCLE_1)
	s_lshr_b32 s12, s12, s31
	s_waitcnt lgkmcnt(0)
	s_mul_i32 s2, s12, s2
	s_lshl_b32 s21, s12, 2
	s_sub_i32 s2, s3, s2
	s_mov_b32 s12, 0
	s_mul_hi_u32 s3, s2, s8
	s_delay_alu instid0(SALU_CYCLE_1) | instskip(NEXT) | instid1(SALU_CYCLE_1)
	s_add_i32 s2, s2, s3
	s_lshr_b32 s18, s2, s9
	s_delay_alu instid0(SALU_CYCLE_1) | instskip(NEXT) | instid1(SALU_CYCLE_1)
	s_lshl_b32 s2, s18, 1
	s_add_i32 s2, s2, s14
	s_delay_alu instid0(SALU_CYCLE_1) | instskip(SKIP_2) | instid1(SALU_CYCLE_1)
	s_cmp_lt_i32 s2, s4
	s_cselect_b32 s2, -1, 0
	s_add_i32 s21, s21, s15
	s_cmp_lt_i32 s21, s6
	s_cselect_b32 s3, -1, 0
	s_delay_alu instid0(SALU_CYCLE_1) | instskip(NEXT) | instid1(SALU_CYCLE_1)
	s_and_b32 s2, s2, s3
	s_and_not1_b32 vcc_lo, exec_lo, s2
	s_cbranch_vccnz .LBB29_24
; %bb.8:
	s_load_b128 s[0:3], s[0:1], 0x0
	s_lshl_b32 s22, s20, 5
	s_mov_b32 s23, s12
	s_lshl_b32 s24, s14, 2
	s_lshl_b64 s[22:23], s[22:23], 2
	s_mul_i32 s19, s19, s6
	s_mul_i32 s4, s17, s4
	s_add_i32 s6, s24, s15
	v_cvt_f32_ubyte0_e32 v3, 0
	v_cvt_f32_u32_e32 v4, s20
	s_waitcnt lgkmcnt(0)
	s_add_u32 s15, s2, s22
	s_addc_u32 s17, s3, s23
	s_add_i32 s4, s4, s14
	s_add_i32 s14, s21, s19
	s_mul_i32 s4, s4, s5
	s_mul_i32 s5, s5, s18
	s_add_i32 s4, s14, s4
	s_mulk_i32 s5, 0xa0
	s_mulk_i32 s4, 0x50
	s_delay_alu instid0(SALU_CYCLE_1) | instskip(NEXT) | instid1(VALU_DEP_1)
	v_add3_u32 v1, s5, s4, v0
	v_ashrrev_i32_e32 v2, 31, v1
	s_delay_alu instid0(VALU_DEP_1) | instskip(NEXT) | instid1(VALU_DEP_1)
	v_lshlrev_b64 v[1:2], 2, v[1:2]
	v_add_co_u32 v1, vcc_lo, s0, v1
	s_delay_alu instid0(VALU_DEP_2) | instskip(SKIP_1) | instid1(SALU_CYCLE_1)
	v_add_co_ci_u32_e32 v2, vcc_lo, s1, v2, vcc_lo
	s_lshl_b32 s0, s13, 3
	s_add_i32 s0, s6, s0
	global_load_b32 v5, v[1:2], off
	s_ashr_i32 s1, s0, 31
	s_delay_alu instid0(SALU_CYCLE_1) | instskip(NEXT) | instid1(SALU_CYCLE_1)
	s_lshl_b64 s[0:1], s[0:1], 3
	s_add_u32 s0, s2, s0
	s_addc_u32 s1, s3, s1
	s_add_i32 s18, s13, -1
	s_load_b64 s[0:1], s[0:1], 0x0
	v_fmac_f32_e32 v4, 0x4f800000, v3
	s_sub_i32 s14, 0, s20
	s_delay_alu instid0(VALU_DEP_1)
	v_rcp_f32_e32 v3, v4
	s_waitcnt_depctr 0xfff
	v_mul_f32_e32 v6, 0x5f7ffffc, v3
	v_cvt_f32_u32_e32 v3, s20
	s_waitcnt lgkmcnt(0)
	v_mov_b32_e32 v8, s0
	s_delay_alu instid0(VALU_DEP_3) | instskip(NEXT) | instid1(VALU_DEP_3)
	v_mul_f32_e32 v4, 0x2f800000, v6
	v_rcp_iflag_f32_e32 v7, v3
	s_delay_alu instid0(VALU_DEP_1) | instskip(SKIP_1) | instid1(VALU_DEP_2)
	v_trunc_f32_e32 v9, v4
	v_mad_u64_u32 v[3:4], null, 0x50, s6, v[0:1]
	v_fmac_f32_e32 v6, 0xcf800000, v9
	s_waitcnt_depctr 0xfff
	v_dual_mul_f32 v10, 0x4f7ffffe, v7 :: v_dual_mov_b32 v7, s1
	v_cvt_u32_f32_e32 v4, v9
	v_cvt_u32_f32_e32 v0, v6
	s_delay_alu instid0(VALU_DEP_3)
	v_cvt_u32_f32_e32 v6, v10
.LBB29_9:                               ; =>This Inner Loop Header: Depth=1
	s_mul_hi_i32 s13, s18, s7
	s_mul_i32 s4, s18, s7
	s_cmp_lg_u64 s[12:13], 0
	s_mov_b32 s5, -1
                                        ; implicit-def: $sgpr0_sgpr1
	s_cbranch_scc0 .LBB29_11
; %bb.10:                               ;   in Loop: Header=BB29_9 Depth=1
	v_readfirstlane_b32 s0, v0
	v_readfirstlane_b32 s1, v4
	s_sub_u32 s5, 0, s20
	s_subb_u32 s19, 0, 0
	s_delay_alu instid0(VALU_DEP_2) | instskip(NEXT) | instid1(VALU_DEP_1)
	s_mul_hi_u32 s21, s5, s0
	s_mul_i32 s22, s5, s1
	s_mul_i32 s23, s19, s0
	s_add_i32 s21, s21, s22
	s_mul_i32 s22, s5, s0
	s_add_i32 s21, s21, s23
	s_mul_hi_u32 s23, s0, s22
	s_mul_i32 s24, s0, s21
	s_mul_hi_u32 s0, s0, s21
	s_add_u32 s23, s23, s24
	s_mul_i32 s25, s1, s22
	s_addc_u32 s0, 0, s0
	s_mul_hi_u32 s22, s1, s22
	s_mul_hi_u32 s24, s1, s21
	s_add_u32 s23, s23, s25
	s_addc_u32 s0, s0, s22
	s_mul_i32 s21, s1, s21
	s_addc_u32 s22, s24, 0
	s_add_u32 s0, s0, s21
	s_addc_u32 s21, 0, s22
	v_add_co_u32 v9, s0, v0, s0
	s_delay_alu instid0(VALU_DEP_1) | instskip(SKIP_1) | instid1(VALU_DEP_1)
	s_cmp_lg_u32 s0, 0
	s_addc_u32 s1, s1, s21
	v_readfirstlane_b32 s0, v9
	s_mul_i32 s21, s5, s1
	s_delay_alu instid0(VALU_DEP_1)
	s_mul_hi_u32 s22, s5, s0
	s_mul_i32 s19, s19, s0
	s_add_i32 s21, s22, s21
	s_mul_i32 s5, s5, s0
	s_add_i32 s21, s21, s19
	s_mul_hi_u32 s19, s1, s5
	s_mul_i32 s23, s1, s5
	s_mul_i32 s24, s0, s21
	s_mul_hi_u32 s5, s0, s5
	s_mul_hi_u32 s0, s0, s21
	s_add_u32 s5, s5, s24
	s_addc_u32 s0, 0, s0
	s_mul_hi_u32 s22, s1, s21
	s_add_u32 s5, s5, s23
	s_addc_u32 s0, s0, s19
	s_mul_i32 s5, s1, s21
	s_addc_u32 s19, s22, 0
	s_add_u32 s0, s0, s5
	s_addc_u32 s5, 0, s19
	v_add_co_u32 v9, s0, v9, s0
	s_delay_alu instid0(VALU_DEP_1) | instskip(SKIP_2) | instid1(SALU_CYCLE_1)
	s_cmp_lg_u32 s0, 0
	s_addc_u32 s5, s1, s5
	s_ashr_i32 s0, s13, 31
	s_add_u32 s22, s4, s0
	s_addc_u32 s23, s13, s0
	v_readfirstlane_b32 s13, v9
	s_mov_b32 s1, s0
	s_delay_alu instid0(SALU_CYCLE_1) | instskip(NEXT) | instid1(SALU_CYCLE_1)
	s_xor_b64 s[22:23], s[22:23], s[0:1]
	s_mul_i32 s19, s22, s5
	s_delay_alu instid0(VALU_DEP_1)
	s_mul_hi_u32 s21, s22, s13
	s_mul_hi_u32 s24, s22, s5
	s_add_u32 s19, s21, s19
	s_mul_i32 s25, s23, s13
	s_addc_u32 s21, 0, s24
	s_mul_hi_u32 s13, s23, s13
	s_mul_hi_u32 s24, s23, s5
	s_add_u32 s19, s19, s25
	s_addc_u32 s13, s21, s13
	s_mul_i32 s5, s23, s5
	s_addc_u32 s19, s24, 0
	s_add_u32 s5, s13, s5
	s_addc_u32 s13, 0, s19
	s_mul_i32 s21, s20, s5
	s_add_u32 s19, s5, 1
	v_sub_co_u32 v9, s21, s22, s21
	s_addc_u32 s22, s13, 0
	s_mul_i32 s25, s20, s13
	s_mul_hi_u32 s27, s20, s5
	s_delay_alu instid0(VALU_DEP_1)
	v_sub_co_u32 v10, s26, v9, s20
	s_add_u32 s24, s5, 2
	s_addc_u32 s28, s13, 0
	s_add_i32 s27, s27, s25
	s_cmp_lg_u32 s21, 0
	v_readfirstlane_b32 s21, v10
	s_subb_u32 s23, s23, s27
	s_cmp_lg_u32 s26, 0
	s_subb_u32 s25, s23, 0
	s_delay_alu instid0(VALU_DEP_1) | instskip(SKIP_4) | instid1(SALU_CYCLE_1)
	s_cmp_ge_u32 s21, s20
	s_cselect_b32 s21, -1, 0
	s_cmp_eq_u32 s25, 0
	v_readfirstlane_b32 s25, v9
	s_cselect_b32 s21, s21, -1
	s_cmp_lg_u32 s21, 0
	s_cselect_b32 s19, s24, s19
	s_cselect_b32 s21, s28, s22
	s_cmp_ge_u32 s25, s20
	s_cselect_b32 s22, -1, 0
	s_cmp_eq_u32 s23, 0
	s_cselect_b32 s22, s22, -1
	s_delay_alu instid0(SALU_CYCLE_1) | instskip(SKIP_4) | instid1(SALU_CYCLE_1)
	s_cmp_lg_u32 s22, 0
	s_cselect_b32 s23, s21, s13
	s_cselect_b32 s22, s19, s5
	s_mov_b32 s5, 0
	s_xor_b64 s[22:23], s[22:23], s[0:1]
	s_sub_u32 s0, s22, s0
.LBB29_11:                              ;   in Loop: Header=BB29_9 Depth=1
	s_and_not1_b32 vcc_lo, exec_lo, s5
	s_cbranch_vccnz .LBB29_13
; %bb.12:                               ;   in Loop: Header=BB29_9 Depth=1
	v_readfirstlane_b32 s0, v6
	s_delay_alu instid0(VALU_DEP_1) | instskip(NEXT) | instid1(SALU_CYCLE_1)
	s_mul_i32 s1, s14, s0
	s_mul_hi_u32 s1, s0, s1
	s_delay_alu instid0(SALU_CYCLE_1) | instskip(NEXT) | instid1(SALU_CYCLE_1)
	s_add_i32 s0, s0, s1
	s_mul_hi_u32 s0, s4, s0
	s_delay_alu instid0(SALU_CYCLE_1) | instskip(NEXT) | instid1(SALU_CYCLE_1)
	s_mul_i32 s1, s0, s20
	s_sub_i32 s1, s4, s1
	s_add_i32 s4, s0, 1
	s_sub_i32 s5, s1, s20
	s_cmp_ge_u32 s1, s20
	s_cselect_b32 s0, s4, s0
	s_cselect_b32 s1, s5, s1
	s_add_i32 s4, s0, 1
	s_cmp_ge_u32 s1, s20
	s_cselect_b32 s0, s4, s0
.LBB29_13:                              ;   in Loop: Header=BB29_9 Depth=1
	s_delay_alu instid0(SALU_CYCLE_1)
	s_cmp_lg_u32 s16, s0
	s_cbranch_scc0 .LBB29_17
; %bb.14:                               ;   in Loop: Header=BB29_9 Depth=1
	s_add_i32 s1, s18, s20
	s_mov_b32 s5, s12
	s_lshl_b32 s1, s1, 3
	s_mov_b32 s19, s16
	s_add_i32 s4, s1, s6
	s_mul_hi_u32 s1, s0, s8
	s_lshl_b64 s[4:5], s[4:5], 3
	s_delay_alu instid0(SALU_CYCLE_1) | instskip(SKIP_2) | instid1(SALU_CYCLE_1)
	s_add_u32 s4, s2, s4
	s_addc_u32 s5, s3, s5
	s_add_i32 s1, s1, s0
	s_lshr_b32 s1, s1, s9
	s_delay_alu instid0(SALU_CYCLE_1) | instskip(NEXT) | instid1(SALU_CYCLE_1)
	s_mul_i32 s13, s1, s10
	s_cmp_eq_u32 s13, s0
	s_cselect_b32 s13, -1, 0
	s_cmp_lt_u32 s1, s11
	s_cselect_b32 s1, -1, 0
	s_delay_alu instid0(SALU_CYCLE_1)
	s_or_b32 s1, s1, s13
	s_mov_b32 s13, -1
	s_and_b32 vcc_lo, exec_lo, s1
	s_mov_b32 s1, s18
	s_cbranch_vccnz .LBB29_16
; %bb.15:                               ;   in Loop: Header=BB29_9 Depth=1
	s_add_i32 s1, s18, -1
	s_mov_b32 s13, 0
	s_mov_b32 s19, s0
.LBB29_16:                              ;   in Loop: Header=BB29_9 Depth=1
	v_mad_u64_u32 v[9:10], null, 0x280, s18, v[3:4]
	s_load_b64 s[4:5], s[4:5], 0x0
	s_delay_alu instid0(VALU_DEP_1) | instskip(NEXT) | instid1(VALU_DEP_1)
	v_ashrrev_i32_e32 v10, 31, v9
	v_lshlrev_b64 v[9:10], 2, v[9:10]
	s_delay_alu instid0(VALU_DEP_1) | instskip(NEXT) | instid1(VALU_DEP_2)
	v_add_co_u32 v9, vcc_lo, s15, v9
	v_add_co_ci_u32_e32 v10, vcc_lo, s17, v10, vcc_lo
	s_waitcnt lgkmcnt(0)
	v_max_f32_e64 v11, s4, s4
	global_load_b32 v10, v[9:10], off
	v_max_f32_e32 v9, v8, v8
	s_delay_alu instid0(VALU_DEP_1) | instskip(NEXT) | instid1(VALU_DEP_1)
	v_max_f32_e32 v9, v9, v11
	v_sub_f32_e32 v12, v8, v9
	s_delay_alu instid0(VALU_DEP_1) | instskip(NEXT) | instid1(VALU_DEP_1)
	v_dual_mul_f32 v14, 0x3fb8aa3b, v12 :: v_dual_sub_f32 v11, s4, v9
	v_rndne_f32_e32 v18, v14
	s_delay_alu instid0(VALU_DEP_2) | instskip(SKIP_2) | instid1(VALU_DEP_4)
	v_mul_f32_e32 v13, 0x3fb8aa3b, v11
	v_fma_f32 v17, 0x3fb8aa3b, v12, -v14
	v_cmp_ngt_f32_e32 vcc_lo, 0xc2ce8ed0, v11
	v_sub_f32_e32 v14, v14, v18
	s_delay_alu instid0(VALU_DEP_4) | instskip(SKIP_2) | instid1(VALU_DEP_3)
	v_fma_f32 v15, 0x3fb8aa3b, v11, -v13
	v_rndne_f32_e32 v16, v13
	v_fmac_f32_e32 v17, 0x32a5705f, v12
	v_fmac_f32_e32 v15, 0x32a5705f, v11
	s_delay_alu instid0(VALU_DEP_2) | instskip(NEXT) | instid1(VALU_DEP_1)
	v_dual_sub_f32 v13, v13, v16 :: v_dual_add_f32 v14, v14, v17
	v_add_f32_e32 v13, v13, v15
	s_delay_alu instid0(VALU_DEP_2) | instskip(SKIP_2) | instid1(VALU_DEP_3)
	v_exp_f32_e32 v14, v14
	v_cvt_i32_f32_e32 v15, v16
	v_cvt_i32_f32_e32 v16, v18
	v_exp_f32_e32 v13, v13
	s_waitcnt_depctr 0xfff
	v_ldexp_f32 v14, v14, v16
	v_ldexp_f32 v13, v13, v15
	s_delay_alu instid0(VALU_DEP_1) | instskip(SKIP_1) | instid1(VALU_DEP_4)
	v_cndmask_b32_e32 v13, 0, v13, vcc_lo
	v_cmp_ngt_f32_e32 vcc_lo, 0xc2ce8ed0, v12
	v_cndmask_b32_e32 v14, 0, v14, vcc_lo
	v_cmp_nlt_f32_e32 vcc_lo, 0x42b17218, v11
	s_delay_alu instid0(VALU_DEP_4) | instskip(SKIP_1) | instid1(VALU_DEP_4)
	v_cndmask_b32_e32 v13, 0x7f800000, v13, vcc_lo
	v_cmp_nlt_f32_e32 vcc_lo, 0x42b17218, v12
	v_cndmask_b32_e32 v14, 0x7f800000, v14, vcc_lo
	v_cmp_le_f32_e32 vcc_lo, 0xc1a00000, v11
	s_delay_alu instid0(VALU_DEP_4) | instskip(SKIP_1) | instid1(VALU_DEP_4)
	v_cndmask_b32_e32 v11, 0, v13, vcc_lo
	v_cmp_le_f32_e32 vcc_lo, 0xc1a00000, v12
	v_cndmask_b32_e32 v12, 0, v14, vcc_lo
	s_waitcnt vmcnt(0)
	s_delay_alu instid0(VALU_DEP_3) | instskip(NEXT) | instid1(VALU_DEP_1)
	v_mul_f32_e32 v10, v10, v11
	v_dual_mul_f32 v11, s5, v11 :: v_dual_fmac_f32 v10, v5, v12
	s_delay_alu instid0(VALU_DEP_1)
	v_fmac_f32_e32 v11, v7, v12
	s_cbranch_execz .LBB29_18
	s_branch .LBB29_19
.LBB29_17:                              ;   in Loop: Header=BB29_9 Depth=1
                                        ; implicit-def: $sgpr13
                                        ; implicit-def: $vgpr10
                                        ; implicit-def: $vgpr9
                                        ; implicit-def: $vgpr11
                                        ; implicit-def: $sgpr1
                                        ; implicit-def: $sgpr19
.LBB29_18:                              ;   in Loop: Header=BB29_9 Depth=1
	s_waitcnt vmcnt(0)
	v_dual_mov_b32 v11, v7 :: v_dual_mov_b32 v10, v5
	v_mov_b32_e32 v9, v8
	s_add_i32 s1, s18, -1
	s_mov_b32 s13, 0
	s_mov_b32 s19, s16
.LBB29_19:                              ;   in Loop: Header=BB29_9 Depth=1
	s_and_not1_b32 vcc_lo, exec_lo, s13
	s_cbranch_vccz .LBB29_23
; %bb.20:                               ;   in Loop: Header=BB29_9 Depth=1
	v_dual_mov_b32 v7, v11 :: v_dual_mov_b32 v8, v9
	s_waitcnt vmcnt(0)
	v_mov_b32_e32 v5, v10
	s_mov_b32 s16, s19
	s_mov_b32 s18, s1
	s_branch .LBB29_9
.LBB29_21:
                                        ; implicit-def: $sgpr16_sgpr17
	s_load_b128 s[8:11], s[0:1], 0x44
	s_branch .LBB29_2
.LBB29_22:
                                        ; implicit-def: $sgpr18_sgpr19
	s_branch .LBB29_5
.LBB29_23:
	v_div_scale_f32 v0, null, v11, v11, v10
	s_delay_alu instid0(VALU_DEP_1) | instskip(SKIP_2) | instid1(VALU_DEP_1)
	v_rcp_f32_e32 v3, v0
	s_waitcnt_depctr 0xfff
	v_fma_f32 v4, -v0, v3, 1.0
	v_fmac_f32_e32 v3, v4, v3
	v_div_scale_f32 v4, vcc_lo, v10, v11, v10
	s_waitcnt vmcnt(0)
	s_delay_alu instid0(VALU_DEP_1) | instskip(NEXT) | instid1(VALU_DEP_1)
	v_mul_f32_e32 v5, v4, v3
	v_fma_f32 v6, -v0, v5, v4
	s_delay_alu instid0(VALU_DEP_1) | instskip(NEXT) | instid1(VALU_DEP_1)
	v_fmac_f32_e32 v5, v6, v3
	v_fma_f32 v0, -v0, v5, v4
	s_delay_alu instid0(VALU_DEP_1) | instskip(NEXT) | instid1(VALU_DEP_1)
	v_div_fmas_f32 v0, v0, v3, v5
	v_div_fixup_f32 v0, v0, v11, v10
	global_store_b32 v[1:2], v0, off
.LBB29_24:
	s_nop 0
	s_sendmsg sendmsg(MSG_DEALLOC_VGPRS)
	s_endpgm
	.section	.rodata,"a",@progbits
	.p2align	6, 0x0
	.amdhsa_kernel _ZL33flash_attn_stream_k_fixup_generalILi80ELi2ELi4EEvPfPK15HIP_vector_typeIfLj2EEiiiiS1_IjLj3EES5_S5_S5_
		.amdhsa_group_segment_fixed_size 0
		.amdhsa_private_segment_fixed_size 0
		.amdhsa_kernarg_size 336
		.amdhsa_user_sgpr_count 13
		.amdhsa_user_sgpr_dispatch_ptr 0
		.amdhsa_user_sgpr_queue_ptr 0
		.amdhsa_user_sgpr_kernarg_segment_ptr 1
		.amdhsa_user_sgpr_dispatch_id 0
		.amdhsa_user_sgpr_private_segment_size 0
		.amdhsa_wavefront_size32 1
		.amdhsa_uses_dynamic_stack 0
		.amdhsa_enable_private_segment 0
		.amdhsa_system_sgpr_workgroup_id_x 1
		.amdhsa_system_sgpr_workgroup_id_y 1
		.amdhsa_system_sgpr_workgroup_id_z 1
		.amdhsa_system_sgpr_workgroup_info 0
		.amdhsa_system_vgpr_workitem_id 0
		.amdhsa_next_free_vgpr 19
		.amdhsa_next_free_sgpr 32
		.amdhsa_reserve_vcc 1
		.amdhsa_float_round_mode_32 0
		.amdhsa_float_round_mode_16_64 0
		.amdhsa_float_denorm_mode_32 3
		.amdhsa_float_denorm_mode_16_64 3
		.amdhsa_dx10_clamp 1
		.amdhsa_ieee_mode 1
		.amdhsa_fp16_overflow 0
		.amdhsa_workgroup_processor_mode 1
		.amdhsa_memory_ordered 1
		.amdhsa_forward_progress 0
		.amdhsa_shared_vgpr_count 0
		.amdhsa_exception_fp_ieee_invalid_op 0
		.amdhsa_exception_fp_denorm_src 0
		.amdhsa_exception_fp_ieee_div_zero 0
		.amdhsa_exception_fp_ieee_overflow 0
		.amdhsa_exception_fp_ieee_underflow 0
		.amdhsa_exception_fp_ieee_inexact 0
		.amdhsa_exception_int_div_zero 0
	.end_amdhsa_kernel
	.section	.text._ZL33flash_attn_stream_k_fixup_generalILi80ELi2ELi4EEvPfPK15HIP_vector_typeIfLj2EEiiiiS1_IjLj3EES5_S5_S5_,"axG",@progbits,_ZL33flash_attn_stream_k_fixup_generalILi80ELi2ELi4EEvPfPK15HIP_vector_typeIfLj2EEiiiiS1_IjLj3EES5_S5_S5_,comdat
.Lfunc_end29:
	.size	_ZL33flash_attn_stream_k_fixup_generalILi80ELi2ELi4EEvPfPK15HIP_vector_typeIfLj2EEiiiiS1_IjLj3EES5_S5_S5_, .Lfunc_end29-_ZL33flash_attn_stream_k_fixup_generalILi80ELi2ELi4EEvPfPK15HIP_vector_typeIfLj2EEiiiiS1_IjLj3EES5_S5_S5_
                                        ; -- End function
	.section	.AMDGPU.csdata,"",@progbits
; Kernel info:
; codeLenInByte = 3224
; NumSgprs: 34
; NumVgprs: 19
; ScratchSize: 0
; MemoryBound: 0
; FloatMode: 240
; IeeeMode: 1
; LDSByteSize: 0 bytes/workgroup (compile time only)
; SGPRBlocks: 4
; VGPRBlocks: 2
; NumSGPRsForWavesPerEU: 34
; NumVGPRsForWavesPerEU: 19
; Occupancy: 16
; WaveLimiterHint : 0
; COMPUTE_PGM_RSRC2:SCRATCH_EN: 0
; COMPUTE_PGM_RSRC2:USER_SGPR: 13
; COMPUTE_PGM_RSRC2:TRAP_HANDLER: 0
; COMPUTE_PGM_RSRC2:TGID_X_EN: 1
; COMPUTE_PGM_RSRC2:TGID_Y_EN: 1
; COMPUTE_PGM_RSRC2:TGID_Z_EN: 1
; COMPUTE_PGM_RSRC2:TIDIG_COMP_CNT: 0
	.section	.text._ZL15flash_attn_tileILi80ELi80ELi1ELi4ELb0EEvPKcS1_S1_S1_S1_PKiPfP15HIP_vector_typeIfLj2EEffffjfiS5_IjLj3EEiiiiiiiiiiiliiliiiiil,"axG",@progbits,_ZL15flash_attn_tileILi80ELi80ELi1ELi4ELb0EEvPKcS1_S1_S1_S1_PKiPfP15HIP_vector_typeIfLj2EEffffjfiS5_IjLj3EEiiiiiiiiiiiliiliiiiil,comdat
	.globl	_ZL15flash_attn_tileILi80ELi80ELi1ELi4ELb0EEvPKcS1_S1_S1_S1_PKiPfP15HIP_vector_typeIfLj2EEffffjfiS5_IjLj3EEiiiiiiiiiiiliiliiiiil ; -- Begin function _ZL15flash_attn_tileILi80ELi80ELi1ELi4ELb0EEvPKcS1_S1_S1_S1_PKiPfP15HIP_vector_typeIfLj2EEffffjfiS5_IjLj3EEiiiiiiiiiiiliiliiiiil
	.p2align	8
	.type	_ZL15flash_attn_tileILi80ELi80ELi1ELi4ELb0EEvPKcS1_S1_S1_S1_PKiPfP15HIP_vector_typeIfLj2EEffffjfiS5_IjLj3EEiiiiiiiiiiiliiliiiiil,@function
_ZL15flash_attn_tileILi80ELi80ELi1ELi4ELb0EEvPKcS1_S1_S1_S1_PKiPfP15HIP_vector_typeIfLj2EEffffjfiS5_IjLj3EEiiiiiiiiiiiliiliiiiil: ; @_ZL15flash_attn_tileILi80ELi80ELi1ELi4ELb0EEvPKcS1_S1_S1_S1_PKiPfP15HIP_vector_typeIfLj2EEffffjfiS5_IjLj3EEiiiiiiiiiiiliiliiiiil
; %bb.0:
	s_clause 0x1
	s_load_b128 s[8:11], s[0:1], 0x5c
	s_load_b64 s[34:35], s[0:1], 0x80
	s_mov_b64 s[36:37], 0
	s_waitcnt lgkmcnt(0)
	s_ashr_i32 s2, s11, 31
	s_delay_alu instid0(SALU_CYCLE_1) | instskip(NEXT) | instid1(SALU_CYCLE_1)
	s_lshr_b32 s2, s2, 30
	s_add_i32 s2, s11, s2
	s_delay_alu instid0(SALU_CYCLE_1) | instskip(NEXT) | instid1(SALU_CYCLE_1)
	s_ashr_i32 s2, s2, 2
	v_cvt_f32_u32_e32 v1, s2
	s_sub_i32 s4, 0, s2
	s_delay_alu instid0(VALU_DEP_1) | instskip(SKIP_2) | instid1(VALU_DEP_1)
	v_rcp_iflag_f32_e32 v1, v1
	s_waitcnt_depctr 0xfff
	v_mul_f32_e32 v1, 0x4f7ffffe, v1
	v_cvt_u32_f32_e32 v1, v1
	s_delay_alu instid0(VALU_DEP_1) | instskip(NEXT) | instid1(VALU_DEP_1)
	v_readfirstlane_b32 s3, v1
	s_mul_i32 s4, s4, s3
	s_delay_alu instid0(SALU_CYCLE_1) | instskip(NEXT) | instid1(SALU_CYCLE_1)
	s_mul_hi_u32 s4, s3, s4
	s_add_i32 s3, s3, s4
	s_delay_alu instid0(SALU_CYCLE_1) | instskip(NEXT) | instid1(SALU_CYCLE_1)
	s_mul_hi_u32 s3, s15, s3
	s_mul_i32 s4, s3, s2
	s_add_i32 s5, s3, 1
	s_sub_i32 s4, s15, s4
	s_delay_alu instid0(SALU_CYCLE_1)
	s_sub_i32 s6, s4, s2
	s_cmp_ge_u32 s4, s2
	s_cselect_b32 s3, s5, s3
	s_cselect_b32 s4, s6, s4
	s_add_i32 s5, s3, 1
	s_cmp_ge_u32 s4, s2
	s_cselect_b32 s12, s5, s3
	s_abs_i32 s2, s35
	s_abs_i32 s5, s11
	v_cvt_f32_u32_e32 v1, s2
	s_sub_i32 s4, 0, s2
	s_xor_b32 s6, s11, s35
	s_delay_alu instid0(SALU_CYCLE_1) | instskip(NEXT) | instid1(VALU_DEP_1)
	s_ashr_i32 s6, s6, 31
	v_rcp_iflag_f32_e32 v1, v1
	s_waitcnt_depctr 0xfff
	v_mul_f32_e32 v1, 0x4f7ffffe, v1
	s_delay_alu instid0(VALU_DEP_1) | instskip(NEXT) | instid1(VALU_DEP_1)
	v_cvt_u32_f32_e32 v1, v1
	v_readfirstlane_b32 s3, v1
	s_delay_alu instid0(VALU_DEP_1) | instskip(NEXT) | instid1(SALU_CYCLE_1)
	s_mul_i32 s4, s4, s3
	s_mul_hi_u32 s4, s3, s4
	s_delay_alu instid0(SALU_CYCLE_1) | instskip(SKIP_2) | instid1(SALU_CYCLE_1)
	s_add_i32 s3, s3, s4
	s_lshl_b32 s4, s15, 2
	s_mul_hi_u32 s3, s5, s3
	s_mul_i32 s7, s3, s2
	s_delay_alu instid0(SALU_CYCLE_1)
	s_sub_i32 s5, s5, s7
	s_add_i32 s7, s3, 1
	s_sub_i32 s15, s5, s2
	s_cmp_ge_u32 s5, s2
	s_cselect_b32 s3, s7, s3
	s_cselect_b32 s5, s15, s5
	s_add_i32 s7, s3, 1
	s_cmp_ge_u32 s5, s2
	s_mul_i32 s5, s12, s11
	s_cselect_b32 s2, s7, s3
	s_delay_alu instid0(SALU_CYCLE_1) | instskip(NEXT) | instid1(SALU_CYCLE_1)
	s_xor_b32 s2, s2, s6
	s_sub_i32 s35, s2, s6
	s_clause 0x1
	s_load_b512 s[16:31], s[0:1], 0x0
	s_load_b64 s[2:3], s[0:1], 0xb8
	s_abs_i32 s33, s35
	s_delay_alu instid0(SALU_CYCLE_1) | instskip(NEXT) | instid1(VALU_DEP_1)
	v_cvt_f32_u32_e32 v1, s33
	v_rcp_iflag_f32_e32 v1, v1
	s_waitcnt_depctr 0xfff
	v_mul_f32_e32 v1, 0x4f7ffffe, v1
	s_waitcnt lgkmcnt(0)
	s_cmp_eq_u64 s[22:23], 0
	s_delay_alu instid0(VALU_DEP_1) | instskip(NEXT) | instid1(VALU_DEP_1)
	v_cvt_u32_f32_e32 v1, v1
	v_readfirstlane_b32 s38, v1
	s_cbranch_scc1 .LBB30_2
; %bb.1:
	s_abs_i32 s2, s2
	s_abs_i32 s15, s12
	v_cvt_f32_u32_e32 v1, s2
	s_sub_i32 s7, 0, s2
	s_delay_alu instid0(VALU_DEP_1) | instskip(SKIP_2) | instid1(VALU_DEP_1)
	v_rcp_iflag_f32_e32 v1, v1
	s_waitcnt_depctr 0xfff
	v_mul_f32_e32 v1, 0x4f7ffffe, v1
	v_cvt_u32_f32_e32 v1, v1
	s_delay_alu instid0(VALU_DEP_1) | instskip(NEXT) | instid1(VALU_DEP_1)
	v_readfirstlane_b32 s6, v1
	s_mul_i32 s7, s7, s6
	s_delay_alu instid0(SALU_CYCLE_1) | instskip(NEXT) | instid1(SALU_CYCLE_1)
	s_mul_hi_u32 s7, s6, s7
	s_add_i32 s36, s6, s7
	s_load_b64 s[6:7], s[0:1], 0xc8
	s_mul_hi_u32 s36, s15, s36
	s_delay_alu instid0(SALU_CYCLE_1) | instskip(NEXT) | instid1(SALU_CYCLE_1)
	s_mul_i32 s36, s36, s2
	s_sub_i32 s15, s15, s36
	s_ashr_i32 s36, s12, 31
	s_sub_i32 s37, s15, s2
	s_cmp_ge_u32 s15, s2
	s_cselect_b32 s15, s37, s15
	s_delay_alu instid0(SALU_CYCLE_1) | instskip(SKIP_2) | instid1(SALU_CYCLE_1)
	s_sub_i32 s37, s15, s2
	s_cmp_ge_u32 s15, s2
	s_cselect_b32 s2, s37, s15
	s_xor_b32 s2, s2, s36
	s_delay_alu instid0(SALU_CYCLE_1)
	s_sub_i32 s2, s2, s36
	s_waitcnt lgkmcnt(0)
	s_mul_i32 s7, s2, s7
	s_mul_hi_u32 s15, s2, s6
	s_ashr_i32 s36, s2, 31
	s_add_i32 s7, s15, s7
	s_mul_i32 s36, s36, s6
	s_mul_i32 s2, s2, s6
	s_add_i32 s7, s7, s36
	s_add_u32 s36, s22, s2
	s_addc_u32 s37, s23, s7
.LBB30_2:
	v_bfe_u32 v1, v0, 10, 10
	v_and_b32_e32 v40, 0x3ff, v0
	s_sub_i32 s15, s4, s5
	s_delay_alu instid0(VALU_DEP_2) | instskip(SKIP_1) | instid1(VALU_DEP_3)
	v_lshrrev_b32_e32 v52, 2, v1
	v_and_b32_e32 v51, 3, v1
	v_cmp_gt_u32_e64 s2, 20, v40
	s_delay_alu instid0(VALU_DEP_3) | instskip(NEXT) | instid1(VALU_DEP_1)
	v_add_nc_u32_e32 v2, s13, v52
	v_mul_hi_u32 v0, s8, v2
	s_delay_alu instid0(VALU_DEP_3)
	s_and_saveexec_b32 s4, s2
	s_cbranch_execz .LBB30_4
; %bb.3:
	s_load_b128 s[40:43], s[0:1], 0x70
	s_delay_alu instid0(VALU_DEP_1) | instskip(NEXT) | instid1(VALU_DEP_1)
	v_add_nc_u32_e32 v3, v2, v0
	v_lshrrev_b32_e32 v3, s9, v3
	s_delay_alu instid0(VALU_DEP_1) | instskip(NEXT) | instid1(VALU_DEP_1)
	v_mul_lo_u32 v3, v3, s10
	v_sub_nc_u32_e32 v10, v2, v3
	s_waitcnt lgkmcnt(0)
	s_mul_i32 s5, s12, s42
	s_mul_i32 s6, s15, s41
	s_ashr_i32 s7, s5, 31
	s_add_u32 s5, s16, s5
	s_addc_u32 s7, s17, s7
	s_ashr_i32 s8, s6, 31
	s_add_u32 s5, s5, s6
	s_addc_u32 s6, s7, s8
	s_ashr_i32 s7, s41, 31
	s_ashr_i32 s8, s40, 31
	v_alignbit_b32 v5, s7, s41, 2
	v_alignbit_b32 v7, s8, s40, 2
	s_lshr_b32 s7, s7, 2
	s_delay_alu instid0(VALU_DEP_2) | instskip(NEXT) | instid1(VALU_DEP_2)
	v_mad_u64_u32 v[3:4], null, v5, v51, 0
	v_mad_u64_u32 v[5:6], null, v7, v10, 0
	s_delay_alu instid0(VALU_DEP_1) | instskip(SKIP_1) | instid1(VALU_DEP_1)
	v_mad_u64_u32 v[7:8], null, s7, v51, v[4:5]
	s_lshr_b32 s7, s8, 2
	v_mov_b32_e32 v4, v7
	s_delay_alu instid0(VALU_DEP_3) | instskip(SKIP_2) | instid1(VALU_DEP_4)
	v_mad_u64_u32 v[8:9], null, s7, v10, v[6:7]
	v_mul_u32_u24_e32 v9, 40, v1
	v_lshlrev_b32_e32 v7, 4, v40
	v_lshlrev_b64 v[3:4], 2, v[3:4]
	v_lshlrev_b32_e32 v10, 1, v40
	v_mov_b32_e32 v6, v8
	s_delay_alu instid0(VALU_DEP_3) | instskip(NEXT) | instid1(VALU_DEP_4)
	v_add_co_u32 v3, vcc_lo, s5, v3
	v_add_co_ci_u32_e32 v4, vcc_lo, s6, v4, vcc_lo
	s_delay_alu instid0(VALU_DEP_3) | instskip(SKIP_1) | instid1(VALU_DEP_1)
	v_lshlrev_b64 v[5:6], 2, v[5:6]
	s_load_b32 s5, s[0:1], 0x40
	v_add_co_u32 v3, vcc_lo, v3, v5
	s_delay_alu instid0(VALU_DEP_2) | instskip(NEXT) | instid1(VALU_DEP_2)
	v_add_co_ci_u32_e32 v4, vcc_lo, v4, v6, vcc_lo
	v_add_co_u32 v3, vcc_lo, v3, v7
	s_delay_alu instid0(VALU_DEP_2)
	v_add_co_ci_u32_e32 v4, vcc_lo, 0, v4, vcc_lo
	global_load_b128 v[3:6], v[3:4], off
	s_waitcnt vmcnt(0) lgkmcnt(0)
	v_fma_mixlo_f16 v8, v5, s5, 0
	v_fma_mixlo_f16 v7, v3, s5, 0
	v_add_lshl_u32 v3, v9, v10, 2
	s_delay_alu instid0(VALU_DEP_3) | instskip(NEXT) | instid1(VALU_DEP_3)
	v_fma_mixhi_f16 v8, v6, s5, 0
	v_fma_mixhi_f16 v7, v4, s5, 0
	ds_store_b64 v3, v[7:8] offset:3264
.LBB30_4:
	s_or_b32 exec_lo, exec_lo, s4
	s_cmp_eq_u64 s[26:27], 0
	s_waitcnt lgkmcnt(0)
	s_barrier
	buffer_gl0_inv
	s_cbranch_scc1 .LBB30_6
; %bb.5:
	s_load_b32 s4, s[0:1], 0xd0
	s_mov_b32 s5, 0
	s_waitcnt lgkmcnt(0)
	s_mul_i32 s4, s4, s12
	s_delay_alu instid0(SALU_CYCLE_1) | instskip(NEXT) | instid1(SALU_CYCLE_1)
	s_add_i32 s4, s4, s13
	s_lshl_b64 s[4:5], s[4:5], 2
	s_delay_alu instid0(SALU_CYCLE_1)
	s_add_u32 s4, s26, s4
	s_addc_u32 s5, s27, s5
	s_load_b32 s34, s[4:5], 0x0
.LBB30_6:
	v_mbcnt_lo_u32_b32 v53, -1, 0
	s_lshl_b32 s16, s14, 5
	s_waitcnt lgkmcnt(0)
	s_cmp_lt_i32 s16, s34
	s_cbranch_scc1 .LBB30_8
; %bb.7:
	v_mbcnt_lo_u32_b32 v3, -1, 0
	v_mov_b32_e32 v55, 32
	s_mov_b32 s4, 0
	s_mov_b32 s5, 0xfeffffff
	s_delay_alu instid0(VALU_DEP_2)
	v_xor_b32_e32 v70, 16, v3
	v_xor_b32_e32 v71, 8, v3
	;; [unrolled: 1-line block ×5, first 2 shown]
	s_branch .LBB30_9
.LBB30_8:
	s_mov_b32 s4, -1
                                        ; implicit-def: $sgpr5
                                        ; implicit-def: $vgpr3
                                        ; implicit-def: $vgpr55
                                        ; implicit-def: $vgpr70
                                        ; implicit-def: $vgpr71
                                        ; implicit-def: $vgpr72
                                        ; implicit-def: $vgpr73
                                        ; implicit-def: $vgpr74
.LBB30_9:
	s_delay_alu instid0(SALU_CYCLE_1)
	v_cndmask_b32_e64 v4, 0, 1, s4
	v_mov_b32_e32 v56, s4
	v_mov_b32_e32 v50, s5
	;; [unrolled: 1-line block ×4, first 2 shown]
	v_cmp_ne_u32_e32 vcc_lo, 1, v4
	s_cbranch_vccnz .LBB30_22
; %bb.10:
	s_clause 0x1
	s_load_b128 s[4:7], s[0:1], 0x98
	s_load_b64 s[22:23], s[0:1], 0x8c
	s_sub_i32 s8, 0, s33
	v_dual_mov_b32 v75, 0xfeffffff :: v_dual_add_nc_u32 v0, v2, v0
	s_mul_i32 s8, s8, s38
	s_abs_i32 s39, s15
	s_mul_hi_u32 s8, s38, s8
	s_delay_alu instid0(VALU_DEP_1)
	v_lshrrev_b32_e32 v0, s9, v0
	s_add_i32 s38, s38, s8
	v_dual_mov_b32 v54, 0 :: v_dual_lshlrev_b32 v7, 2, v40
	s_mul_hi_u32 s8, s39, s38
	s_ashr_i32 s38, s12, 31
	s_ashr_i32 s40, s15, 31
	;; [unrolled: 1-line block ×3, first 2 shown]
	s_load_b64 s[26:27], s[0:1], 0xa8
	s_ashr_i32 s3, s3, 1
	s_mul_i32 s41, s8, s33
	v_mul_lo_u32 v0, v0, s10
	s_waitcnt lgkmcnt(0)
	s_ashr_i32 s17, s6, 2
	s_mul_i32 s5, s12, s5
	s_mul_hi_u32 s6, s12, s4
	s_mul_i32 s42, s38, s4
	s_add_i32 s5, s6, s5
	s_mul_i32 s4, s12, s4
	s_ashr_i32 s22, s22, 2
	s_add_i32 s5, s5, s42
	s_add_u32 s4, s18, s4
	s_addc_u32 s5, s19, s5
	s_sub_i32 s18, s39, s41
	v_lshrrev_b32_e32 v3, 2, v40
	v_dual_mov_b32 v56, 0 :: v_dual_and_b32 v9, 12, v7
	v_lshrrev_b32_e32 v8, 3, v40
	v_lshrrev_b32_e32 v10, 1, v40
	s_xor_b32 s6, s40, s35
	s_add_i32 s19, s8, 1
	s_sub_i32 s35, s18, s33
	s_cmp_ge_u32 s18, s33
	v_lshl_add_u32 v4, v1, 3, v3
	s_cselect_b32 s8, s19, s8
	s_cselect_b32 s18, s35, s18
	v_lshl_add_u32 v6, v1, 5, v40
	v_lshlrev_b32_e32 v5, 2, v9
	v_lshl_add_u32 v11, v1, 2, v8
	v_lshl_add_u32 v8, v1, 4, v10
	v_sub_nc_u32_e32 v2, v2, v0
	s_add_i32 s19, s8, 1
	s_cmp_ge_u32 s18, s33
	v_mul_lo_u32 v3, s22, v4
	s_cselect_b32 s8, s19, s8
	v_mad_u32_u24 v57, 0x60, v4, v5
	v_mul_lo_u32 v5, s22, v6
	v_mul_lo_u32 v0, s17, v11
	v_dual_mov_b32 v55, 32 :: v_dual_and_b32 v62, 4, v7
	v_mad_u64_u32 v[41:42], null, v2, s3, v[40:41]
	v_dual_mov_b32 v69, 0 :: v_dual_and_b32 v2, 28, v7
	v_mul_lo_u32 v7, s17, v8
	s_xor_b32 s8, s8, s6
	v_mul_u32_u24_e32 v59, 0xa0, v1
	s_sub_i32 s6, s8, s6
	v_lshl_add_u32 v61, v1, 6, 0xf40
	v_mul_u32_u24_e32 v1, 0xa0, v8
	s_mul_i32 s18, s6, s23
	s_mul_i32 s27, s12, s27
	s_mul_hi_u32 s8, s12, s26
	s_ashr_i32 s19, s18, 31
	s_add_u32 s18, s4, s18
	v_cmp_gt_u32_e32 vcc_lo, 32, v6
	v_ashrrev_i32_e32 v4, 31, v3
	v_mad_u32_u24 v60, 0x60, v6, 64
	v_ashrrev_i32_e32 v6, 31, v5
	v_lshl_or_b32 v10, v62, 2, v1
	v_cmp_gt_u32_e64 s3, 16, v8
	v_ashrrev_i32_e32 v1, 31, v0
	v_ashrrev_i32_e32 v8, 31, v7
	s_mul_i32 s38, s38, s26
	s_addc_u32 s19, s5, s19
	s_add_i32 s4, s8, s27
	v_lshlrev_b32_e32 v12, 2, v2
	s_mul_i32 s5, s12, s26
	s_add_i32 s4, s4, s38
	s_mul_i32 s6, s6, s7
	s_add_u32 s5, s20, s5
	s_addc_u32 s4, s21, s4
	s_ashr_i32 s8, s6, 31
	v_lshlrev_b64 v[42:43], 2, v[5:6]
	v_lshlrev_b64 v[44:45], 2, v[3:4]
	;; [unrolled: 1-line block ×4, first 2 shown]
	s_add_u32 s7, s5, s6
	v_mul_u32_u24_e32 v58, 0x60, v40
	v_lshl_add_u32 v63, v40, 1, v61
	v_lshlrev_b32_e32 v64, 3, v40
	v_add_nc_u32_e32 v65, 0x80, v10
	v_mad_u32_u24 v66, 0xa0, v11, v12
	v_lshlrev_b32_e32 v67, 2, v9
	v_lshlrev_b32_e32 v68, 2, v2
	s_addc_u32 s20, s4, s8
	s_add_u32 s8, s0, 0xd0
	s_addc_u32 s9, s1, 0
.LBB30_11:                              ; =>This Inner Loop Header: Depth=1
	s_mul_hi_i32 s5, s16, s22
	s_mul_i32 s4, s16, s22
	s_delay_alu instid0(SALU_CYCLE_1) | instskip(NEXT) | instid1(SALU_CYCLE_1)
	s_lshl_b64 s[26:27], s[4:5], 2
	s_add_u32 s5, s18, s26
	s_addc_u32 s6, s19, s27
	s_and_saveexec_b32 s21, vcc_lo
	s_cbranch_execz .LBB30_13
; %bb.12:                               ;   in Loop: Header=BB30_11 Depth=1
	v_add_co_u32 v0, s4, s5, v42
	s_delay_alu instid0(VALU_DEP_1)
	v_add_co_ci_u32_e64 v1, s4, s6, v43, s4
	global_load_b128 v[0:3], v[0:1], off offset:64
	s_waitcnt vmcnt(0)
	ds_store_b128 v60, v[0:3]
.LBB30_13:                              ;   in Loop: Header=BB30_11 Depth=1
	s_or_b32 exec_lo, exec_lo, s21
	v_add_co_u32 v0, s4, s5, v44
	s_delay_alu instid0(VALU_DEP_1) | instskip(NEXT) | instid1(VALU_DEP_2)
	v_add_co_ci_u32_e64 v1, s4, s6, v45, s4
	v_add_co_u32 v0, s4, v0, v67
	s_delay_alu instid0(VALU_DEP_1)
	v_add_co_ci_u32_e64 v1, s4, 0, v1, s4
	global_load_b128 v[2:5], v[0:1], off
	s_waitcnt vmcnt(0)
	ds_store_b128 v57, v[2:5]
	s_waitcnt lgkmcnt(0)
	s_barrier
	buffer_gl0_inv
	ds_load_b128 v[3:6], v58
	ds_load_b128 v[7:10], v59 offset:3264
	v_mov_b32_e32 v2, 0
	s_waitcnt lgkmcnt(0)
	;;#ASMSTART
	v_dot2_f32_f16 v2, v3, v7, v2
	;;#ASMEND
	;;#ASMSTART
	v_dot2_f32_f16 v2, v4, v8, v2
	;;#ASMEND
	;;#ASMSTART
	v_dot2_f32_f16 v2, v5, v9, v2
	;;#ASMEND
	;;#ASMSTART
	v_dot2_f32_f16 v2, v6, v10, v2
	;;#ASMEND
	ds_load_b128 v[3:6], v58 offset:16
	ds_load_b128 v[7:10], v59 offset:3280
	s_waitcnt lgkmcnt(0)
	;;#ASMSTART
	v_dot2_f32_f16 v2, v3, v7, v2
	;;#ASMEND
	;;#ASMSTART
	v_dot2_f32_f16 v2, v4, v8, v2
	;;#ASMEND
	;;#ASMSTART
	v_dot2_f32_f16 v2, v5, v9, v2
	;;#ASMEND
	;;#ASMSTART
	v_dot2_f32_f16 v2, v6, v10, v2
	;;#ASMEND
	ds_load_b128 v[3:6], v58 offset:32
	ds_load_b128 v[7:10], v59 offset:3296
	;; [unrolled: 15-line block ×4, first 2 shown]
	s_waitcnt lgkmcnt(0)
	;;#ASMSTART
	v_dot2_f32_f16 v2, v3, v7, v2
	;;#ASMEND
	;;#ASMSTART
	v_dot2_f32_f16 v2, v4, v8, v2
	;;#ASMEND
	;; [unrolled: 3-line block ×4, first 2 shown]
	s_barrier
	buffer_gl0_inv
	s_and_saveexec_b32 s21, vcc_lo
	s_cbranch_execz .LBB30_15
; %bb.14:                               ;   in Loop: Header=BB30_11 Depth=1
	v_add_co_u32 v3, s4, s5, v42
	s_delay_alu instid0(VALU_DEP_1)
	v_add_co_ci_u32_e64 v4, s4, s6, v43, s4
	global_load_b128 v[3:6], v[3:4], off offset:144
	s_waitcnt vmcnt(0)
	ds_store_b128 v60, v[3:6]
.LBB30_15:                              ;   in Loop: Header=BB30_11 Depth=1
	s_or_b32 exec_lo, exec_lo, s21
	global_load_b128 v[3:6], v[0:1], off offset:80
	v_add_nc_u32_e32 v0, s16, v41
	v_xor_b32_e32 v70, 16, v53
	v_xor_b32_e32 v71, 8, v53
	v_xor_b32_e32 v72, 4, v53
	v_xor_b32_e32 v73, 2, v53
	v_ashrrev_i32_e32 v1, 31, v0
	v_xor_b32_e32 v74, 1, v53
	s_mul_hi_i32 s5, s16, s17
	v_lshlrev_b32_e32 v79, 2, v62
	s_delay_alu instid0(VALU_DEP_3) | instskip(NEXT) | instid1(VALU_DEP_1)
	v_lshlrev_b64 v[0:1], 1, v[0:1]
	v_add_co_u32 v0, s4, s36, v0
	s_delay_alu instid0(VALU_DEP_1)
	v_add_co_ci_u32_e64 v1, s4, s37, v1, s4
	v_cmp_gt_i32_e64 s4, 32, v70
	s_waitcnt vmcnt(0)
	ds_store_b128 v57, v[3:6]
	s_waitcnt lgkmcnt(0)
	s_barrier
	buffer_gl0_inv
	ds_load_b128 v[3:6], v58
	ds_load_b128 v[7:10], v59 offset:3344
	s_waitcnt lgkmcnt(0)
	;;#ASMSTART
	v_dot2_f32_f16 v2, v3, v7, v2
	;;#ASMEND
	;;#ASMSTART
	v_dot2_f32_f16 v2, v4, v8, v2
	;;#ASMEND
	;;#ASMSTART
	v_dot2_f32_f16 v2, v5, v9, v2
	;;#ASMEND
	;;#ASMSTART
	v_dot2_f32_f16 v2, v6, v10, v2
	;;#ASMEND
	ds_load_b128 v[3:6], v58 offset:16
	ds_load_b128 v[7:10], v59 offset:3360
	s_waitcnt lgkmcnt(0)
	;;#ASMSTART
	v_dot2_f32_f16 v2, v3, v7, v2
	;;#ASMEND
	;;#ASMSTART
	v_dot2_f32_f16 v2, v4, v8, v2
	;;#ASMEND
	;;#ASMSTART
	v_dot2_f32_f16 v2, v5, v9, v2
	;;#ASMEND
	;;#ASMSTART
	v_dot2_f32_f16 v2, v6, v10, v2
	;;#ASMEND
	ds_load_b128 v[3:6], v58 offset:32
	ds_load_b128 v[7:10], v59 offset:3376
	s_waitcnt lgkmcnt(0)
	;;#ASMSTART
	v_dot2_f32_f16 v2, v3, v7, v2
	;;#ASMEND
	;;#ASMSTART
	v_dot2_f32_f16 v2, v4, v8, v2
	;;#ASMEND
	;;#ASMSTART
	v_dot2_f32_f16 v2, v5, v9, v2
	;;#ASMEND
	;;#ASMSTART
	v_dot2_f32_f16 v2, v6, v10, v2
	;;#ASMEND
	ds_load_b128 v[3:6], v58 offset:48
	ds_load_b128 v[7:10], v59 offset:3392
	s_waitcnt lgkmcnt(0)
	;;#ASMSTART
	v_dot2_f32_f16 v2, v3, v7, v2
	;;#ASMEND
	;;#ASMSTART
	v_dot2_f32_f16 v2, v4, v8, v2
	;;#ASMEND
	;;#ASMSTART
	v_dot2_f32_f16 v2, v5, v9, v2
	;;#ASMEND
	;;#ASMSTART
	v_dot2_f32_f16 v2, v6, v10, v2
	;;#ASMEND
	ds_load_b128 v[3:6], v58 offset:64
	ds_load_b128 v[7:10], v59 offset:3408
	s_waitcnt lgkmcnt(0)
	;;#ASMSTART
	v_dot2_f32_f16 v2, v3, v7, v2
	;;#ASMEND
	;;#ASMSTART
	v_dot2_f32_f16 v2, v4, v8, v2
	;;#ASMEND
	;; [unrolled: 3-line block ×4, first 2 shown]
	flat_load_u16 v0, v[0:1]
	v_max_f32_e32 v1, v75, v75
	s_waitcnt vmcnt(0) lgkmcnt(0)
	s_barrier
	buffer_gl0_inv
	v_cvt_f32_f16_e32 v0, v0
	s_delay_alu instid0(VALU_DEP_1) | instskip(SKIP_2) | instid1(VALU_DEP_2)
	v_add_f32_e32 v0, v2, v0
	v_cndmask_b32_e64 v2, v53, v70, s4
	v_cmp_gt_i32_e64 s4, 32, v71
	v_dual_add_f32 v3, 0x40051340, v0 :: v_dual_lshlrev_b32 v2, 2, v2
	s_delay_alu instid0(VALU_DEP_1) | instskip(NEXT) | instid1(VALU_DEP_3)
	v_max_f32_e32 v1, v1, v3
	v_cndmask_b32_e64 v3, v53, v71, s4
	v_cmp_gt_i32_e64 s4, 32, v72
	ds_bpermute_b32 v2, v2, v1
	s_waitcnt lgkmcnt(0)
	v_dual_max_f32 v2, v2, v2 :: v_dual_lshlrev_b32 v3, 2, v3
	s_delay_alu instid0(VALU_DEP_1) | instskip(SKIP_4) | instid1(VALU_DEP_2)
	v_max_f32_e32 v1, v1, v2
	ds_bpermute_b32 v2, v3, v1
	v_cndmask_b32_e64 v3, v53, v72, s4
	v_cmp_gt_i32_e64 s4, 32, v73
	s_waitcnt lgkmcnt(0)
	v_dual_max_f32 v2, v2, v2 :: v_dual_lshlrev_b32 v3, 2, v3
	s_delay_alu instid0(VALU_DEP_1) | instskip(SKIP_4) | instid1(VALU_DEP_2)
	v_max_f32_e32 v1, v1, v2
	ds_bpermute_b32 v2, v3, v1
	v_cndmask_b32_e64 v3, v53, v73, s4
	v_cmp_gt_i32_e64 s4, 32, v74
	s_waitcnt lgkmcnt(0)
	v_dual_max_f32 v2, v2, v2 :: v_dual_lshlrev_b32 v3, 2, v3
	s_delay_alu instid0(VALU_DEP_1) | instskip(SKIP_3) | instid1(VALU_DEP_1)
	v_max_f32_e32 v1, v1, v2
	ds_bpermute_b32 v2, v3, v1
	v_cndmask_b32_e64 v3, v53, v74, s4
	s_waitcnt lgkmcnt(0)
	v_dual_max_f32 v2, v2, v2 :: v_dual_lshlrev_b32 v3, 2, v3
	s_delay_alu instid0(VALU_DEP_1) | instskip(SKIP_3) | instid1(VALU_DEP_1)
	v_max_f32_e32 v1, v1, v2
	ds_bpermute_b32 v2, v3, v1
	s_waitcnt lgkmcnt(0)
	v_max_f32_e32 v2, v2, v2
	v_max_f32_e32 v50, v1, v2
	s_delay_alu instid0(VALU_DEP_1) | instskip(NEXT) | instid1(VALU_DEP_1)
	v_sub_f32_e32 v0, v0, v50
	v_mul_f32_e32 v1, 0x3fb8aa3b, v0
	s_delay_alu instid0(VALU_DEP_1) | instskip(SKIP_1) | instid1(VALU_DEP_1)
	v_fma_f32 v2, 0x3fb8aa3b, v0, -v1
	v_rndne_f32_e32 v3, v1
	v_dual_sub_f32 v1, v1, v3 :: v_dual_fmac_f32 v2, 0x32a5705f, v0
	v_cmp_ngt_f32_e64 s4, 0xc2ce8ed0, v0
	s_delay_alu instid0(VALU_DEP_2) | instskip(SKIP_1) | instid1(VALU_DEP_2)
	v_add_f32_e32 v1, v1, v2
	v_cvt_i32_f32_e32 v2, v3
	v_exp_f32_e32 v1, v1
	s_waitcnt_depctr 0xfff
	v_ldexp_f32 v1, v1, v2
	s_delay_alu instid0(VALU_DEP_1) | instskip(SKIP_1) | instid1(VALU_DEP_1)
	v_cndmask_b32_e64 v1, 0, v1, s4
	v_cmp_nlt_f32_e64 s4, 0x42b17218, v0
	v_cndmask_b32_e64 v76, 0x7f800000, v1, s4
	s_mul_i32 s4, s16, s17
	s_delay_alu instid0(SALU_CYCLE_1) | instskip(NEXT) | instid1(VALU_DEP_1)
	s_lshl_b64 s[26:27], s[4:5], 2
	v_cvt_f16_f32_e32 v0, v76
	s_add_u32 s5, s7, s26
	s_addc_u32 s6, s20, s27
	ds_store_b16 v63, v0
	s_and_saveexec_b32 s21, s3
	s_cbranch_execz .LBB30_17
; %bb.16:                               ;   in Loop: Header=BB30_11 Depth=1
	v_add_co_u32 v0, s4, s5, v46
	s_delay_alu instid0(VALU_DEP_1) | instskip(NEXT) | instid1(VALU_DEP_2)
	v_add_co_ci_u32_e64 v1, s4, s6, v47, s4
	v_add_co_u32 v0, s4, v0, v79
	s_delay_alu instid0(VALU_DEP_1)
	v_add_co_ci_u32_e64 v1, s4, 0, v1, s4
	global_load_b128 v[0:3], v[0:1], off offset:128
	s_waitcnt vmcnt(0)
	ds_store_b128 v65, v[0:3]
.LBB30_17:                              ;   in Loop: Header=BB30_11 Depth=1
	s_or_b32 exec_lo, exec_lo, s21
	v_add_co_u32 v0, s4, s5, v48
	s_delay_alu instid0(VALU_DEP_1) | instskip(SKIP_1) | instid1(VALU_DEP_3)
	v_add_co_ci_u32_e64 v1, s4, s6, v49, s4
	v_dual_sub_f32 v75, v75, v50 :: v_dual_add_nc_u32 v78, 0x400, v64
	v_add_co_u32 v0, s4, v0, v68
	s_delay_alu instid0(VALU_DEP_1)
	v_add_co_ci_u32_e64 v1, s4, 0, v1, s4
	v_add_nc_u32_e32 v77, 0x800, v64
	s_or_b32 s6, s16, 16
	v_cmp_ngt_f32_e64 s4, 0xc2ce8ed0, v75
	global_load_b128 v[0:3], v[0:1], off
	s_mul_hi_i32 s27, s6, s17
	s_mul_i32 s26, s6, s17
	v_cmp_nlt_f32_e64 s5, 0x42b17218, v75
	s_lshl_b64 s[26:27], s[26:27], 2
	s_delay_alu instid0(SALU_CYCLE_1)
	s_add_u32 s21, s7, s26
	s_addc_u32 s23, s20, s27
	s_waitcnt vmcnt(0)
	ds_store_b128 v66, v[0:3]
	s_waitcnt lgkmcnt(0)
	s_barrier
	buffer_gl0_inv
	ds_load_2addr_b64 v[36:39], v64 offset1:20
	ds_load_b128 v[16:19], v61
	ds_load_b128 v[0:3], v61 offset:16
	ds_load_2addr_b64 v[32:35], v64 offset0:40 offset1:60
	ds_load_2addr_b64 v[28:31], v64 offset0:80 offset1:100
	;; [unrolled: 1-line block ×7, first 2 shown]
	s_waitcnt lgkmcnt(0)
	s_barrier
	buffer_gl0_inv
	s_and_saveexec_b32 s26, s3
	s_cbranch_execz .LBB30_19
; %bb.18:                               ;   in Loop: Header=BB30_11 Depth=1
	v_add_co_u32 v80, s6, s21, v46
	s_delay_alu instid0(VALU_DEP_1) | instskip(NEXT) | instid1(VALU_DEP_2)
	v_add_co_ci_u32_e64 v81, s6, s23, v47, s6
	v_add_co_u32 v79, s6, v80, v79
	s_delay_alu instid0(VALU_DEP_1)
	v_add_co_ci_u32_e64 v80, s6, 0, v81, s6
	global_load_b128 v[79:82], v[79:80], off offset:128
	s_waitcnt vmcnt(0)
	ds_store_b128 v65, v[79:82]
.LBB30_19:                              ;   in Loop: Header=BB30_11 Depth=1
	s_or_b32 exec_lo, exec_lo, s26
	v_add_co_u32 v79, s6, s21, v48
	s_delay_alu instid0(VALU_DEP_1) | instskip(SKIP_1) | instid1(VALU_DEP_3)
	v_add_co_ci_u32_e64 v80, s6, s23, v49, s6
	v_mul_f32_e32 v83, 0x3fb8aa3b, v75
	v_add_co_u32 v79, s6, v79, v68
	s_delay_alu instid0(VALU_DEP_1) | instskip(NEXT) | instid1(VALU_DEP_3)
	v_add_co_ci_u32_e64 v80, s6, 0, v80, s6
	v_fma_f32 v84, 0x3fb8aa3b, v75, -v83
	v_rndne_f32_e32 v85, v83
	v_pk_mul_f16 v36, v36, v16 op_sel_hi:[1,0]
	global_load_b128 v[79:82], v[79:80], off
	v_pk_mul_f16 v37, v37, v16 op_sel_hi:[1,0]
	v_dual_fmac_f32 v84, 0x32a5705f, v75 :: v_dual_sub_f32 v75, v83, v85
	v_cvt_i32_f32_e32 v83, v85
	s_delay_alu instid0(VALU_DEP_2) | instskip(NEXT) | instid1(VALU_DEP_1)
	v_add_f32_e32 v75, v75, v84
	v_exp_f32_e32 v75, v75
	s_waitcnt_depctr 0xfff
	v_ldexp_f32 v75, v75, v83
	s_delay_alu instid0(VALU_DEP_1) | instskip(NEXT) | instid1(VALU_DEP_1)
	v_cndmask_b32_e64 v75, 0, v75, s4
	v_cndmask_b32_e64 v75, 0x7f800000, v75, s5
	s_delay_alu instid0(VALU_DEP_1) | instskip(SKIP_1) | instid1(VALU_DEP_2)
	v_cvt_f16_f32_e32 v83, v75
	v_fmac_f32_e32 v76, v69, v75
	v_pk_fma_f16 v36, v54, v83, v36 op_sel_hi:[1,0,1]
	v_pk_fma_f16 v37, v56, v83, v37 op_sel_hi:[1,0,1]
	s_delay_alu instid0(VALU_DEP_2) | instskip(NEXT) | instid1(VALU_DEP_2)
	v_pk_fma_f16 v36, v38, v16, v36 op_sel:[0,1,0]
	v_pk_fma_f16 v16, v39, v16, v37 op_sel:[0,1,0]
	s_delay_alu instid0(VALU_DEP_2) | instskip(NEXT) | instid1(VALU_DEP_2)
	v_pk_fma_f16 v32, v32, v17, v36 op_sel_hi:[1,0,1]
	v_pk_fma_f16 v16, v33, v17, v16 op_sel_hi:[1,0,1]
	s_delay_alu instid0(VALU_DEP_2) | instskip(NEXT) | instid1(VALU_DEP_2)
	v_pk_fma_f16 v32, v34, v17, v32 op_sel:[0,1,0]
	v_pk_fma_f16 v16, v35, v17, v16 op_sel:[0,1,0]
	s_delay_alu instid0(VALU_DEP_2) | instskip(NEXT) | instid1(VALU_DEP_2)
	;; [unrolled: 6-line block ×7, first 2 shown]
	v_pk_fma_f16 v1, v4, v3, v1 op_sel_hi:[1,0,1]
	v_pk_fma_f16 v0, v5, v3, v0 op_sel_hi:[1,0,1]
	s_delay_alu instid0(VALU_DEP_2) | instskip(NEXT) | instid1(VALU_DEP_2)
	v_pk_fma_f16 v20, v6, v3, v1 op_sel:[0,1,0]
	v_pk_fma_f16 v21, v7, v3, v0 op_sel:[0,1,0]
	s_waitcnt vmcnt(0)
	ds_store_b128 v66, v[79:82]
	s_waitcnt lgkmcnt(0)
	s_barrier
	buffer_gl0_inv
	ds_load_2addr_b64 v[12:15], v64 offset1:20
	ds_load_b128 v[16:19], v61 offset:32
	ds_load_2addr_b64 v[8:11], v64 offset0:40 offset1:60
	ds_load_b128 v[0:3], v61 offset:48
	ds_load_2addr_b64 v[4:7], v64 offset0:80 offset1:100
	s_waitcnt lgkmcnt(3)
	v_pk_fma_f16 v12, v12, v16, v20 op_sel_hi:[1,0,1]
	v_pk_fma_f16 v13, v13, v16, v21 op_sel_hi:[1,0,1]
	s_delay_alu instid0(VALU_DEP_2) | instskip(NEXT) | instid1(VALU_DEP_2)
	v_pk_fma_f16 v20, v14, v16, v12 op_sel:[0,1,0]
	v_pk_fma_f16 v16, v15, v16, v13 op_sel:[0,1,0]
	ds_load_2addr_b64 v[12:15], v64 offset0:120 offset1:140
	s_waitcnt lgkmcnt(3)
	v_pk_fma_f16 v8, v8, v17, v20 op_sel_hi:[1,0,1]
	v_pk_fma_f16 v9, v9, v17, v16 op_sel_hi:[1,0,1]
	s_delay_alu instid0(VALU_DEP_2) | instskip(NEXT) | instid1(VALU_DEP_2)
	v_pk_fma_f16 v16, v10, v17, v8 op_sel:[0,1,0]
	v_pk_fma_f16 v17, v11, v17, v9 op_sel:[0,1,0]
	;; [unrolled: 7-line block ×5, first 2 shown]
	ds_load_2addr_b64 v[8:11], v77 offset0:24 offset1:44
	s_waitcnt lgkmcnt(0)
	s_barrier
	v_pk_fma_f16 v4, v4, v1, v16 op_sel_hi:[1,0,1]
	v_pk_fma_f16 v0, v5, v1, v0 op_sel_hi:[1,0,1]
	buffer_gl0_inv
	s_load_b32 s4, s[8:9], 0x4
	v_pk_fma_f16 v4, v6, v1, v4 op_sel:[0,1,0]
	v_pk_fma_f16 v0, v7, v1, v0 op_sel:[0,1,0]
	s_delay_alu instid0(VALU_DEP_2) | instskip(NEXT) | instid1(VALU_DEP_2)
	v_pk_fma_f16 v1, v12, v2, v4 op_sel_hi:[1,0,1]
	v_pk_fma_f16 v0, v13, v2, v0 op_sel_hi:[1,0,1]
	s_delay_alu instid0(VALU_DEP_2) | instskip(NEXT) | instid1(VALU_DEP_2)
	v_pk_fma_f16 v1, v14, v2, v1 op_sel:[0,1,0]
	v_pk_fma_f16 v0, v15, v2, v0 op_sel:[0,1,0]
	s_delay_alu instid0(VALU_DEP_2) | instskip(NEXT) | instid1(VALU_DEP_2)
	v_pk_fma_f16 v1, v8, v3, v1 op_sel_hi:[1,0,1]
	v_pk_fma_f16 v0, v9, v3, v0 op_sel_hi:[1,0,1]
	s_waitcnt lgkmcnt(0)
	s_lshl_b32 s4, s4, 5
	s_delay_alu instid0(VALU_DEP_2) | instskip(NEXT) | instid1(VALU_DEP_2)
	v_pk_fma_f16 v54, v10, v3, v1 op_sel:[0,1,0]
	v_pk_fma_f16 v56, v11, v3, v0 op_sel:[0,1,0]
	s_add_i32 s16, s4, s16
	s_delay_alu instid0(SALU_CYCLE_1)
	s_cmp_lt_i32 s16, s34
	s_cbranch_scc0 .LBB30_21
; %bb.20:                               ;   in Loop: Header=BB30_11 Depth=1
	v_mov_b32_e32 v75, v50
	v_mov_b32_e32 v69, v76
	s_branch .LBB30_11
.LBB30_21:
	v_mov_b32_e32 v3, v53
.LBB30_22:
	v_cmp_lt_i32_e32 vcc_lo, v70, v55
	s_cmp_eq_u64 s[24:25], 0
	s_cselect_b32 s3, -1, 0
	s_cmp_lg_u32 s14, 0
	v_cndmask_b32_e32 v0, v3, v70, vcc_lo
	v_cmp_lt_i32_e32 vcc_lo, v71, v55
	s_cselect_b32 s4, -1, 0
	s_delay_alu instid0(SALU_CYCLE_1) | instskip(SKIP_2) | instid1(VALU_DEP_2)
	s_or_b32 s3, s4, s3
	v_cndmask_b32_e32 v1, v3, v71, vcc_lo
	v_cmp_lt_i32_e32 vcc_lo, v72, v55
	v_lshlrev_b32_e32 v1, 2, v1
	v_lshlrev_b32_e32 v0, 2, v0
	v_cndmask_b32_e32 v2, v3, v72, vcc_lo
	v_cmp_lt_i32_e32 vcc_lo, v73, v55
	ds_bpermute_b32 v0, v0, v76
	v_lshlrev_b32_e32 v2, 2, v2
	s_waitcnt lgkmcnt(0)
	v_add_f32_e32 v0, v76, v0
	ds_bpermute_b32 v1, v1, v0
	s_waitcnt lgkmcnt(0)
	v_add_f32_e32 v0, v0, v1
	ds_bpermute_b32 v1, v2, v0
	v_cndmask_b32_e32 v2, v3, v73, vcc_lo
	v_cmp_lt_i32_e32 vcc_lo, v74, v55
	s_delay_alu instid0(VALU_DEP_2)
	v_lshlrev_b32_e32 v2, 2, v2
	s_waitcnt lgkmcnt(0)
	v_add_f32_e32 v0, v0, v1
	ds_bpermute_b32 v1, v2, v0
	v_cndmask_b32_e32 v2, v3, v74, vcc_lo
	s_and_b32 vcc_lo, exec_lo, s3
	s_waitcnt lgkmcnt(0)
	s_delay_alu instid0(VALU_DEP_1)
	v_dual_add_f32 v1, v0, v1 :: v_dual_lshlrev_b32 v2, 2, v2
	v_add_nc_u32_e32 v0, s15, v51
	ds_bpermute_b32 v2, v2, v1
	s_waitcnt lgkmcnt(0)
	v_add_f32_e32 v51, v1, v2
	s_cbranch_vccnz .LBB30_24
; %bb.23:
	v_ashrrev_i32_e32 v1, 31, v0
	s_delay_alu instid0(VALU_DEP_1) | instskip(NEXT) | instid1(VALU_DEP_1)
	v_lshlrev_b64 v[1:2], 2, v[0:1]
	v_add_co_u32 v1, vcc_lo, s24, v1
	s_delay_alu instid0(VALU_DEP_2) | instskip(SKIP_3) | instid1(VALU_DEP_1)
	v_add_co_ci_u32_e32 v2, vcc_lo, s25, v2, vcc_lo
	global_load_b32 v1, v[1:2], off
	s_waitcnt vmcnt(0)
	v_dual_max_f32 v2, v50, v50 :: v_dual_max_f32 v3, v1, v1
	v_max_f32_e32 v2, v2, v3
	s_delay_alu instid0(VALU_DEP_1) | instskip(NEXT) | instid1(VALU_DEP_1)
	v_sub_f32_e32 v1, v1, v2
	v_mul_f32_e32 v5, 0x3fb8aa3b, v1
	v_sub_f32_e32 v3, v50, v2
	v_mov_b32_e32 v50, v2
	s_delay_alu instid0(VALU_DEP_3) | instskip(NEXT) | instid1(VALU_DEP_3)
	v_rndne_f32_e32 v9, v5
	v_mul_f32_e32 v4, 0x3fb8aa3b, v3
	v_fma_f32 v8, 0x3fb8aa3b, v1, -v5
	s_delay_alu instid0(VALU_DEP_3) | instskip(NEXT) | instid1(VALU_DEP_3)
	v_sub_f32_e32 v5, v5, v9
	v_fma_f32 v6, 0x3fb8aa3b, v3, -v4
	v_rndne_f32_e32 v7, v4
	s_delay_alu instid0(VALU_DEP_4) | instskip(NEXT) | instid1(VALU_DEP_2)
	v_fmac_f32_e32 v8, 0x32a5705f, v1
	v_sub_f32_e32 v4, v4, v7
	s_delay_alu instid0(VALU_DEP_2) | instskip(SKIP_1) | instid1(VALU_DEP_2)
	v_dual_fmac_f32 v6, 0x32a5705f, v3 :: v_dual_add_f32 v5, v5, v8
	v_cmp_ngt_f32_e32 vcc_lo, 0xc2ce8ed0, v3
	v_add_f32_e32 v4, v4, v6
	s_delay_alu instid0(VALU_DEP_3) | instskip(SKIP_2) | instid1(VALU_DEP_3)
	v_exp_f32_e32 v5, v5
	v_cvt_i32_f32_e32 v6, v7
	v_cvt_i32_f32_e32 v7, v9
	v_exp_f32_e32 v4, v4
	s_waitcnt_depctr 0xfff
	v_ldexp_f32 v5, v5, v7
	v_ldexp_f32 v4, v4, v6
	s_delay_alu instid0(VALU_DEP_1) | instskip(SKIP_1) | instid1(VALU_DEP_4)
	v_cndmask_b32_e32 v4, 0, v4, vcc_lo
	v_cmp_ngt_f32_e32 vcc_lo, 0xc2ce8ed0, v1
	v_cndmask_b32_e32 v5, 0, v5, vcc_lo
	v_cmp_nlt_f32_e32 vcc_lo, 0x42b17218, v3
	s_delay_alu instid0(VALU_DEP_4) | instskip(SKIP_1) | instid1(VALU_DEP_2)
	v_cndmask_b32_e32 v3, 0x7f800000, v4, vcc_lo
	v_cmp_nlt_f32_e32 vcc_lo, 0x42b17218, v1
	v_cvt_f16_f32_e32 v4, v3
	v_cndmask_b32_e32 v1, 0x7f800000, v5, vcc_lo
	s_delay_alu instid0(VALU_DEP_2) | instskip(NEXT) | instid1(VALU_DEP_2)
	v_pk_mul_f16 v54, v4, v54 op_sel_hi:[0,1]
	v_fmac_f32_e32 v1, v51, v3
	v_pk_mul_f16 v56, v4, v56 op_sel_hi:[0,1]
	s_delay_alu instid0(VALU_DEP_2)
	v_mov_b32_e32 v51, v1
.LBB30_24:
	s_load_b32 s0, s[0:1], 0xd4
	s_mul_i32 s12, s12, s10
	s_delay_alu instid0(SALU_CYCLE_1) | instskip(NEXT) | instid1(VALU_DEP_1)
	v_add3_u32 v1, s12, s13, v52
	v_mad_u64_u32 v[2:3], null, v1, s11, v[0:1]
	s_waitcnt lgkmcnt(0)
	s_delay_alu instid0(VALU_DEP_1)
	v_mad_u64_u32 v[0:1], null, s0, v2, s[14:15]
	s_cmp_lg_u32 s0, 1
	s_cselect_b32 s0, -1, 0
	s_and_saveexec_b32 s1, s2
	s_cbranch_execz .LBB30_26
; %bb.25:
	v_div_scale_f32 v1, null, v51, v51, 1.0
	v_div_scale_f32 v4, vcc_lo, 1.0, v51, 1.0
	v_lshrrev_b32_e32 v6, 16, v54
	s_delay_alu instid0(VALU_DEP_3) | instskip(SKIP_1) | instid1(VALU_DEP_2)
	v_rcp_f32_e32 v2, v1
	v_cvt_f32_f16_e32 v9, v54
	v_cvt_f32_f16_e32 v8, v6
	s_waitcnt_depctr 0xfff
	v_fma_f32 v3, -v1, v2, 1.0
	s_delay_alu instid0(VALU_DEP_1) | instskip(NEXT) | instid1(VALU_DEP_1)
	v_fmac_f32_e32 v2, v3, v2
	v_mul_f32_e32 v3, v4, v2
	s_delay_alu instid0(VALU_DEP_1) | instskip(NEXT) | instid1(VALU_DEP_1)
	v_fma_f32 v5, -v1, v3, v4
	v_fmac_f32_e32 v3, v5, v2
	s_delay_alu instid0(VALU_DEP_1) | instskip(SKIP_1) | instid1(VALU_DEP_2)
	v_fma_f32 v1, -v1, v3, v4
	v_lshrrev_b32_e32 v4, 16, v56
	v_div_fmas_f32 v1, v1, v2, v3
	v_mul_lo_u32 v3, 0x50, v0
	v_mov_b32_e32 v2, 0
	s_delay_alu instid0(VALU_DEP_4) | instskip(NEXT) | instid1(VALU_DEP_4)
	v_cvt_f32_f16_e32 v4, v4
	v_div_fixup_f32 v5, v1, v51, 1.0
	s_delay_alu instid0(VALU_DEP_4) | instskip(NEXT) | instid1(VALU_DEP_2)
	v_lshl_add_u32 v1, v40, 2, v3
	v_cndmask_b32_e64 v7, v5, 1.0, s0
	v_cvt_f32_f16_e32 v3, v56
	s_delay_alu instid0(VALU_DEP_3) | instskip(NEXT) | instid1(VALU_DEP_3)
	v_lshlrev_b64 v[5:6], 2, v[1:2]
	v_mul_f32_e32 v4, v7, v4
	s_delay_alu instid0(VALU_DEP_3)
	v_mul_f32_e32 v3, v7, v3
	v_mul_f32_e32 v2, v7, v8
	v_mul_f32_e32 v1, v7, v9
	v_add_co_u32 v5, vcc_lo, s28, v5
	v_add_co_ci_u32_e32 v6, vcc_lo, s29, v6, vcc_lo
	global_store_b128 v[5:6], v[1:4], off
.LBB30_26:
	s_or_b32 exec_lo, exec_lo, s1
	v_cmp_eq_u32_e32 vcc_lo, 0, v40
	s_and_b32 s0, vcc_lo, s0
	s_delay_alu instid0(SALU_CYCLE_1)
	s_and_saveexec_b32 s1, s0
	s_cbranch_execz .LBB30_28
; %bb.27:
	v_ashrrev_i32_e32 v1, 31, v0
	s_delay_alu instid0(VALU_DEP_1) | instskip(NEXT) | instid1(VALU_DEP_1)
	v_lshlrev_b64 v[0:1], 3, v[0:1]
	v_add_co_u32 v0, vcc_lo, s30, v0
	s_delay_alu instid0(VALU_DEP_2)
	v_add_co_ci_u32_e32 v1, vcc_lo, s31, v1, vcc_lo
	global_store_b64 v[0:1], v[50:51], off
.LBB30_28:
	s_nop 0
	s_sendmsg sendmsg(MSG_DEALLOC_VGPRS)
	s_endpgm
	.section	.rodata,"a",@progbits
	.p2align	6, 0x0
	.amdhsa_kernel _ZL15flash_attn_tileILi80ELi80ELi1ELi4ELb0EEvPKcS1_S1_S1_S1_PKiPfP15HIP_vector_typeIfLj2EEffffjfiS5_IjLj3EEiiiiiiiiiiiliiliiiiil
		.amdhsa_group_segment_fixed_size 4160
		.amdhsa_private_segment_fixed_size 0
		.amdhsa_kernarg_size 464
		.amdhsa_user_sgpr_count 13
		.amdhsa_user_sgpr_dispatch_ptr 0
		.amdhsa_user_sgpr_queue_ptr 0
		.amdhsa_user_sgpr_kernarg_segment_ptr 1
		.amdhsa_user_sgpr_dispatch_id 0
		.amdhsa_user_sgpr_private_segment_size 0
		.amdhsa_wavefront_size32 1
		.amdhsa_uses_dynamic_stack 0
		.amdhsa_enable_private_segment 0
		.amdhsa_system_sgpr_workgroup_id_x 1
		.amdhsa_system_sgpr_workgroup_id_y 1
		.amdhsa_system_sgpr_workgroup_id_z 1
		.amdhsa_system_sgpr_workgroup_info 0
		.amdhsa_system_vgpr_workitem_id 1
		.amdhsa_next_free_vgpr 86
		.amdhsa_next_free_sgpr 44
		.amdhsa_reserve_vcc 1
		.amdhsa_float_round_mode_32 0
		.amdhsa_float_round_mode_16_64 0
		.amdhsa_float_denorm_mode_32 3
		.amdhsa_float_denorm_mode_16_64 3
		.amdhsa_dx10_clamp 1
		.amdhsa_ieee_mode 1
		.amdhsa_fp16_overflow 0
		.amdhsa_workgroup_processor_mode 1
		.amdhsa_memory_ordered 1
		.amdhsa_forward_progress 0
		.amdhsa_shared_vgpr_count 0
		.amdhsa_exception_fp_ieee_invalid_op 0
		.amdhsa_exception_fp_denorm_src 0
		.amdhsa_exception_fp_ieee_div_zero 0
		.amdhsa_exception_fp_ieee_overflow 0
		.amdhsa_exception_fp_ieee_underflow 0
		.amdhsa_exception_fp_ieee_inexact 0
		.amdhsa_exception_int_div_zero 0
	.end_amdhsa_kernel
	.section	.text._ZL15flash_attn_tileILi80ELi80ELi1ELi4ELb0EEvPKcS1_S1_S1_S1_PKiPfP15HIP_vector_typeIfLj2EEffffjfiS5_IjLj3EEiiiiiiiiiiiliiliiiiil,"axG",@progbits,_ZL15flash_attn_tileILi80ELi80ELi1ELi4ELb0EEvPKcS1_S1_S1_S1_PKiPfP15HIP_vector_typeIfLj2EEffffjfiS5_IjLj3EEiiiiiiiiiiiliiliiiiil,comdat
.Lfunc_end30:
	.size	_ZL15flash_attn_tileILi80ELi80ELi1ELi4ELb0EEvPKcS1_S1_S1_S1_PKiPfP15HIP_vector_typeIfLj2EEffffjfiS5_IjLj3EEiiiiiiiiiiiliiliiiiil, .Lfunc_end30-_ZL15flash_attn_tileILi80ELi80ELi1ELi4ELb0EEvPKcS1_S1_S1_S1_PKiPfP15HIP_vector_typeIfLj2EEffffjfiS5_IjLj3EEiiiiiiiiiiiliiliiiiil
                                        ; -- End function
	.section	.AMDGPU.csdata,"",@progbits
; Kernel info:
; codeLenInByte = 5628
; NumSgprs: 46
; NumVgprs: 86
; ScratchSize: 0
; MemoryBound: 0
; FloatMode: 240
; IeeeMode: 1
; LDSByteSize: 4160 bytes/workgroup (compile time only)
; SGPRBlocks: 5
; VGPRBlocks: 10
; NumSGPRsForWavesPerEU: 46
; NumVGPRsForWavesPerEU: 86
; Occupancy: 16
; WaveLimiterHint : 1
; COMPUTE_PGM_RSRC2:SCRATCH_EN: 0
; COMPUTE_PGM_RSRC2:USER_SGPR: 13
; COMPUTE_PGM_RSRC2:TRAP_HANDLER: 0
; COMPUTE_PGM_RSRC2:TGID_X_EN: 1
; COMPUTE_PGM_RSRC2:TGID_Y_EN: 1
; COMPUTE_PGM_RSRC2:TGID_Z_EN: 1
; COMPUTE_PGM_RSRC2:TIDIG_COMP_CNT: 1
	.section	.text._ZL33flash_attn_stream_k_fixup_uniformILi80ELi1ELi4EEvPfPK15HIP_vector_typeIfLj2EEiiiiiiS1_IjLj3EES5_S5_,"axG",@progbits,_ZL33flash_attn_stream_k_fixup_uniformILi80ELi1ELi4EEvPfPK15HIP_vector_typeIfLj2EEiiiiiiS1_IjLj3EES5_S5_,comdat
	.globl	_ZL33flash_attn_stream_k_fixup_uniformILi80ELi1ELi4EEvPfPK15HIP_vector_typeIfLj2EEiiiiiiS1_IjLj3EES5_S5_ ; -- Begin function _ZL33flash_attn_stream_k_fixup_uniformILi80ELi1ELi4EEvPfPK15HIP_vector_typeIfLj2EEiiiiiiS1_IjLj3EES5_S5_
	.p2align	8
	.type	_ZL33flash_attn_stream_k_fixup_uniformILi80ELi1ELi4EEvPfPK15HIP_vector_typeIfLj2EEiiiiiiS1_IjLj3EES5_S5_,@function
_ZL33flash_attn_stream_k_fixup_uniformILi80ELi1ELi4EEvPfPK15HIP_vector_typeIfLj2EEiiiiiiS1_IjLj3EES5_S5_: ; @_ZL33flash_attn_stream_k_fixup_uniformILi80ELi1ELi4EEvPfPK15HIP_vector_typeIfLj2EEiiiiiiS1_IjLj3EES5_S5_
; %bb.0:
	s_clause 0x1
	s_load_b256 s[4:11], s[0:1], 0x1c
	s_load_b128 s[16:19], s[0:1], 0x3c
	s_waitcnt lgkmcnt(0)
	s_mul_hi_u32 s2, s7, s13
	s_delay_alu instid0(SALU_CYCLE_1) | instskip(NEXT) | instid1(SALU_CYCLE_1)
	s_add_i32 s2, s13, s2
	s_lshr_b32 s7, s2, s8
	s_delay_alu instid0(SALU_CYCLE_1) | instskip(NEXT) | instid1(SALU_CYCLE_1)
	s_mul_i32 s2, s7, s9
	s_sub_i32 s9, s13, s2
	s_load_b64 s[2:3], s[0:1], 0x10
	s_mul_hi_u32 s8, s9, s10
	s_delay_alu instid0(SALU_CYCLE_1) | instskip(NEXT) | instid1(SALU_CYCLE_1)
	s_add_i32 s8, s9, s8
	s_lshr_b32 s8, s8, s11
	s_delay_alu instid0(SALU_CYCLE_1) | instskip(NEXT) | instid1(SALU_CYCLE_1)
	s_mul_i32 s10, s8, s16
	s_sub_i32 s9, s9, s10
	s_delay_alu instid0(SALU_CYCLE_1) | instskip(NEXT) | instid1(SALU_CYCLE_1)
	s_mul_hi_u32 s10, s9, s17
	s_add_i32 s10, s9, s10
	s_delay_alu instid0(SALU_CYCLE_1) | instskip(NEXT) | instid1(SALU_CYCLE_1)
	s_lshr_b32 s10, s10, s18
	s_mul_i32 s11, s10, s19
	s_lshl_b32 s10, s10, 2
	s_sub_i32 s9, s9, s11
	s_delay_alu instid0(SALU_CYCLE_1) | instskip(SKIP_4) | instid1(SALU_CYCLE_1)
	s_add_i32 s9, s9, s14
	s_waitcnt lgkmcnt(0)
	s_cmp_lt_i32 s9, s2
	s_cselect_b32 s11, -1, 0
	s_add_i32 s10, s10, s15
	s_cmp_lt_i32 s10, s5
	s_cselect_b32 s12, -1, 0
	s_delay_alu instid0(SALU_CYCLE_1) | instskip(NEXT) | instid1(SALU_CYCLE_1)
	s_and_b32 s11, s11, s12
	s_and_not1_b32 vcc_lo, exec_lo, s11
	s_cbranch_vccnz .LBB31_6
; %bb.1:
	s_mul_i32 s7, s7, s2
	s_mul_i32 s8, s8, s5
	s_add_i32 s2, s9, s7
	s_add_i32 s5, s10, s8
	s_mul_i32 s7, s2, s3
	s_load_b128 s[0:3], s[0:1], 0x0
	s_add_i32 s5, s5, s7
	s_delay_alu instid0(SALU_CYCLE_1) | instskip(SKIP_1) | instid1(SALU_CYCLE_1)
	v_mad_u64_u32 v[1:2], null, 0x50, s5, v[0:1]
	s_mul_i32 s5, s13, s6
	s_add_i32 s9, s5, s6
	s_delay_alu instid0(VALU_DEP_1) | instskip(NEXT) | instid1(VALU_DEP_1)
	v_ashrrev_i32_e32 v2, 31, v1
	v_lshlrev_b64 v[1:2], 2, v[1:2]
	s_waitcnt lgkmcnt(0)
	s_delay_alu instid0(VALU_DEP_1) | instskip(NEXT) | instid1(VALU_DEP_2)
	v_add_co_u32 v1, vcc_lo, s0, v1
	v_add_co_ci_u32_e32 v2, vcc_lo, s1, v2, vcc_lo
	s_add_i32 s0, s14, s9
	s_delay_alu instid0(SALU_CYCLE_1) | instskip(SKIP_2) | instid1(SALU_CYCLE_1)
	s_lshl_b32 s0, s0, 2
	global_load_b32 v5, v[1:2], off
	s_add_i32 s0, s0, s15
	s_add_i32 s0, s0, -4
	s_delay_alu instid0(SALU_CYCLE_1) | instskip(NEXT) | instid1(SALU_CYCLE_1)
	s_ashr_i32 s1, s0, 31
	s_lshl_b64 s[0:1], s[0:1], 3
	s_delay_alu instid0(SALU_CYCLE_1)
	s_add_u32 s0, s2, s0
	s_addc_u32 s1, s3, s1
	s_add_i32 s7, s9, -2
	s_load_b32 s10, s[0:1], 0x4
	s_cmp_lt_i32 s7, s5
	s_cbranch_scc1 .LBB31_4
; %bb.2:
	s_load_b32 s11, s[0:1], 0x0
	s_lshl_b32 s16, s4, 4
	s_waitcnt lgkmcnt(0)
	v_mov_b32_e32 v6, s10
	s_ashr_i32 s17, s16, 31
	s_delay_alu instid0(SALU_CYCLE_1) | instskip(NEXT) | instid1(SALU_CYCLE_1)
	s_lshl_b64 s[0:1], s[16:17], 2
	s_add_u32 s7, s2, s0
	s_addc_u32 s8, s3, s1
	s_add_i32 s13, s13, 1
	s_mul_i32 s1, s14, 0x140
	s_mul_i32 s0, s6, s13
	;; [unrolled: 1-line block ×3, first 2 shown]
	s_add_i32 s4, s14, s4
	s_mulk_i32 s0, 0x140
	s_add_i32 s1, s6, s1
	s_add_i32 s4, s4, s9
	;; [unrolled: 1-line block ×3, first 2 shown]
	s_lshl_b32 s0, s4, 2
	v_add3_u32 v3, s1, v0, 0xfffffd80
	v_mov_b32_e32 v0, s11
	s_add_i32 s0, s15, s0
	s_add_i32 s4, s9, -1
	s_add_i32 s0, s0, -8
.LBB31_3:                               ; =>This Inner Loop Header: Depth=1
	s_delay_alu instid0(VALU_DEP_2) | instskip(SKIP_1) | instid1(SALU_CYCLE_1)
	v_ashrrev_i32_e32 v4, 31, v3
	s_ashr_i32 s1, s0, 31
	s_lshl_b64 s[10:11], s[0:1], 3
	s_delay_alu instid0(SALU_CYCLE_1) | instskip(NEXT) | instid1(VALU_DEP_1)
	s_add_u32 s10, s2, s10
	v_lshlrev_b64 v[7:8], 2, v[3:4]
	s_addc_u32 s11, s3, s11
	s_add_i32 s4, s4, -1
	s_add_i32 s0, s0, -4
	s_cmp_le_i32 s4, s5
	s_load_b64 s[10:11], s[10:11], 0x0
	v_add_co_u32 v7, vcc_lo, s7, v7
	v_add_co_ci_u32_e32 v8, vcc_lo, s8, v8, vcc_lo
	global_load_b32 v4, v[7:8], off
	v_max_f32_e32 v7, v0, v0
	s_waitcnt lgkmcnt(0)
	v_max_f32_e64 v8, s10, s10
	s_delay_alu instid0(VALU_DEP_1) | instskip(NEXT) | instid1(VALU_DEP_1)
	v_max_f32_e32 v7, v7, v8
	v_sub_f32_e32 v8, s10, v7
	s_delay_alu instid0(VALU_DEP_1) | instskip(NEXT) | instid1(VALU_DEP_1)
	v_dual_sub_f32 v0, v0, v7 :: v_dual_mul_f32 v9, 0x3fb8aa3b, v8
	v_fma_f32 v10, 0x3fb8aa3b, v8, -v9
	v_rndne_f32_e32 v11, v9
	s_delay_alu instid0(VALU_DEP_3) | instskip(NEXT) | instid1(VALU_DEP_2)
	v_mul_f32_e32 v12, 0x3fb8aa3b, v0
	v_dual_fmac_f32 v10, 0x32a5705f, v8 :: v_dual_sub_f32 v9, v9, v11
	v_cvt_i32_f32_e32 v11, v11
	s_delay_alu instid0(VALU_DEP_3) | instskip(SKIP_1) | instid1(VALU_DEP_4)
	v_fma_f32 v13, 0x3fb8aa3b, v0, -v12
	v_rndne_f32_e32 v14, v12
	v_add_f32_e32 v9, v9, v10
	v_cmp_ngt_f32_e32 vcc_lo, 0xc2ce8ed0, v8
	s_delay_alu instid0(VALU_DEP_3) | instskip(NEXT) | instid1(VALU_DEP_3)
	v_sub_f32_e32 v10, v12, v14
	v_exp_f32_e32 v9, v9
	s_waitcnt_depctr 0xfff
	v_ldexp_f32 v9, v9, v11
	v_cvt_i32_f32_e32 v11, v14
	s_delay_alu instid0(VALU_DEP_2) | instskip(SKIP_1) | instid1(VALU_DEP_2)
	v_cndmask_b32_e32 v9, 0, v9, vcc_lo
	v_cmp_nlt_f32_e32 vcc_lo, 0x42b17218, v8
	v_cndmask_b32_e32 v9, 0x7f800000, v9, vcc_lo
	v_cmp_ngt_f32_e32 vcc_lo, 0xc2ce8ed0, v0
	v_fmac_f32_e32 v13, 0x32a5705f, v0
	s_delay_alu instid0(VALU_DEP_1) | instskip(NEXT) | instid1(VALU_DEP_1)
	v_add_f32_e32 v10, v10, v13
	v_exp_f32_e32 v10, v10
	s_waitcnt_depctr 0xfff
	v_ldexp_f32 v10, v10, v11
	s_delay_alu instid0(VALU_DEP_1)
	v_dual_mov_b32 v11, v6 :: v_dual_cndmask_b32 v10, 0, v10
	v_cmp_le_f32_e32 vcc_lo, 0xc1a00000, v8
	s_waitcnt vmcnt(1)
	v_dual_cndmask_b32 v8, 0, v9 :: v_dual_mov_b32 v9, v5
	v_cmp_nlt_f32_e32 vcc_lo, 0x42b17218, v0
	v_cndmask_b32_e32 v5, 0x7f800000, v10, vcc_lo
	s_delay_alu instid0(VALU_DEP_3) | instskip(SKIP_2) | instid1(VALU_DEP_3)
	v_mul_f32_e32 v10, s11, v8
	v_cmp_le_f32_e32 vcc_lo, 0xc1a00000, v0
	v_mov_b32_e32 v0, v7
	v_mov_b32_e32 v6, v10
	s_waitcnt vmcnt(0)
	v_dual_cndmask_b32 v12, 0, v5 :: v_dual_mul_f32 v5, v4, v8
	s_delay_alu instid0(VALU_DEP_1) | instskip(NEXT) | instid1(VALU_DEP_2)
	v_dual_fmac_f32 v6, v11, v12 :: v_dual_add_nc_u32 v3, 0xfffffec0, v3
	v_fmac_f32_e32 v5, v9, v12
	s_cbranch_scc0 .LBB31_3
	s_branch .LBB31_5
.LBB31_4:
	s_waitcnt lgkmcnt(0)
	v_mov_b32_e32 v6, s10
.LBB31_5:
	s_waitcnt vmcnt(0)
	s_delay_alu instid0(VALU_DEP_1) | instskip(NEXT) | instid1(VALU_DEP_1)
	v_div_scale_f32 v0, null, v6, v6, v5
	v_rcp_f32_e32 v3, v0
	s_waitcnt_depctr 0xfff
	v_fma_f32 v4, -v0, v3, 1.0
	s_delay_alu instid0(VALU_DEP_1) | instskip(SKIP_1) | instid1(VALU_DEP_1)
	v_fmac_f32_e32 v3, v4, v3
	v_div_scale_f32 v4, vcc_lo, v5, v6, v5
	v_mul_f32_e32 v7, v4, v3
	s_delay_alu instid0(VALU_DEP_1) | instskip(NEXT) | instid1(VALU_DEP_1)
	v_fma_f32 v8, -v0, v7, v4
	v_fmac_f32_e32 v7, v8, v3
	s_delay_alu instid0(VALU_DEP_1) | instskip(NEXT) | instid1(VALU_DEP_1)
	v_fma_f32 v0, -v0, v7, v4
	v_div_fmas_f32 v0, v0, v3, v7
	s_delay_alu instid0(VALU_DEP_1)
	v_div_fixup_f32 v0, v0, v6, v5
	global_store_b32 v[1:2], v0, off
.LBB31_6:
	s_nop 0
	s_sendmsg sendmsg(MSG_DEALLOC_VGPRS)
	s_endpgm
	.section	.rodata,"a",@progbits
	.p2align	6, 0x0
	.amdhsa_kernel _ZL33flash_attn_stream_k_fixup_uniformILi80ELi1ELi4EEvPfPK15HIP_vector_typeIfLj2EEiiiiiiS1_IjLj3EES5_S5_
		.amdhsa_group_segment_fixed_size 0
		.amdhsa_private_segment_fixed_size 0
		.amdhsa_kernarg_size 76
		.amdhsa_user_sgpr_count 13
		.amdhsa_user_sgpr_dispatch_ptr 0
		.amdhsa_user_sgpr_queue_ptr 0
		.amdhsa_user_sgpr_kernarg_segment_ptr 1
		.amdhsa_user_sgpr_dispatch_id 0
		.amdhsa_user_sgpr_private_segment_size 0
		.amdhsa_wavefront_size32 1
		.amdhsa_uses_dynamic_stack 0
		.amdhsa_enable_private_segment 0
		.amdhsa_system_sgpr_workgroup_id_x 1
		.amdhsa_system_sgpr_workgroup_id_y 1
		.amdhsa_system_sgpr_workgroup_id_z 1
		.amdhsa_system_sgpr_workgroup_info 0
		.amdhsa_system_vgpr_workitem_id 0
		.amdhsa_next_free_vgpr 15
		.amdhsa_next_free_sgpr 20
		.amdhsa_reserve_vcc 1
		.amdhsa_float_round_mode_32 0
		.amdhsa_float_round_mode_16_64 0
		.amdhsa_float_denorm_mode_32 3
		.amdhsa_float_denorm_mode_16_64 3
		.amdhsa_dx10_clamp 1
		.amdhsa_ieee_mode 1
		.amdhsa_fp16_overflow 0
		.amdhsa_workgroup_processor_mode 1
		.amdhsa_memory_ordered 1
		.amdhsa_forward_progress 0
		.amdhsa_shared_vgpr_count 0
		.amdhsa_exception_fp_ieee_invalid_op 0
		.amdhsa_exception_fp_denorm_src 0
		.amdhsa_exception_fp_ieee_div_zero 0
		.amdhsa_exception_fp_ieee_overflow 0
		.amdhsa_exception_fp_ieee_underflow 0
		.amdhsa_exception_fp_ieee_inexact 0
		.amdhsa_exception_int_div_zero 0
	.end_amdhsa_kernel
	.section	.text._ZL33flash_attn_stream_k_fixup_uniformILi80ELi1ELi4EEvPfPK15HIP_vector_typeIfLj2EEiiiiiiS1_IjLj3EES5_S5_,"axG",@progbits,_ZL33flash_attn_stream_k_fixup_uniformILi80ELi1ELi4EEvPfPK15HIP_vector_typeIfLj2EEiiiiiiS1_IjLj3EES5_S5_,comdat
.Lfunc_end31:
	.size	_ZL33flash_attn_stream_k_fixup_uniformILi80ELi1ELi4EEvPfPK15HIP_vector_typeIfLj2EEiiiiiiS1_IjLj3EES5_S5_, .Lfunc_end31-_ZL33flash_attn_stream_k_fixup_uniformILi80ELi1ELi4EEvPfPK15HIP_vector_typeIfLj2EEiiiiiiS1_IjLj3EES5_S5_
                                        ; -- End function
	.section	.AMDGPU.csdata,"",@progbits
; Kernel info:
; codeLenInByte = 976
; NumSgprs: 22
; NumVgprs: 15
; ScratchSize: 0
; MemoryBound: 0
; FloatMode: 240
; IeeeMode: 1
; LDSByteSize: 0 bytes/workgroup (compile time only)
; SGPRBlocks: 2
; VGPRBlocks: 1
; NumSGPRsForWavesPerEU: 22
; NumVGPRsForWavesPerEU: 15
; Occupancy: 16
; WaveLimiterHint : 0
; COMPUTE_PGM_RSRC2:SCRATCH_EN: 0
; COMPUTE_PGM_RSRC2:USER_SGPR: 13
; COMPUTE_PGM_RSRC2:TRAP_HANDLER: 0
; COMPUTE_PGM_RSRC2:TGID_X_EN: 1
; COMPUTE_PGM_RSRC2:TGID_Y_EN: 1
; COMPUTE_PGM_RSRC2:TGID_Z_EN: 1
; COMPUTE_PGM_RSRC2:TIDIG_COMP_CNT: 0
	.section	.text._ZL33flash_attn_stream_k_fixup_generalILi80ELi1ELi4EEvPfPK15HIP_vector_typeIfLj2EEiiiiS1_IjLj3EES5_S5_S5_,"axG",@progbits,_ZL33flash_attn_stream_k_fixup_generalILi80ELi1ELi4EEvPfPK15HIP_vector_typeIfLj2EEiiiiS1_IjLj3EES5_S5_S5_,comdat
	.globl	_ZL33flash_attn_stream_k_fixup_generalILi80ELi1ELi4EEvPfPK15HIP_vector_typeIfLj2EEiiiiS1_IjLj3EES5_S5_S5_ ; -- Begin function _ZL33flash_attn_stream_k_fixup_generalILi80ELi1ELi4EEvPfPK15HIP_vector_typeIfLj2EEiiiiS1_IjLj3EES5_S5_S5_
	.p2align	8
	.type	_ZL33flash_attn_stream_k_fixup_generalILi80ELi1ELi4EEvPfPK15HIP_vector_typeIfLj2EEiiiiS1_IjLj3EES5_S5_S5_,@function
_ZL33flash_attn_stream_k_fixup_generalILi80ELi1ELi4EEvPfPK15HIP_vector_typeIfLj2EEiiiiS1_IjLj3EES5_S5_S5_: ; @_ZL33flash_attn_stream_k_fixup_generalILi80ELi1ELi4EEvPfPK15HIP_vector_typeIfLj2EEiiiiS1_IjLj3EES5_S5_S5_
; %bb.0:
	s_clause 0x1
	s_load_b128 s[4:7], s[0:1], 0x10
	s_load_b32 s20, s[0:1], 0x50
	s_mov_b32 s2, 0
	s_waitcnt lgkmcnt(0)
	s_mul_hi_i32 s3, s7, s13
	s_mul_i32 s12, s7, s13
	s_cmp_lg_u64 s[2:3], 0
	s_cbranch_scc0 .LBB32_21
; %bb.1:
	v_cvt_f32_ubyte0_e32 v1, 0
	v_cvt_f32_u32_e32 v2, s20
	s_sub_u32 s10, 0, s20
	s_subb_u32 s11, 0, 0
	s_delay_alu instid0(VALU_DEP_1) | instskip(NEXT) | instid1(VALU_DEP_1)
	v_fmamk_f32 v1, v1, 0x4f800000, v2
	v_rcp_f32_e32 v1, v1
	s_waitcnt_depctr 0xfff
	v_mul_f32_e32 v1, 0x5f7ffffc, v1
	s_delay_alu instid0(VALU_DEP_1) | instskip(NEXT) | instid1(VALU_DEP_1)
	v_mul_f32_e32 v2, 0x2f800000, v1
	v_trunc_f32_e32 v2, v2
	s_delay_alu instid0(VALU_DEP_1) | instskip(SKIP_1) | instid1(VALU_DEP_2)
	v_fmamk_f32 v1, v2, 0xcf800000, v1
	v_cvt_u32_f32_e32 v2, v2
	v_cvt_u32_f32_e32 v1, v1
	s_delay_alu instid0(VALU_DEP_2) | instskip(NEXT) | instid1(VALU_DEP_2)
	v_readfirstlane_b32 s8, v2
	v_readfirstlane_b32 s9, v1
	s_delay_alu instid0(VALU_DEP_2) | instskip(NEXT) | instid1(VALU_DEP_1)
	s_mul_i32 s16, s10, s8
	s_mul_hi_u32 s18, s10, s9
	s_mul_i32 s17, s11, s9
	s_add_i32 s16, s18, s16
	s_mul_i32 s19, s10, s9
	s_add_i32 s16, s16, s17
	s_mul_hi_u32 s18, s9, s19
	s_mul_hi_u32 s21, s8, s19
	s_mul_i32 s17, s8, s19
	s_mul_hi_u32 s19, s9, s16
	s_mul_i32 s9, s9, s16
	s_mul_hi_u32 s22, s8, s16
	s_add_u32 s9, s18, s9
	s_addc_u32 s18, 0, s19
	s_add_u32 s9, s9, s17
	s_mul_i32 s16, s8, s16
	s_addc_u32 s9, s18, s21
	s_addc_u32 s17, s22, 0
	s_add_u32 s9, s9, s16
	s_addc_u32 s16, 0, s17
	v_add_co_u32 v1, s9, v1, s9
	s_delay_alu instid0(VALU_DEP_1) | instskip(SKIP_1) | instid1(VALU_DEP_1)
	s_cmp_lg_u32 s9, 0
	s_addc_u32 s8, s8, s16
	v_readfirstlane_b32 s9, v1
	s_mul_i32 s16, s10, s8
	s_delay_alu instid0(VALU_DEP_1)
	s_mul_hi_u32 s17, s10, s9
	s_mul_i32 s11, s11, s9
	s_add_i32 s16, s17, s16
	s_mul_i32 s10, s10, s9
	s_add_i32 s16, s16, s11
	s_mul_hi_u32 s17, s8, s10
	s_mul_i32 s18, s8, s10
	s_mul_hi_u32 s10, s9, s10
	s_mul_hi_u32 s19, s9, s16
	s_mul_i32 s9, s9, s16
	s_mul_hi_u32 s11, s8, s16
	s_add_u32 s9, s10, s9
	s_addc_u32 s10, 0, s19
	s_add_u32 s9, s9, s18
	s_mul_i32 s16, s8, s16
	s_addc_u32 s9, s10, s17
	s_addc_u32 s10, s11, 0
	s_add_u32 s9, s9, s16
	s_addc_u32 s10, 0, s10
	v_add_co_u32 v1, s9, v1, s9
	s_delay_alu instid0(VALU_DEP_1) | instskip(SKIP_2) | instid1(SALU_CYCLE_1)
	s_cmp_lg_u32 s9, 0
	s_addc_u32 s16, s8, s10
	s_ashr_i32 s8, s3, 31
	s_add_u32 s10, s12, s8
	s_addc_u32 s11, s3, s8
	v_readfirstlane_b32 s3, v1
	s_mov_b32 s9, s8
	s_delay_alu instid0(SALU_CYCLE_1) | instskip(NEXT) | instid1(SALU_CYCLE_1)
	s_xor_b64 s[10:11], s[10:11], s[8:9]
	s_mul_i32 s18, s10, s16
	s_delay_alu instid0(VALU_DEP_1)
	s_mul_hi_u32 s19, s10, s3
	s_mul_hi_u32 s17, s10, s16
	;; [unrolled: 1-line block ×3, first 2 shown]
	s_mul_i32 s3, s11, s3
	s_add_u32 s18, s19, s18
	s_addc_u32 s17, 0, s17
	s_mul_hi_u32 s21, s11, s16
	s_add_u32 s3, s18, s3
	s_mul_i32 s16, s11, s16
	s_addc_u32 s3, s17, s22
	s_addc_u32 s17, s21, 0
	s_add_u32 s3, s3, s16
	s_addc_u32 s16, 0, s17
	s_mul_i32 s18, s20, s3
	s_add_u32 s17, s3, 1
	v_sub_co_u32 v1, s10, s10, s18
	s_mul_hi_u32 s18, s20, s3
	s_addc_u32 s19, s16, 0
	s_mul_i32 s21, s20, s16
	s_delay_alu instid0(VALU_DEP_1)
	v_sub_co_u32 v2, s22, v1, s20
	s_add_u32 s23, s3, 2
	s_addc_u32 s24, s16, 0
	s_add_i32 s18, s18, s21
	s_cmp_lg_u32 s10, 0
	v_readfirstlane_b32 s10, v2
	s_subb_u32 s11, s11, s18
	s_cmp_lg_u32 s22, 0
	s_subb_u32 s18, s11, 0
	s_delay_alu instid0(VALU_DEP_1) | instskip(SKIP_4) | instid1(SALU_CYCLE_1)
	s_cmp_ge_u32 s10, s20
	s_cselect_b32 s10, -1, 0
	s_cmp_eq_u32 s18, 0
	v_readfirstlane_b32 s18, v1
	s_cselect_b32 s10, s10, -1
	s_cmp_lg_u32 s10, 0
	s_cselect_b32 s10, s23, s17
	s_cselect_b32 s17, s24, s19
	s_cmp_ge_u32 s18, s20
	s_cselect_b32 s18, -1, 0
	s_cmp_eq_u32 s11, 0
	s_cselect_b32 s11, s18, -1
	s_delay_alu instid0(SALU_CYCLE_1) | instskip(SKIP_2) | instid1(SALU_CYCLE_1)
	s_cmp_lg_u32 s11, 0
	s_cselect_b32 s11, s17, s16
	s_cselect_b32 s10, s10, s3
	s_xor_b64 s[10:11], s[10:11], s[8:9]
	s_delay_alu instid0(SALU_CYCLE_1)
	s_sub_u32 s16, s10, s8
	s_load_b128 s[8:11], s[0:1], 0x44
	s_and_not1_b32 vcc_lo, exec_lo, s2
	s_cbranch_vccnz .LBB32_3
.LBB32_2:
	v_cvt_f32_u32_e32 v1, s20
	s_sub_i32 s3, 0, s20
	s_delay_alu instid0(VALU_DEP_1) | instskip(SKIP_2) | instid1(VALU_DEP_1)
	v_rcp_iflag_f32_e32 v1, v1
	s_waitcnt_depctr 0xfff
	v_mul_f32_e32 v1, 0x4f7ffffe, v1
	v_cvt_u32_f32_e32 v1, v1
	s_delay_alu instid0(VALU_DEP_1) | instskip(NEXT) | instid1(VALU_DEP_1)
	v_readfirstlane_b32 s2, v1
	s_mul_i32 s3, s3, s2
	s_delay_alu instid0(SALU_CYCLE_1) | instskip(NEXT) | instid1(SALU_CYCLE_1)
	s_mul_hi_u32 s3, s2, s3
	s_add_i32 s2, s2, s3
	s_delay_alu instid0(SALU_CYCLE_1) | instskip(NEXT) | instid1(SALU_CYCLE_1)
	s_mul_hi_u32 s2, s12, s2
	s_mul_i32 s3, s2, s20
	s_waitcnt lgkmcnt(0)
	s_add_i32 s11, s2, 1
	s_sub_i32 s3, s12, s3
	s_delay_alu instid0(SALU_CYCLE_1)
	s_sub_i32 s12, s3, s20
	s_cmp_ge_u32 s3, s20
	s_cselect_b32 s2, s11, s2
	s_cselect_b32 s3, s12, s3
	s_add_i32 s11, s2, 1
	s_cmp_ge_u32 s3, s20
	s_cselect_b32 s16, s11, s2
.LBB32_3:
	s_waitcnt lgkmcnt(0)
	s_add_i32 s11, s13, 1
	s_mov_b32 s2, 0
	s_mul_hi_i32 s3, s7, s11
	s_mul_i32 s11, s7, s11
	s_cmp_lg_u64 s[2:3], 0
	s_cbranch_scc0 .LBB32_22
; %bb.4:
	v_cvt_f32_ubyte0_e32 v1, 0
	v_cvt_f32_u32_e32 v2, s20
	s_sub_u32 s18, 0, s20
	s_subb_u32 s19, 0, 0
	s_delay_alu instid0(VALU_DEP_1) | instskip(NEXT) | instid1(VALU_DEP_1)
	v_fmamk_f32 v1, v1, 0x4f800000, v2
	v_rcp_f32_e32 v1, v1
	s_waitcnt_depctr 0xfff
	v_mul_f32_e32 v1, 0x5f7ffffc, v1
	s_delay_alu instid0(VALU_DEP_1) | instskip(NEXT) | instid1(VALU_DEP_1)
	v_mul_f32_e32 v2, 0x2f800000, v1
	v_trunc_f32_e32 v2, v2
	s_delay_alu instid0(VALU_DEP_1) | instskip(SKIP_1) | instid1(VALU_DEP_2)
	v_fmamk_f32 v1, v2, 0xcf800000, v1
	v_cvt_u32_f32_e32 v2, v2
	v_cvt_u32_f32_e32 v1, v1
	s_delay_alu instid0(VALU_DEP_2) | instskip(NEXT) | instid1(VALU_DEP_2)
	v_readfirstlane_b32 s12, v2
	v_readfirstlane_b32 s17, v1
	s_delay_alu instid0(VALU_DEP_2) | instskip(NEXT) | instid1(VALU_DEP_1)
	s_mul_i32 s21, s18, s12
	s_mul_hi_u32 s23, s18, s17
	s_mul_i32 s22, s19, s17
	s_add_i32 s21, s23, s21
	s_mul_i32 s24, s18, s17
	s_add_i32 s21, s21, s22
	s_mul_hi_u32 s23, s17, s24
	s_mul_hi_u32 s25, s12, s24
	s_mul_i32 s22, s12, s24
	s_mul_hi_u32 s24, s17, s21
	s_mul_i32 s17, s17, s21
	s_mul_hi_u32 s26, s12, s21
	s_add_u32 s17, s23, s17
	s_addc_u32 s23, 0, s24
	s_add_u32 s17, s17, s22
	s_mul_i32 s21, s12, s21
	s_addc_u32 s17, s23, s25
	s_addc_u32 s22, s26, 0
	s_add_u32 s17, s17, s21
	s_addc_u32 s21, 0, s22
	v_add_co_u32 v1, s17, v1, s17
	s_delay_alu instid0(VALU_DEP_1) | instskip(SKIP_1) | instid1(VALU_DEP_1)
	s_cmp_lg_u32 s17, 0
	s_addc_u32 s12, s12, s21
	v_readfirstlane_b32 s17, v1
	s_mul_i32 s21, s18, s12
	s_delay_alu instid0(VALU_DEP_1)
	s_mul_hi_u32 s22, s18, s17
	s_mul_i32 s19, s19, s17
	s_add_i32 s21, s22, s21
	s_mul_i32 s18, s18, s17
	s_add_i32 s21, s21, s19
	s_mul_hi_u32 s22, s12, s18
	s_mul_i32 s23, s12, s18
	s_mul_hi_u32 s18, s17, s18
	s_mul_hi_u32 s24, s17, s21
	s_mul_i32 s17, s17, s21
	s_mul_hi_u32 s19, s12, s21
	s_add_u32 s17, s18, s17
	s_addc_u32 s18, 0, s24
	s_add_u32 s17, s17, s23
	s_mul_i32 s21, s12, s21
	s_addc_u32 s17, s18, s22
	s_addc_u32 s18, s19, 0
	s_add_u32 s17, s17, s21
	s_addc_u32 s18, 0, s18
	v_add_co_u32 v1, s17, v1, s17
	s_delay_alu instid0(VALU_DEP_1) | instskip(SKIP_2) | instid1(SALU_CYCLE_1)
	s_cmp_lg_u32 s17, 0
	s_addc_u32 s12, s12, s18
	s_ashr_i32 s18, s3, 31
	s_add_u32 s22, s11, s18
	s_addc_u32 s23, s3, s18
	v_readfirstlane_b32 s3, v1
	s_mov_b32 s19, s18
	s_delay_alu instid0(SALU_CYCLE_1) | instskip(NEXT) | instid1(SALU_CYCLE_1)
	s_xor_b64 s[22:23], s[22:23], s[18:19]
	s_mul_i32 s21, s22, s12
	s_delay_alu instid0(VALU_DEP_1)
	s_mul_hi_u32 s24, s22, s3
	s_mul_hi_u32 s17, s22, s12
	;; [unrolled: 1-line block ×3, first 2 shown]
	s_mul_i32 s3, s23, s3
	s_add_u32 s21, s24, s21
	s_addc_u32 s17, 0, s17
	s_mul_hi_u32 s25, s23, s12
	s_add_u32 s3, s21, s3
	s_mul_i32 s12, s23, s12
	s_addc_u32 s3, s17, s26
	s_addc_u32 s17, s25, 0
	s_add_u32 s3, s3, s12
	s_addc_u32 s12, 0, s17
	s_mul_i32 s21, s20, s3
	s_add_u32 s17, s3, 1
	v_sub_co_u32 v1, s21, s22, s21
	s_mul_hi_u32 s22, s20, s3
	s_addc_u32 s24, s12, 0
	s_mul_i32 s25, s20, s12
	s_delay_alu instid0(VALU_DEP_1)
	v_sub_co_u32 v2, s26, v1, s20
	s_add_u32 s27, s3, 2
	s_addc_u32 s28, s12, 0
	s_add_i32 s22, s22, s25
	s_cmp_lg_u32 s21, 0
	v_readfirstlane_b32 s21, v2
	s_subb_u32 s22, s23, s22
	s_cmp_lg_u32 s26, 0
	s_subb_u32 s23, s22, 0
	s_delay_alu instid0(VALU_DEP_1) | instskip(SKIP_4) | instid1(SALU_CYCLE_1)
	s_cmp_ge_u32 s21, s20
	s_cselect_b32 s21, -1, 0
	s_cmp_eq_u32 s23, 0
	v_readfirstlane_b32 s23, v1
	s_cselect_b32 s21, s21, -1
	s_cmp_lg_u32 s21, 0
	s_cselect_b32 s17, s27, s17
	s_cselect_b32 s21, s28, s24
	s_cmp_ge_u32 s23, s20
	s_cselect_b32 s23, -1, 0
	s_cmp_eq_u32 s22, 0
	s_cselect_b32 s22, s23, -1
	s_delay_alu instid0(SALU_CYCLE_1) | instskip(SKIP_2) | instid1(SALU_CYCLE_1)
	s_cmp_lg_u32 s22, 0
	s_cselect_b32 s23, s21, s12
	s_cselect_b32 s22, s17, s3
	s_xor_b64 s[22:23], s[22:23], s[18:19]
	s_delay_alu instid0(SALU_CYCLE_1)
	s_sub_u32 s18, s22, s18
	s_and_not1_b32 vcc_lo, exec_lo, s2
	s_cbranch_vccnz .LBB32_6
.LBB32_5:
	v_cvt_f32_u32_e32 v1, s20
	s_sub_i32 s3, 0, s20
	s_delay_alu instid0(VALU_DEP_1) | instskip(SKIP_2) | instid1(VALU_DEP_1)
	v_rcp_iflag_f32_e32 v1, v1
	s_waitcnt_depctr 0xfff
	v_mul_f32_e32 v1, 0x4f7ffffe, v1
	v_cvt_u32_f32_e32 v1, v1
	s_delay_alu instid0(VALU_DEP_1) | instskip(NEXT) | instid1(VALU_DEP_1)
	v_readfirstlane_b32 s2, v1
	s_mul_i32 s3, s3, s2
	s_delay_alu instid0(SALU_CYCLE_1) | instskip(NEXT) | instid1(SALU_CYCLE_1)
	s_mul_hi_u32 s3, s2, s3
	s_add_i32 s2, s2, s3
	s_delay_alu instid0(SALU_CYCLE_1) | instskip(NEXT) | instid1(SALU_CYCLE_1)
	s_mul_hi_u32 s2, s11, s2
	s_mul_i32 s3, s2, s20
	s_delay_alu instid0(SALU_CYCLE_1)
	s_sub_i32 s3, s11, s3
	s_add_i32 s11, s2, 1
	s_sub_i32 s12, s3, s20
	s_cmp_ge_u32 s3, s20
	s_cselect_b32 s2, s11, s2
	s_cselect_b32 s3, s12, s3
	s_add_i32 s11, s2, 1
	s_cmp_ge_u32 s3, s20
	s_cselect_b32 s18, s11, s2
.LBB32_6:
	s_delay_alu instid0(SALU_CYCLE_1) | instskip(SKIP_3) | instid1(SALU_CYCLE_1)
	s_cmp_eq_u32 s16, s18
	s_mul_hi_u32 s2, s16, s8
	s_cselect_b32 s3, -1, 0
	s_add_i32 s2, s2, s16
	s_lshr_b32 s11, s2, s9
	s_delay_alu instid0(SALU_CYCLE_1) | instskip(NEXT) | instid1(SALU_CYCLE_1)
	s_mul_i32 s2, s11, s10
	s_cmp_eq_u32 s2, s16
	s_mul_hi_u32 s2, s18, s8
	s_cselect_b32 s12, -1, 0
	s_add_i32 s2, s2, s18
	s_delay_alu instid0(SALU_CYCLE_1) | instskip(NEXT) | instid1(SALU_CYCLE_1)
	s_lshr_b32 s2, s2, s9
	s_cmp_eq_u32 s11, s2
	s_mul_i32 s2, s2, s10
	s_cselect_b32 s17, -1, 0
	s_cmp_lg_u32 s2, s18
	s_cselect_b32 s2, -1, 0
	s_or_b32 s3, s3, s12
	s_and_b32 s2, s17, s2
	s_delay_alu instid0(SALU_CYCLE_1) | instskip(NEXT) | instid1(SALU_CYCLE_1)
	s_or_b32 s2, s3, s2
	s_and_b32 vcc_lo, exec_lo, s2
	s_cbranch_vccnz .LBB32_24
; %bb.7:
	s_load_b256 s[24:31], s[0:1], 0x20
	s_waitcnt lgkmcnt(0)
	s_mul_hi_u32 s2, s16, s24
	s_delay_alu instid0(SALU_CYCLE_1) | instskip(NEXT) | instid1(SALU_CYCLE_1)
	s_add_i32 s2, s2, s16
	s_lshr_b32 s17, s2, s25
	s_load_b32 s2, s[0:1], 0x40
	s_mul_i32 s3, s17, s26
	s_delay_alu instid0(SALU_CYCLE_1) | instskip(NEXT) | instid1(SALU_CYCLE_1)
	s_sub_i32 s3, s16, s3
	s_mul_hi_u32 s12, s3, s27
	s_delay_alu instid0(SALU_CYCLE_1) | instskip(NEXT) | instid1(SALU_CYCLE_1)
	s_add_i32 s12, s3, s12
	s_lshr_b32 s18, s12, s28
	s_delay_alu instid0(SALU_CYCLE_1) | instskip(NEXT) | instid1(SALU_CYCLE_1)
	s_mul_i32 s12, s18, s29
	s_sub_i32 s3, s3, s12
	s_delay_alu instid0(SALU_CYCLE_1) | instskip(NEXT) | instid1(SALU_CYCLE_1)
	s_mul_hi_u32 s12, s3, s30
	s_add_i32 s12, s3, s12
	s_delay_alu instid0(SALU_CYCLE_1)
	s_lshr_b32 s12, s12, s31
	s_waitcnt lgkmcnt(0)
	s_mul_i32 s2, s12, s2
	s_lshl_b32 s21, s12, 2
	s_sub_i32 s2, s3, s2
	s_mov_b32 s12, 0
	s_mul_hi_u32 s3, s2, s8
	s_delay_alu instid0(SALU_CYCLE_1) | instskip(NEXT) | instid1(SALU_CYCLE_1)
	s_add_i32 s2, s2, s3
	s_lshr_b32 s19, s2, s9
	s_delay_alu instid0(SALU_CYCLE_1) | instskip(NEXT) | instid1(SALU_CYCLE_1)
	s_add_i32 s19, s19, s14
	s_cmp_lt_i32 s19, s4
	s_cselect_b32 s2, -1, 0
	s_add_i32 s21, s21, s15
	s_delay_alu instid0(SALU_CYCLE_1) | instskip(SKIP_1) | instid1(SALU_CYCLE_1)
	s_cmp_lt_i32 s21, s6
	s_cselect_b32 s3, -1, 0
	s_and_b32 s2, s2, s3
	s_delay_alu instid0(SALU_CYCLE_1)
	s_and_not1_b32 vcc_lo, exec_lo, s2
	s_cbranch_vccnz .LBB32_24
; %bb.8:
	s_load_b128 s[0:3], s[0:1], 0x0
	s_lshl_b32 s22, s20, 4
	s_mov_b32 s23, s12
	s_lshl_b32 s24, s14, 2
	s_lshl_b64 s[22:23], s[22:23], 2
	s_mul_i32 s4, s17, s4
	s_add_i32 s24, s24, s15
	s_mul_i32 s18, s18, s6
	v_cvt_f32_ubyte0_e32 v3, 0
	v_cvt_f32_u32_e32 v4, s20
	s_waitcnt lgkmcnt(0)
	s_add_u32 s6, s2, s22
	s_addc_u32 s17, s3, s23
	s_add_i32 s4, s19, s4
	s_add_i32 s18, s21, s18
	s_mul_i32 s4, s4, s5
	s_delay_alu instid0(SALU_CYCLE_1) | instskip(NEXT) | instid1(SALU_CYCLE_1)
	s_add_i32 s18, s18, s4
	v_mad_u64_u32 v[1:2], null, 0x50, s18, v[0:1]
	s_delay_alu instid0(VALU_DEP_1) | instskip(NEXT) | instid1(VALU_DEP_1)
	v_ashrrev_i32_e32 v2, 31, v1
	v_lshlrev_b64 v[1:2], 2, v[1:2]
	s_delay_alu instid0(VALU_DEP_1) | instskip(NEXT) | instid1(VALU_DEP_2)
	v_add_co_u32 v1, vcc_lo, s0, v1
	v_add_co_ci_u32_e32 v2, vcc_lo, s1, v2, vcc_lo
	s_add_i32 s0, s14, s13
	s_delay_alu instid0(SALU_CYCLE_1) | instskip(SKIP_2) | instid1(SALU_CYCLE_1)
	s_lshl_b32 s0, s0, 2
	global_load_b32 v5, v[1:2], off
	s_add_i32 s0, s0, s15
	s_ashr_i32 s1, s0, 31
	s_delay_alu instid0(SALU_CYCLE_1) | instskip(NEXT) | instid1(SALU_CYCLE_1)
	s_lshl_b64 s[0:1], s[0:1], 3
	s_add_u32 s0, s2, s0
	s_addc_u32 s1, s3, s1
	s_add_i32 s19, s13, -1
	s_load_b64 s[0:1], s[0:1], 0x0
	v_fmamk_f32 v3, v3, 0x4f800000, v4
	v_cvt_f32_u32_e32 v4, s20
	s_add_i32 s14, s20, s14
	s_sub_i32 s18, 0, s20
	s_delay_alu instid0(VALU_DEP_1)
	v_rcp_iflag_f32_e32 v7, v4
	s_waitcnt_depctr 0xfff
	v_mul_f32_e32 v10, 0x4f7ffffe, v7
	s_waitcnt lgkmcnt(0)
	v_mov_b32_e32 v8, s0
	v_rcp_f32_e32 v3, v3
	v_mov_b32_e32 v7, s1
	s_waitcnt_depctr 0xfff
	v_mul_f32_e32 v3, 0x5f7ffffc, v3
	s_delay_alu instid0(VALU_DEP_1) | instskip(NEXT) | instid1(VALU_DEP_1)
	v_mul_f32_e32 v6, 0x2f800000, v3
	v_trunc_f32_e32 v6, v6
	s_delay_alu instid0(VALU_DEP_1) | instskip(SKIP_3) | instid1(VALU_DEP_4)
	v_fmamk_f32 v9, v6, 0xcf800000, v3
	v_mad_u64_u32 v[3:4], null, 0x50, s24, v[0:1]
	v_cvt_u32_f32_e32 v4, v6
	v_cvt_u32_f32_e32 v6, v10
	v_cvt_u32_f32_e32 v0, v9
.LBB32_9:                               ; =>This Inner Loop Header: Depth=1
	s_mul_hi_i32 s13, s19, s7
	s_mul_i32 s4, s19, s7
	s_cmp_lg_u64 s[12:13], 0
	s_mov_b32 s5, -1
                                        ; implicit-def: $sgpr0_sgpr1
	s_cbranch_scc0 .LBB32_11
; %bb.10:                               ;   in Loop: Header=BB32_9 Depth=1
	v_readfirstlane_b32 s0, v0
	v_readfirstlane_b32 s1, v4
	s_sub_u32 s5, 0, s20
	s_subb_u32 s21, 0, 0
	s_delay_alu instid0(VALU_DEP_2) | instskip(NEXT) | instid1(VALU_DEP_1)
	s_mul_hi_u32 s22, s5, s0
	s_mul_i32 s23, s5, s1
	s_mul_i32 s24, s21, s0
	s_add_i32 s22, s22, s23
	s_mul_i32 s23, s5, s0
	s_add_i32 s22, s22, s24
	s_mul_hi_u32 s24, s0, s23
	s_mul_i32 s25, s0, s22
	s_mul_hi_u32 s0, s0, s22
	s_add_u32 s24, s24, s25
	s_mul_i32 s26, s1, s23
	s_addc_u32 s0, 0, s0
	s_mul_hi_u32 s23, s1, s23
	s_mul_hi_u32 s25, s1, s22
	s_add_u32 s24, s24, s26
	s_addc_u32 s0, s0, s23
	s_mul_i32 s22, s1, s22
	s_addc_u32 s23, s25, 0
	s_add_u32 s0, s0, s22
	s_addc_u32 s22, 0, s23
	v_add_co_u32 v9, s0, v0, s0
	s_delay_alu instid0(VALU_DEP_1) | instskip(SKIP_1) | instid1(VALU_DEP_1)
	s_cmp_lg_u32 s0, 0
	s_addc_u32 s1, s1, s22
	v_readfirstlane_b32 s0, v9
	s_mul_i32 s22, s5, s1
	s_delay_alu instid0(VALU_DEP_1)
	s_mul_hi_u32 s23, s5, s0
	s_mul_i32 s21, s21, s0
	s_add_i32 s22, s23, s22
	s_mul_i32 s5, s5, s0
	s_add_i32 s22, s22, s21
	s_mul_hi_u32 s21, s1, s5
	s_mul_i32 s24, s1, s5
	s_mul_i32 s25, s0, s22
	s_mul_hi_u32 s5, s0, s5
	s_mul_hi_u32 s0, s0, s22
	s_add_u32 s5, s5, s25
	s_addc_u32 s0, 0, s0
	s_mul_hi_u32 s23, s1, s22
	s_add_u32 s5, s5, s24
	s_addc_u32 s0, s0, s21
	s_mul_i32 s5, s1, s22
	s_addc_u32 s21, s23, 0
	s_add_u32 s0, s0, s5
	s_addc_u32 s5, 0, s21
	v_add_co_u32 v9, s0, v9, s0
	s_delay_alu instid0(VALU_DEP_1) | instskip(SKIP_2) | instid1(SALU_CYCLE_1)
	s_cmp_lg_u32 s0, 0
	s_addc_u32 s5, s1, s5
	s_ashr_i32 s0, s13, 31
	s_add_u32 s22, s4, s0
	s_addc_u32 s23, s13, s0
	v_readfirstlane_b32 s13, v9
	s_mov_b32 s1, s0
	s_delay_alu instid0(SALU_CYCLE_1) | instskip(NEXT) | instid1(SALU_CYCLE_1)
	s_xor_b64 s[22:23], s[22:23], s[0:1]
	s_mul_i32 s21, s22, s5
	s_delay_alu instid0(VALU_DEP_1)
	s_mul_hi_u32 s24, s22, s13
	s_mul_hi_u32 s25, s22, s5
	s_add_u32 s21, s24, s21
	s_mul_i32 s26, s23, s13
	s_addc_u32 s24, 0, s25
	s_mul_hi_u32 s13, s23, s13
	s_mul_hi_u32 s25, s23, s5
	s_add_u32 s21, s21, s26
	s_addc_u32 s13, s24, s13
	s_mul_i32 s5, s23, s5
	s_addc_u32 s21, s25, 0
	s_add_u32 s5, s13, s5
	s_addc_u32 s13, 0, s21
	s_mul_i32 s24, s20, s5
	s_add_u32 s21, s5, 1
	v_sub_co_u32 v9, s22, s22, s24
	s_addc_u32 s24, s13, 0
	s_mul_i32 s26, s20, s13
	s_mul_hi_u32 s28, s20, s5
	s_delay_alu instid0(VALU_DEP_1)
	v_sub_co_u32 v10, s27, v9, s20
	s_add_u32 s25, s5, 2
	s_addc_u32 s29, s13, 0
	s_add_i32 s28, s28, s26
	s_cmp_lg_u32 s22, 0
	v_readfirstlane_b32 s22, v10
	s_subb_u32 s23, s23, s28
	s_cmp_lg_u32 s27, 0
	s_subb_u32 s26, s23, 0
	s_delay_alu instid0(VALU_DEP_1) | instskip(SKIP_4) | instid1(SALU_CYCLE_1)
	s_cmp_ge_u32 s22, s20
	s_cselect_b32 s22, -1, 0
	s_cmp_eq_u32 s26, 0
	v_readfirstlane_b32 s26, v9
	s_cselect_b32 s22, s22, -1
	s_cmp_lg_u32 s22, 0
	s_cselect_b32 s21, s25, s21
	s_cselect_b32 s22, s29, s24
	s_cmp_ge_u32 s26, s20
	s_cselect_b32 s24, -1, 0
	s_cmp_eq_u32 s23, 0
	s_cselect_b32 s23, s24, -1
	s_delay_alu instid0(SALU_CYCLE_1) | instskip(SKIP_4) | instid1(SALU_CYCLE_1)
	s_cmp_lg_u32 s23, 0
	s_cselect_b32 s23, s22, s13
	s_cselect_b32 s22, s21, s5
	s_mov_b32 s5, 0
	s_xor_b64 s[22:23], s[22:23], s[0:1]
	s_sub_u32 s0, s22, s0
.LBB32_11:                              ;   in Loop: Header=BB32_9 Depth=1
	s_and_not1_b32 vcc_lo, exec_lo, s5
	s_cbranch_vccnz .LBB32_13
; %bb.12:                               ;   in Loop: Header=BB32_9 Depth=1
	v_readfirstlane_b32 s0, v6
	s_delay_alu instid0(VALU_DEP_1) | instskip(NEXT) | instid1(SALU_CYCLE_1)
	s_mul_i32 s1, s18, s0
	s_mul_hi_u32 s1, s0, s1
	s_delay_alu instid0(SALU_CYCLE_1) | instskip(NEXT) | instid1(SALU_CYCLE_1)
	s_add_i32 s0, s0, s1
	s_mul_hi_u32 s0, s4, s0
	s_delay_alu instid0(SALU_CYCLE_1) | instskip(NEXT) | instid1(SALU_CYCLE_1)
	s_mul_i32 s1, s0, s20
	s_sub_i32 s1, s4, s1
	s_add_i32 s4, s0, 1
	s_sub_i32 s5, s1, s20
	s_cmp_ge_u32 s1, s20
	s_cselect_b32 s0, s4, s0
	s_cselect_b32 s1, s5, s1
	s_add_i32 s4, s0, 1
	s_cmp_ge_u32 s1, s20
	s_cselect_b32 s0, s4, s0
.LBB32_13:                              ;   in Loop: Header=BB32_9 Depth=1
	s_delay_alu instid0(SALU_CYCLE_1)
	s_cmp_lg_u32 s16, s0
	s_cbranch_scc0 .LBB32_17
; %bb.14:                               ;   in Loop: Header=BB32_9 Depth=1
	s_add_i32 s1, s14, s19
	s_mov_b32 s5, s12
	s_lshl_b32 s1, s1, 2
	s_mov_b32 s21, s16
	s_add_i32 s4, s1, s15
	s_mul_hi_u32 s1, s0, s8
	s_lshl_b64 s[4:5], s[4:5], 3
	s_delay_alu instid0(SALU_CYCLE_1) | instskip(SKIP_2) | instid1(SALU_CYCLE_1)
	s_add_u32 s4, s2, s4
	s_addc_u32 s5, s3, s5
	s_add_i32 s1, s1, s0
	s_lshr_b32 s1, s1, s9
	s_delay_alu instid0(SALU_CYCLE_1) | instskip(NEXT) | instid1(SALU_CYCLE_1)
	s_mul_i32 s13, s1, s10
	s_cmp_eq_u32 s13, s0
	s_cselect_b32 s13, -1, 0
	s_cmp_lt_u32 s1, s11
	s_cselect_b32 s1, -1, 0
	s_delay_alu instid0(SALU_CYCLE_1)
	s_or_b32 s1, s1, s13
	s_mov_b32 s13, -1
	s_and_b32 vcc_lo, exec_lo, s1
	s_mov_b32 s1, s19
	s_cbranch_vccnz .LBB32_16
; %bb.15:                               ;   in Loop: Header=BB32_9 Depth=1
	s_add_i32 s1, s19, -1
	s_mov_b32 s13, 0
	s_mov_b32 s21, s0
.LBB32_16:                              ;   in Loop: Header=BB32_9 Depth=1
	v_mad_u64_u32 v[9:10], null, 0x140, s19, v[3:4]
	s_load_b64 s[4:5], s[4:5], 0x0
	s_delay_alu instid0(VALU_DEP_1) | instskip(NEXT) | instid1(VALU_DEP_1)
	v_ashrrev_i32_e32 v10, 31, v9
	v_lshlrev_b64 v[9:10], 2, v[9:10]
	s_delay_alu instid0(VALU_DEP_1) | instskip(NEXT) | instid1(VALU_DEP_2)
	v_add_co_u32 v9, vcc_lo, s6, v9
	v_add_co_ci_u32_e32 v10, vcc_lo, s17, v10, vcc_lo
	s_waitcnt lgkmcnt(0)
	v_max_f32_e64 v11, s4, s4
	global_load_b32 v10, v[9:10], off
	v_max_f32_e32 v9, v8, v8
	s_delay_alu instid0(VALU_DEP_1) | instskip(NEXT) | instid1(VALU_DEP_1)
	v_max_f32_e32 v9, v9, v11
	v_sub_f32_e32 v12, v8, v9
	s_delay_alu instid0(VALU_DEP_1) | instskip(NEXT) | instid1(VALU_DEP_1)
	v_dual_mul_f32 v14, 0x3fb8aa3b, v12 :: v_dual_sub_f32 v11, s4, v9
	v_rndne_f32_e32 v18, v14
	s_delay_alu instid0(VALU_DEP_2) | instskip(SKIP_2) | instid1(VALU_DEP_4)
	v_mul_f32_e32 v13, 0x3fb8aa3b, v11
	v_fma_f32 v17, 0x3fb8aa3b, v12, -v14
	v_cmp_ngt_f32_e32 vcc_lo, 0xc2ce8ed0, v11
	v_sub_f32_e32 v14, v14, v18
	s_delay_alu instid0(VALU_DEP_4) | instskip(SKIP_2) | instid1(VALU_DEP_3)
	v_fma_f32 v15, 0x3fb8aa3b, v11, -v13
	v_rndne_f32_e32 v16, v13
	v_fmac_f32_e32 v17, 0x32a5705f, v12
	v_fmac_f32_e32 v15, 0x32a5705f, v11
	s_delay_alu instid0(VALU_DEP_2) | instskip(NEXT) | instid1(VALU_DEP_1)
	v_dual_sub_f32 v13, v13, v16 :: v_dual_add_f32 v14, v14, v17
	v_add_f32_e32 v13, v13, v15
	s_delay_alu instid0(VALU_DEP_2) | instskip(SKIP_2) | instid1(VALU_DEP_3)
	v_exp_f32_e32 v14, v14
	v_cvt_i32_f32_e32 v15, v16
	v_cvt_i32_f32_e32 v16, v18
	v_exp_f32_e32 v13, v13
	s_waitcnt_depctr 0xfff
	v_ldexp_f32 v14, v14, v16
	v_ldexp_f32 v13, v13, v15
	s_delay_alu instid0(VALU_DEP_1) | instskip(SKIP_1) | instid1(VALU_DEP_4)
	v_cndmask_b32_e32 v13, 0, v13, vcc_lo
	v_cmp_ngt_f32_e32 vcc_lo, 0xc2ce8ed0, v12
	v_cndmask_b32_e32 v14, 0, v14, vcc_lo
	v_cmp_nlt_f32_e32 vcc_lo, 0x42b17218, v11
	s_delay_alu instid0(VALU_DEP_4) | instskip(SKIP_1) | instid1(VALU_DEP_4)
	v_cndmask_b32_e32 v13, 0x7f800000, v13, vcc_lo
	v_cmp_nlt_f32_e32 vcc_lo, 0x42b17218, v12
	v_cndmask_b32_e32 v14, 0x7f800000, v14, vcc_lo
	v_cmp_le_f32_e32 vcc_lo, 0xc1a00000, v11
	s_delay_alu instid0(VALU_DEP_4) | instskip(SKIP_1) | instid1(VALU_DEP_4)
	v_cndmask_b32_e32 v11, 0, v13, vcc_lo
	v_cmp_le_f32_e32 vcc_lo, 0xc1a00000, v12
	v_cndmask_b32_e32 v12, 0, v14, vcc_lo
	s_waitcnt vmcnt(0)
	s_delay_alu instid0(VALU_DEP_3) | instskip(NEXT) | instid1(VALU_DEP_1)
	v_mul_f32_e32 v10, v10, v11
	v_dual_mul_f32 v11, s5, v11 :: v_dual_fmac_f32 v10, v5, v12
	s_delay_alu instid0(VALU_DEP_1)
	v_fmac_f32_e32 v11, v7, v12
	s_cbranch_execz .LBB32_18
	s_branch .LBB32_19
.LBB32_17:                              ;   in Loop: Header=BB32_9 Depth=1
                                        ; implicit-def: $sgpr13
                                        ; implicit-def: $vgpr10
                                        ; implicit-def: $vgpr9
                                        ; implicit-def: $vgpr11
                                        ; implicit-def: $sgpr1
                                        ; implicit-def: $sgpr21
.LBB32_18:                              ;   in Loop: Header=BB32_9 Depth=1
	s_waitcnt vmcnt(0)
	v_dual_mov_b32 v11, v7 :: v_dual_mov_b32 v10, v5
	v_mov_b32_e32 v9, v8
	s_add_i32 s1, s19, -1
	s_mov_b32 s13, 0
	s_mov_b32 s21, s16
.LBB32_19:                              ;   in Loop: Header=BB32_9 Depth=1
	s_and_not1_b32 vcc_lo, exec_lo, s13
	s_cbranch_vccz .LBB32_23
; %bb.20:                               ;   in Loop: Header=BB32_9 Depth=1
	v_dual_mov_b32 v7, v11 :: v_dual_mov_b32 v8, v9
	s_waitcnt vmcnt(0)
	v_mov_b32_e32 v5, v10
	s_mov_b32 s16, s21
	s_mov_b32 s19, s1
	s_branch .LBB32_9
.LBB32_21:
                                        ; implicit-def: $sgpr16_sgpr17
	s_load_b128 s[8:11], s[0:1], 0x44
	s_branch .LBB32_2
.LBB32_22:
                                        ; implicit-def: $sgpr18_sgpr19
	s_branch .LBB32_5
.LBB32_23:
	v_div_scale_f32 v0, null, v11, v11, v10
	s_delay_alu instid0(VALU_DEP_1) | instskip(SKIP_2) | instid1(VALU_DEP_1)
	v_rcp_f32_e32 v3, v0
	s_waitcnt_depctr 0xfff
	v_fma_f32 v4, -v0, v3, 1.0
	v_fmac_f32_e32 v3, v4, v3
	v_div_scale_f32 v4, vcc_lo, v10, v11, v10
	s_waitcnt vmcnt(0)
	s_delay_alu instid0(VALU_DEP_1) | instskip(NEXT) | instid1(VALU_DEP_1)
	v_mul_f32_e32 v5, v4, v3
	v_fma_f32 v6, -v0, v5, v4
	s_delay_alu instid0(VALU_DEP_1) | instskip(NEXT) | instid1(VALU_DEP_1)
	v_fmac_f32_e32 v5, v6, v3
	v_fma_f32 v0, -v0, v5, v4
	s_delay_alu instid0(VALU_DEP_1) | instskip(NEXT) | instid1(VALU_DEP_1)
	v_div_fmas_f32 v0, v0, v3, v5
	v_div_fixup_f32 v0, v0, v11, v10
	global_store_b32 v[1:2], v0, off
.LBB32_24:
	s_nop 0
	s_sendmsg sendmsg(MSG_DEALLOC_VGPRS)
	s_endpgm
	.section	.rodata,"a",@progbits
	.p2align	6, 0x0
	.amdhsa_kernel _ZL33flash_attn_stream_k_fixup_generalILi80ELi1ELi4EEvPfPK15HIP_vector_typeIfLj2EEiiiiS1_IjLj3EES5_S5_S5_
		.amdhsa_group_segment_fixed_size 0
		.amdhsa_private_segment_fixed_size 0
		.amdhsa_kernarg_size 336
		.amdhsa_user_sgpr_count 13
		.amdhsa_user_sgpr_dispatch_ptr 0
		.amdhsa_user_sgpr_queue_ptr 0
		.amdhsa_user_sgpr_kernarg_segment_ptr 1
		.amdhsa_user_sgpr_dispatch_id 0
		.amdhsa_user_sgpr_private_segment_size 0
		.amdhsa_wavefront_size32 1
		.amdhsa_uses_dynamic_stack 0
		.amdhsa_enable_private_segment 0
		.amdhsa_system_sgpr_workgroup_id_x 1
		.amdhsa_system_sgpr_workgroup_id_y 1
		.amdhsa_system_sgpr_workgroup_id_z 1
		.amdhsa_system_sgpr_workgroup_info 0
		.amdhsa_system_vgpr_workitem_id 0
		.amdhsa_next_free_vgpr 19
		.amdhsa_next_free_sgpr 32
		.amdhsa_reserve_vcc 1
		.amdhsa_float_round_mode_32 0
		.amdhsa_float_round_mode_16_64 0
		.amdhsa_float_denorm_mode_32 3
		.amdhsa_float_denorm_mode_16_64 3
		.amdhsa_dx10_clamp 1
		.amdhsa_ieee_mode 1
		.amdhsa_fp16_overflow 0
		.amdhsa_workgroup_processor_mode 1
		.amdhsa_memory_ordered 1
		.amdhsa_forward_progress 0
		.amdhsa_shared_vgpr_count 0
		.amdhsa_exception_fp_ieee_invalid_op 0
		.amdhsa_exception_fp_denorm_src 0
		.amdhsa_exception_fp_ieee_div_zero 0
		.amdhsa_exception_fp_ieee_overflow 0
		.amdhsa_exception_fp_ieee_underflow 0
		.amdhsa_exception_fp_ieee_inexact 0
		.amdhsa_exception_int_div_zero 0
	.end_amdhsa_kernel
	.section	.text._ZL33flash_attn_stream_k_fixup_generalILi80ELi1ELi4EEvPfPK15HIP_vector_typeIfLj2EEiiiiS1_IjLj3EES5_S5_S5_,"axG",@progbits,_ZL33flash_attn_stream_k_fixup_generalILi80ELi1ELi4EEvPfPK15HIP_vector_typeIfLj2EEiiiiS1_IjLj3EES5_S5_S5_,comdat
.Lfunc_end32:
	.size	_ZL33flash_attn_stream_k_fixup_generalILi80ELi1ELi4EEvPfPK15HIP_vector_typeIfLj2EEiiiiS1_IjLj3EES5_S5_S5_, .Lfunc_end32-_ZL33flash_attn_stream_k_fixup_generalILi80ELi1ELi4EEvPfPK15HIP_vector_typeIfLj2EEiiiiS1_IjLj3EES5_S5_S5_
                                        ; -- End function
	.section	.AMDGPU.csdata,"",@progbits
; Kernel info:
; codeLenInByte = 3220
; NumSgprs: 34
; NumVgprs: 19
; ScratchSize: 0
; MemoryBound: 0
; FloatMode: 240
; IeeeMode: 1
; LDSByteSize: 0 bytes/workgroup (compile time only)
; SGPRBlocks: 4
; VGPRBlocks: 2
; NumSGPRsForWavesPerEU: 34
; NumVGPRsForWavesPerEU: 19
; Occupancy: 16
; WaveLimiterHint : 0
; COMPUTE_PGM_RSRC2:SCRATCH_EN: 0
; COMPUTE_PGM_RSRC2:USER_SGPR: 13
; COMPUTE_PGM_RSRC2:TRAP_HANDLER: 0
; COMPUTE_PGM_RSRC2:TGID_X_EN: 1
; COMPUTE_PGM_RSRC2:TGID_Y_EN: 1
; COMPUTE_PGM_RSRC2:TGID_Z_EN: 1
; COMPUTE_PGM_RSRC2:TIDIG_COMP_CNT: 0
	.section	.text._ZL15flash_attn_tileILi80ELi80ELi32ELi2ELb0EEvPKcS1_S1_S1_S1_PKiPfP15HIP_vector_typeIfLj2EEffffjfiS5_IjLj3EEiiiiiiiiiiiliiliiiiil,"axG",@progbits,_ZL15flash_attn_tileILi80ELi80ELi32ELi2ELb0EEvPKcS1_S1_S1_S1_PKiPfP15HIP_vector_typeIfLj2EEffffjfiS5_IjLj3EEiiiiiiiiiiiliiliiiiil,comdat
	.globl	_ZL15flash_attn_tileILi80ELi80ELi32ELi2ELb0EEvPKcS1_S1_S1_S1_PKiPfP15HIP_vector_typeIfLj2EEffffjfiS5_IjLj3EEiiiiiiiiiiiliiliiiiil ; -- Begin function _ZL15flash_attn_tileILi80ELi80ELi32ELi2ELb0EEvPKcS1_S1_S1_S1_PKiPfP15HIP_vector_typeIfLj2EEffffjfiS5_IjLj3EEiiiiiiiiiiiliiliiiiil
	.p2align	8
	.type	_ZL15flash_attn_tileILi80ELi80ELi32ELi2ELb0EEvPKcS1_S1_S1_S1_PKiPfP15HIP_vector_typeIfLj2EEffffjfiS5_IjLj3EEiiiiiiiiiiiliiliiiiil,@function
_ZL15flash_attn_tileILi80ELi80ELi32ELi2ELb0EEvPKcS1_S1_S1_S1_PKiPfP15HIP_vector_typeIfLj2EEffffjfiS5_IjLj3EEiiiiiiiiiiiliiliiiiil: ; @_ZL15flash_attn_tileILi80ELi80ELi32ELi2ELb0EEvPKcS1_S1_S1_S1_PKiPfP15HIP_vector_typeIfLj2EEffffjfiS5_IjLj3EEiiiiiiiiiiiliiliiiiil
; %bb.0:
	s_clause 0x1
	s_load_b128 s[36:39], s[0:1], 0x5c
	s_load_b64 s[40:41], s[0:1], 0x80
	s_mov_b64 s[42:43], 0
	s_waitcnt lgkmcnt(0)
	s_lshr_b32 s2, s39, 31
	s_delay_alu instid0(SALU_CYCLE_1) | instskip(NEXT) | instid1(SALU_CYCLE_1)
	s_add_i32 s2, s39, s2
	s_ashr_i32 s2, s2, 1
	s_delay_alu instid0(SALU_CYCLE_1) | instskip(SKIP_1) | instid1(VALU_DEP_1)
	v_cvt_f32_u32_e32 v1, s2
	s_sub_i32 s4, 0, s2
	v_rcp_iflag_f32_e32 v1, v1
	s_waitcnt_depctr 0xfff
	v_mul_f32_e32 v1, 0x4f7ffffe, v1
	s_delay_alu instid0(VALU_DEP_1) | instskip(NEXT) | instid1(VALU_DEP_1)
	v_cvt_u32_f32_e32 v1, v1
	v_readfirstlane_b32 s3, v1
	s_delay_alu instid0(VALU_DEP_1) | instskip(NEXT) | instid1(SALU_CYCLE_1)
	s_mul_i32 s4, s4, s3
	s_mul_hi_u32 s4, s3, s4
	s_delay_alu instid0(SALU_CYCLE_1) | instskip(NEXT) | instid1(SALU_CYCLE_1)
	s_add_i32 s3, s3, s4
	s_mul_hi_u32 s3, s15, s3
	s_delay_alu instid0(SALU_CYCLE_1) | instskip(SKIP_2) | instid1(SALU_CYCLE_1)
	s_mul_i32 s4, s3, s2
	s_add_i32 s5, s3, 1
	s_sub_i32 s4, s15, s4
	s_sub_i32 s6, s4, s2
	s_cmp_ge_u32 s4, s2
	s_cselect_b32 s3, s5, s3
	s_cselect_b32 s4, s6, s4
	s_add_i32 s5, s3, 1
	s_cmp_ge_u32 s4, s2
	s_cselect_b32 s44, s5, s3
	s_abs_i32 s2, s41
	s_abs_i32 s7, s39
	v_cvt_f32_u32_e32 v1, s2
	s_sub_i32 s4, 0, s2
	s_lshl_b32 s5, s15, 1
	s_mul_i32 s6, s44, s39
	s_delay_alu instid0(VALU_DEP_1) | instskip(SKIP_3) | instid1(VALU_DEP_1)
	v_rcp_iflag_f32_e32 v1, v1
	s_sub_i32 s34, s5, s6
	s_waitcnt_depctr 0xfff
	v_mul_f32_e32 v1, 0x4f7ffffe, v1
	v_cvt_u32_f32_e32 v1, v1
	s_delay_alu instid0(VALU_DEP_1) | instskip(NEXT) | instid1(VALU_DEP_1)
	v_readfirstlane_b32 s3, v1
	s_mul_i32 s4, s4, s3
	s_delay_alu instid0(SALU_CYCLE_1) | instskip(NEXT) | instid1(SALU_CYCLE_1)
	s_mul_hi_u32 s4, s3, s4
	s_add_i32 s3, s3, s4
	s_xor_b32 s4, s39, s41
	s_mul_hi_u32 s3, s7, s3
	s_ashr_i32 s4, s4, 31
	s_mul_i32 s5, s3, s2
	s_add_i32 s6, s3, 1
	s_sub_i32 s5, s7, s5
	s_delay_alu instid0(SALU_CYCLE_1)
	s_sub_i32 s7, s5, s2
	s_cmp_ge_u32 s5, s2
	s_cselect_b32 s3, s6, s3
	s_cselect_b32 s5, s7, s5
	s_add_i32 s6, s3, 1
	s_cmp_ge_u32 s5, s2
	s_cselect_b32 s2, s6, s3
	s_delay_alu instid0(SALU_CYCLE_1) | instskip(NEXT) | instid1(SALU_CYCLE_1)
	s_xor_b32 s2, s2, s4
	s_sub_i32 s9, s2, s4
	s_clause 0x1
	s_load_b512 s[16:31], s[0:1], 0x0
	s_load_b64 s[2:3], s[0:1], 0xb8
	s_abs_i32 s8, s9
	s_delay_alu instid0(SALU_CYCLE_1) | instskip(NEXT) | instid1(VALU_DEP_1)
	v_cvt_f32_u32_e32 v1, s8
	v_rcp_iflag_f32_e32 v1, v1
	s_waitcnt_depctr 0xfff
	v_mul_f32_e32 v1, 0x4f7ffffe, v1
	s_waitcnt lgkmcnt(0)
	s_cmp_eq_u64 s[22:23], 0
	s_delay_alu instid0(VALU_DEP_1) | instskip(NEXT) | instid1(VALU_DEP_1)
	v_cvt_u32_f32_e32 v1, v1
	v_readfirstlane_b32 s10, v1
	s_cbranch_scc1 .LBB33_2
; %bb.1:
	s_abs_i32 s2, s2
	s_abs_i32 s6, s44
	v_cvt_f32_u32_e32 v1, s2
	s_sub_i32 s5, 0, s2
	s_delay_alu instid0(VALU_DEP_1) | instskip(SKIP_2) | instid1(VALU_DEP_1)
	v_rcp_iflag_f32_e32 v1, v1
	s_waitcnt_depctr 0xfff
	v_mul_f32_e32 v1, 0x4f7ffffe, v1
	v_cvt_u32_f32_e32 v1, v1
	s_delay_alu instid0(VALU_DEP_1) | instskip(NEXT) | instid1(VALU_DEP_1)
	v_readfirstlane_b32 s4, v1
	s_mul_i32 s5, s5, s4
	s_delay_alu instid0(SALU_CYCLE_1) | instskip(NEXT) | instid1(SALU_CYCLE_1)
	s_mul_hi_u32 s5, s4, s5
	s_add_i32 s7, s4, s5
	s_load_b64 s[4:5], s[0:1], 0xc8
	s_mul_hi_u32 s7, s6, s7
	s_delay_alu instid0(SALU_CYCLE_1) | instskip(NEXT) | instid1(SALU_CYCLE_1)
	s_mul_i32 s7, s7, s2
	s_sub_i32 s6, s6, s7
	s_ashr_i32 s7, s44, 31
	s_sub_i32 s11, s6, s2
	s_cmp_ge_u32 s6, s2
	s_cselect_b32 s6, s11, s6
	s_delay_alu instid0(SALU_CYCLE_1) | instskip(SKIP_2) | instid1(SALU_CYCLE_1)
	s_sub_i32 s11, s6, s2
	s_cmp_ge_u32 s6, s2
	s_cselect_b32 s2, s11, s6
	s_xor_b32 s2, s2, s7
	s_delay_alu instid0(SALU_CYCLE_1)
	s_sub_i32 s2, s2, s7
	s_waitcnt lgkmcnt(0)
	s_mul_i32 s5, s2, s5
	s_mul_hi_u32 s6, s2, s4
	s_ashr_i32 s7, s2, 31
	s_add_i32 s5, s6, s5
	s_mul_i32 s7, s7, s4
	s_mul_i32 s2, s2, s4
	s_add_i32 s5, s5, s7
	s_add_u32 s42, s22, s2
	s_addc_u32 s43, s23, s5
.LBB33_2:
	s_clause 0x1
	s_load_b128 s[48:51], s[0:1], 0x70
	s_load_b32 s11, s[0:1], 0x40
	v_and_b32_e32 v119, 0x3ff, v0
	s_lshl_b32 s33, s13, 5
	v_bfe_u32 v8, v0, 10, 10
	s_delay_alu instid0(VALU_DEP_2) | instskip(SKIP_2) | instid1(VALU_DEP_3)
	v_lshlrev_b32_e32 v104, 2, v119
	v_cmp_gt_u32_e64 s2, 20, v119
	v_lshlrev_b32_e32 v0, 1, v119
	v_lshlrev_b32_e32 v1, 2, v104
	s_waitcnt lgkmcnt(0)
	s_mul_i32 s5, s44, s50
	s_mul_i32 s6, s34, s49
	s_ashr_i32 s7, s5, 31
	s_add_u32 s5, s16, s5
	s_addc_u32 s7, s17, s7
	s_ashr_i32 s15, s6, 31
	s_add_u32 s12, s5, s6
	s_mov_b32 s4, s49
	s_addc_u32 s15, s7, s15
	s_ashr_i32 s5, s49, 31
	s_ashr_i32 s49, s48, 31
	s_lshr_b64 s[4:5], s[4:5], 2
	s_lshr_b64 s[6:7], s[48:49], 2
	s_and_saveexec_b32 s16, s2
	s_cbranch_execz .LBB33_4
; %bb.3:
	v_lshl_add_u32 v2, v8, 2, s33
	s_lshl_b64 s[22:23], s[4:5], 2
	s_delay_alu instid0(SALU_CYCLE_1) | instskip(SKIP_1) | instid1(VALU_DEP_1)
	s_add_u32 s17, s12, s22
	s_addc_u32 s22, s15, s23
	v_mul_hi_u32 v3, v2, s36
	s_delay_alu instid0(VALU_DEP_1) | instskip(NEXT) | instid1(VALU_DEP_1)
	v_add_nc_u32_e32 v3, v2, v3
	v_lshrrev_b32_e32 v3, s37, v3
	s_delay_alu instid0(VALU_DEP_1) | instskip(NEXT) | instid1(VALU_DEP_1)
	v_mul_lo_u32 v3, v3, s38
	v_sub_nc_u32_e32 v6, v2, v3
	s_delay_alu instid0(VALU_DEP_1) | instskip(NEXT) | instid1(VALU_DEP_1)
	v_mad_u64_u32 v[2:3], null, s6, v6, 0
	v_mad_u64_u32 v[4:5], null, s7, v6, v[3:4]
	s_delay_alu instid0(VALU_DEP_1) | instskip(NEXT) | instid1(VALU_DEP_1)
	v_mov_b32_e32 v3, v4
	v_lshlrev_b64 v[2:3], 2, v[2:3]
	s_delay_alu instid0(VALU_DEP_1) | instskip(NEXT) | instid1(VALU_DEP_2)
	v_add_co_u32 v4, vcc_lo, s12, v2
	v_add_co_ci_u32_e32 v5, vcc_lo, s15, v3, vcc_lo
	v_add_co_u32 v6, vcc_lo, s17, v2
	v_add_co_ci_u32_e32 v7, vcc_lo, s22, v3, vcc_lo
	s_delay_alu instid0(VALU_DEP_4) | instskip(NEXT) | instid1(VALU_DEP_4)
	v_add_co_u32 v2, vcc_lo, v4, v1
	v_add_co_ci_u32_e32 v3, vcc_lo, 0, v5, vcc_lo
	s_delay_alu instid0(VALU_DEP_4) | instskip(NEXT) | instid1(VALU_DEP_4)
	v_add_co_u32 v6, vcc_lo, v6, v1
	v_add_co_ci_u32_e32 v7, vcc_lo, 0, v7, vcc_lo
	s_clause 0x1
	global_load_b128 v[2:5], v[2:3], off
	global_load_b128 v[9:12], v[6:7], off
	v_mul_u32_u24_e32 v6, 0x140, v8
	s_delay_alu instid0(VALU_DEP_1) | instskip(SKIP_3) | instid1(VALU_DEP_3)
	v_or_b32_e32 v15, v6, v0
	s_waitcnt vmcnt(1)
	v_fma_mixlo_f16 v7, v4, s11, 0
	v_fma_mixlo_f16 v6, v2, s11, 0
	v_lshlrev_b32_e32 v2, 2, v15
	s_waitcnt vmcnt(0)
	v_fma_mixlo_f16 v14, v11, s11, 0
	v_fma_mixlo_f16 v13, v9, s11, 0
	v_fma_mixhi_f16 v7, v5, s11, 0
	v_fma_mixhi_f16 v6, v3, s11, 0
	s_delay_alu instid0(VALU_DEP_4) | instskip(NEXT) | instid1(VALU_DEP_4)
	v_fma_mixhi_f16 v14, v12, s11, 0
	v_fma_mixhi_f16 v13, v10, s11, 0
	ds_store_2addr_b64 v2, v[6:7], v[13:14] offset1:20
.LBB33_4:
	s_or_b32 exec_lo, exec_lo, s16
	v_lshlrev_b32_e32 v9, 3, v8
	s_delay_alu instid0(VALU_DEP_1) | instskip(NEXT) | instid1(VALU_DEP_1)
	v_or_b32_e32 v2, 2, v9
	v_lshrrev_b32_e32 v118, 1, v2
	s_and_saveexec_b32 s16, s2
	s_cbranch_execnz .LBB33_15
; %bb.5:
	s_or_b32 exec_lo, exec_lo, s16
	v_or_b32_e32 v117, 3, v9
	s_and_saveexec_b32 s16, s2
	s_cbranch_execnz .LBB33_16
.LBB33_6:
	s_or_b32 exec_lo, exec_lo, s16
	v_or_b32_e32 v116, 4, v9
	s_and_saveexec_b32 s16, s2
	s_cbranch_execnz .LBB33_17
.LBB33_7:
	s_or_b32 exec_lo, exec_lo, s16
	v_or_b32_e32 v115, 5, v9
	s_and_saveexec_b32 s16, s2
	s_cbranch_execnz .LBB33_18
.LBB33_8:
	s_or_b32 exec_lo, exec_lo, s16
	v_or_b32_e32 v114, 6, v9
	s_and_saveexec_b32 s16, s2
	s_cbranch_execnz .LBB33_19
.LBB33_9:
	s_or_b32 exec_lo, exec_lo, s16
	v_or_b32_e32 v113, 7, v9
	s_and_saveexec_b32 s16, s2
	s_cbranch_execz .LBB33_11
.LBB33_10:
	s_delay_alu instid0(VALU_DEP_1)
	v_lshrrev_b32_e32 v2, 1, v113
	s_lshl_b64 s[4:5], s[4:5], 2
	v_mul_u32_u24_e32 v7, 40, v113
	s_add_u32 s4, s12, s4
	s_addc_u32 s5, s15, s5
	v_add_nc_u32_e32 v2, s33, v2
	s_delay_alu instid0(VALU_DEP_2) | instskip(NEXT) | instid1(VALU_DEP_2)
	v_add_lshl_u32 v0, v7, v0, 2
	v_mul_hi_u32 v3, v2, s36
	s_delay_alu instid0(VALU_DEP_1) | instskip(NEXT) | instid1(VALU_DEP_1)
	v_add_nc_u32_e32 v3, v2, v3
	v_lshrrev_b32_e32 v3, s37, v3
	s_delay_alu instid0(VALU_DEP_1) | instskip(NEXT) | instid1(VALU_DEP_1)
	v_mul_lo_u32 v3, v3, s38
	v_sub_nc_u32_e32 v6, v2, v3
	s_delay_alu instid0(VALU_DEP_1) | instskip(NEXT) | instid1(VALU_DEP_1)
	v_mad_u64_u32 v[2:3], null, s6, v6, 0
	v_mad_u64_u32 v[4:5], null, s7, v6, v[3:4]
	s_delay_alu instid0(VALU_DEP_1) | instskip(NEXT) | instid1(VALU_DEP_1)
	v_mov_b32_e32 v3, v4
	v_lshlrev_b64 v[2:3], 2, v[2:3]
	s_delay_alu instid0(VALU_DEP_1) | instskip(NEXT) | instid1(VALU_DEP_2)
	v_add_co_u32 v2, vcc_lo, s4, v2
	v_add_co_ci_u32_e32 v3, vcc_lo, s5, v3, vcc_lo
	s_delay_alu instid0(VALU_DEP_2) | instskip(NEXT) | instid1(VALU_DEP_2)
	v_add_co_u32 v1, vcc_lo, v2, v1
	v_add_co_ci_u32_e32 v2, vcc_lo, 0, v3, vcc_lo
	global_load_b128 v[1:4], v[1:2], off
	s_waitcnt vmcnt(0)
	v_fma_mixlo_f16 v6, v3, s11, 0
	v_fma_mixlo_f16 v5, v1, s11, 0
	s_delay_alu instid0(VALU_DEP_2) | instskip(NEXT) | instid1(VALU_DEP_2)
	v_fma_mixhi_f16 v6, v4, s11, 0
	v_fma_mixhi_f16 v5, v2, s11, 0
	ds_store_b64 v0, v[5:6]
.LBB33_11:
	s_or_b32 exec_lo, exec_lo, s16
	s_cmp_eq_u64 s[26:27], 0
	s_waitcnt lgkmcnt(0)
	s_barrier
	buffer_gl0_inv
	s_cbranch_scc1 .LBB33_13
; %bb.12:
	s_load_b32 s4, s[0:1], 0xd0
	s_mov_b32 s5, 0
	s_waitcnt lgkmcnt(0)
	s_mul_i32 s4, s4, s44
	s_delay_alu instid0(SALU_CYCLE_1) | instskip(NEXT) | instid1(SALU_CYCLE_1)
	s_add_i32 s4, s4, s13
	s_lshl_b64 s[4:5], s[4:5], 2
	s_delay_alu instid0(SALU_CYCLE_1)
	s_add_u32 s4, s26, s4
	s_addc_u32 s5, s27, s5
	s_load_b32 s40, s[4:5], 0x0
.LBB33_13:
	v_mbcnt_lo_u32_b32 v133, -1, 0
	s_lshl_b32 s35, s14, 5
	s_waitcnt lgkmcnt(0)
	s_cmp_lt_i32 s35, s40
	s_cbranch_scc1 .LBB33_20
; %bb.14:
	v_mbcnt_lo_u32_b32 v10, -1, 0
	v_mov_b32_e32 v134, 32
	s_mov_b32 s4, 0
	s_mov_b32 s5, 0xfeffffff
	s_delay_alu instid0(VALU_DEP_2)
	v_xor_b32_e32 v163, 16, v10
	v_xor_b32_e32 v164, 8, v10
	;; [unrolled: 1-line block ×5, first 2 shown]
	s_branch .LBB33_21
.LBB33_15:
	s_delay_alu instid0(VALU_DEP_1) | instskip(SKIP_1) | instid1(VALU_DEP_2)
	v_add_nc_u32_e32 v3, s33, v118
	v_mul_u32_u24_e32 v2, 40, v2
	v_mul_hi_u32 v4, v3, s36
	s_delay_alu instid0(VALU_DEP_2) | instskip(NEXT) | instid1(VALU_DEP_2)
	v_add_lshl_u32 v2, v2, v0, 2
	v_add_nc_u32_e32 v4, v3, v4
	s_delay_alu instid0(VALU_DEP_1) | instskip(NEXT) | instid1(VALU_DEP_1)
	v_lshrrev_b32_e32 v4, s37, v4
	v_mul_lo_u32 v4, v4, s38
	s_delay_alu instid0(VALU_DEP_1) | instskip(NEXT) | instid1(VALU_DEP_1)
	v_sub_nc_u32_e32 v7, v3, v4
	v_mad_u64_u32 v[3:4], null, s6, v7, 0
	s_delay_alu instid0(VALU_DEP_1) | instskip(NEXT) | instid1(VALU_DEP_1)
	v_mad_u64_u32 v[5:6], null, s7, v7, v[4:5]
	v_mov_b32_e32 v4, v5
	s_delay_alu instid0(VALU_DEP_1) | instskip(NEXT) | instid1(VALU_DEP_1)
	v_lshlrev_b64 v[3:4], 2, v[3:4]
	v_add_co_u32 v3, vcc_lo, s12, v3
	s_delay_alu instid0(VALU_DEP_2) | instskip(NEXT) | instid1(VALU_DEP_2)
	v_add_co_ci_u32_e32 v4, vcc_lo, s15, v4, vcc_lo
	v_add_co_u32 v3, vcc_lo, v3, v1
	s_delay_alu instid0(VALU_DEP_2) | instskip(SKIP_4) | instid1(VALU_DEP_2)
	v_add_co_ci_u32_e32 v4, vcc_lo, 0, v4, vcc_lo
	global_load_b128 v[3:6], v[3:4], off
	s_waitcnt vmcnt(0)
	v_fma_mixlo_f16 v11, v5, s11, 0
	v_fma_mixlo_f16 v10, v3, s11, 0
	v_fma_mixhi_f16 v11, v6, s11, 0
	s_delay_alu instid0(VALU_DEP_2)
	v_fma_mixhi_f16 v10, v4, s11, 0
	ds_store_b64 v2, v[10:11]
	s_or_b32 exec_lo, exec_lo, s16
	v_or_b32_e32 v117, 3, v9
	s_and_saveexec_b32 s16, s2
	s_cbranch_execz .LBB33_6
.LBB33_16:
	s_delay_alu instid0(VALU_DEP_1)
	v_lshrrev_b32_e32 v2, 1, v117
	s_lshl_b64 s[22:23], s[4:5], 2
	v_mul_u32_u24_e32 v10, 40, v117
	s_add_u32 s17, s12, s22
	s_addc_u32 s22, s15, s23
	v_add_nc_u32_e32 v2, s33, v2
	s_delay_alu instid0(VALU_DEP_1) | instskip(NEXT) | instid1(VALU_DEP_1)
	v_mul_hi_u32 v3, v2, s36
	v_add_nc_u32_e32 v3, v2, v3
	s_delay_alu instid0(VALU_DEP_1) | instskip(NEXT) | instid1(VALU_DEP_1)
	v_lshrrev_b32_e32 v3, s37, v3
	v_mul_lo_u32 v3, v3, s38
	s_delay_alu instid0(VALU_DEP_1) | instskip(NEXT) | instid1(VALU_DEP_1)
	v_sub_nc_u32_e32 v6, v2, v3
	v_mad_u64_u32 v[2:3], null, s6, v6, 0
	s_delay_alu instid0(VALU_DEP_1) | instskip(NEXT) | instid1(VALU_DEP_1)
	v_mad_u64_u32 v[4:5], null, s7, v6, v[3:4]
	v_mov_b32_e32 v3, v4
	s_delay_alu instid0(VALU_DEP_1) | instskip(NEXT) | instid1(VALU_DEP_1)
	v_lshlrev_b64 v[2:3], 2, v[2:3]
	v_add_co_u32 v2, vcc_lo, s17, v2
	s_delay_alu instid0(VALU_DEP_2) | instskip(NEXT) | instid1(VALU_DEP_2)
	v_add_co_ci_u32_e32 v3, vcc_lo, s22, v3, vcc_lo
	v_add_co_u32 v2, vcc_lo, v2, v1
	s_delay_alu instid0(VALU_DEP_2)
	v_add_co_ci_u32_e32 v3, vcc_lo, 0, v3, vcc_lo
	global_load_b128 v[2:5], v[2:3], off
	s_waitcnt vmcnt(0)
	v_fma_mixlo_f16 v7, v4, s11, 0
	v_fma_mixlo_f16 v6, v2, s11, 0
	v_add_lshl_u32 v2, v10, v0, 2
	s_delay_alu instid0(VALU_DEP_3) | instskip(NEXT) | instid1(VALU_DEP_3)
	v_fma_mixhi_f16 v7, v5, s11, 0
	v_fma_mixhi_f16 v6, v3, s11, 0
	ds_store_b64 v2, v[6:7]
	s_or_b32 exec_lo, exec_lo, s16
	v_or_b32_e32 v116, 4, v9
	s_and_saveexec_b32 s16, s2
	s_cbranch_execz .LBB33_7
.LBB33_17:
	s_delay_alu instid0(VALU_DEP_1) | instskip(SKIP_1) | instid1(VALU_DEP_2)
	v_lshrrev_b32_e32 v2, 1, v116
	v_mul_u32_u24_e32 v10, 40, v116
	v_add_nc_u32_e32 v2, s33, v2
	s_delay_alu instid0(VALU_DEP_1) | instskip(NEXT) | instid1(VALU_DEP_1)
	v_mul_hi_u32 v3, v2, s36
	v_add_nc_u32_e32 v3, v2, v3
	s_delay_alu instid0(VALU_DEP_1) | instskip(NEXT) | instid1(VALU_DEP_1)
	v_lshrrev_b32_e32 v3, s37, v3
	v_mul_lo_u32 v3, v3, s38
	s_delay_alu instid0(VALU_DEP_1) | instskip(NEXT) | instid1(VALU_DEP_1)
	v_sub_nc_u32_e32 v6, v2, v3
	v_mad_u64_u32 v[2:3], null, s6, v6, 0
	s_delay_alu instid0(VALU_DEP_1) | instskip(NEXT) | instid1(VALU_DEP_1)
	v_mad_u64_u32 v[4:5], null, s7, v6, v[3:4]
	v_mov_b32_e32 v3, v4
	s_delay_alu instid0(VALU_DEP_1) | instskip(NEXT) | instid1(VALU_DEP_1)
	v_lshlrev_b64 v[2:3], 2, v[2:3]
	v_add_co_u32 v2, vcc_lo, s12, v2
	s_delay_alu instid0(VALU_DEP_2) | instskip(NEXT) | instid1(VALU_DEP_2)
	v_add_co_ci_u32_e32 v3, vcc_lo, s15, v3, vcc_lo
	v_add_co_u32 v2, vcc_lo, v2, v1
	s_delay_alu instid0(VALU_DEP_2)
	v_add_co_ci_u32_e32 v3, vcc_lo, 0, v3, vcc_lo
	global_load_b128 v[2:5], v[2:3], off
	s_waitcnt vmcnt(0)
	v_fma_mixlo_f16 v7, v4, s11, 0
	v_fma_mixlo_f16 v6, v2, s11, 0
	v_add_lshl_u32 v2, v10, v0, 2
	s_delay_alu instid0(VALU_DEP_3) | instskip(NEXT) | instid1(VALU_DEP_3)
	v_fma_mixhi_f16 v7, v5, s11, 0
	v_fma_mixhi_f16 v6, v3, s11, 0
	ds_store_b64 v2, v[6:7]
	s_or_b32 exec_lo, exec_lo, s16
	v_or_b32_e32 v115, 5, v9
	s_and_saveexec_b32 s16, s2
	s_cbranch_execz .LBB33_8
.LBB33_18:
	s_delay_alu instid0(VALU_DEP_1)
	v_lshrrev_b32_e32 v2, 1, v115
	s_lshl_b64 s[22:23], s[4:5], 2
	v_mul_u32_u24_e32 v10, 40, v115
	s_add_u32 s17, s12, s22
	s_addc_u32 s22, s15, s23
	v_add_nc_u32_e32 v2, s33, v2
	s_delay_alu instid0(VALU_DEP_1) | instskip(NEXT) | instid1(VALU_DEP_1)
	v_mul_hi_u32 v3, v2, s36
	v_add_nc_u32_e32 v3, v2, v3
	s_delay_alu instid0(VALU_DEP_1) | instskip(NEXT) | instid1(VALU_DEP_1)
	v_lshrrev_b32_e32 v3, s37, v3
	v_mul_lo_u32 v3, v3, s38
	s_delay_alu instid0(VALU_DEP_1) | instskip(NEXT) | instid1(VALU_DEP_1)
	v_sub_nc_u32_e32 v6, v2, v3
	v_mad_u64_u32 v[2:3], null, s6, v6, 0
	s_delay_alu instid0(VALU_DEP_1) | instskip(NEXT) | instid1(VALU_DEP_1)
	v_mad_u64_u32 v[4:5], null, s7, v6, v[3:4]
	v_mov_b32_e32 v3, v4
	s_delay_alu instid0(VALU_DEP_1) | instskip(NEXT) | instid1(VALU_DEP_1)
	v_lshlrev_b64 v[2:3], 2, v[2:3]
	v_add_co_u32 v2, vcc_lo, s17, v2
	s_delay_alu instid0(VALU_DEP_2) | instskip(NEXT) | instid1(VALU_DEP_2)
	v_add_co_ci_u32_e32 v3, vcc_lo, s22, v3, vcc_lo
	v_add_co_u32 v2, vcc_lo, v2, v1
	s_delay_alu instid0(VALU_DEP_2)
	v_add_co_ci_u32_e32 v3, vcc_lo, 0, v3, vcc_lo
	global_load_b128 v[2:5], v[2:3], off
	s_waitcnt vmcnt(0)
	v_fma_mixlo_f16 v7, v4, s11, 0
	v_fma_mixlo_f16 v6, v2, s11, 0
	v_add_lshl_u32 v2, v10, v0, 2
	s_delay_alu instid0(VALU_DEP_3) | instskip(NEXT) | instid1(VALU_DEP_3)
	v_fma_mixhi_f16 v7, v5, s11, 0
	v_fma_mixhi_f16 v6, v3, s11, 0
	ds_store_b64 v2, v[6:7]
	s_or_b32 exec_lo, exec_lo, s16
	v_or_b32_e32 v114, 6, v9
	s_and_saveexec_b32 s16, s2
	s_cbranch_execz .LBB33_9
.LBB33_19:
	s_delay_alu instid0(VALU_DEP_1) | instskip(SKIP_1) | instid1(VALU_DEP_2)
	v_lshrrev_b32_e32 v2, 1, v114
	v_mul_u32_u24_e32 v10, 40, v114
	v_add_nc_u32_e32 v2, s33, v2
	s_delay_alu instid0(VALU_DEP_1) | instskip(NEXT) | instid1(VALU_DEP_1)
	v_mul_hi_u32 v3, v2, s36
	v_add_nc_u32_e32 v3, v2, v3
	s_delay_alu instid0(VALU_DEP_1) | instskip(NEXT) | instid1(VALU_DEP_1)
	v_lshrrev_b32_e32 v3, s37, v3
	v_mul_lo_u32 v3, v3, s38
	s_delay_alu instid0(VALU_DEP_1) | instskip(NEXT) | instid1(VALU_DEP_1)
	v_sub_nc_u32_e32 v6, v2, v3
	v_mad_u64_u32 v[2:3], null, s6, v6, 0
	s_delay_alu instid0(VALU_DEP_1) | instskip(NEXT) | instid1(VALU_DEP_1)
	v_mad_u64_u32 v[4:5], null, s7, v6, v[3:4]
	v_mov_b32_e32 v3, v4
	s_delay_alu instid0(VALU_DEP_1) | instskip(NEXT) | instid1(VALU_DEP_1)
	v_lshlrev_b64 v[2:3], 2, v[2:3]
	v_add_co_u32 v2, vcc_lo, s12, v2
	s_delay_alu instid0(VALU_DEP_2) | instskip(NEXT) | instid1(VALU_DEP_2)
	v_add_co_ci_u32_e32 v3, vcc_lo, s15, v3, vcc_lo
	v_add_co_u32 v2, vcc_lo, v2, v1
	s_delay_alu instid0(VALU_DEP_2)
	v_add_co_ci_u32_e32 v3, vcc_lo, 0, v3, vcc_lo
	global_load_b128 v[2:5], v[2:3], off
	s_waitcnt vmcnt(0)
	v_fma_mixlo_f16 v7, v4, s11, 0
	v_fma_mixlo_f16 v6, v2, s11, 0
	v_add_lshl_u32 v2, v10, v0, 2
	s_delay_alu instid0(VALU_DEP_3) | instskip(NEXT) | instid1(VALU_DEP_3)
	v_fma_mixhi_f16 v7, v5, s11, 0
	v_fma_mixhi_f16 v6, v3, s11, 0
	ds_store_b64 v2, v[6:7]
	s_or_b32 exec_lo, exec_lo, s16
	v_or_b32_e32 v113, 7, v9
	s_and_saveexec_b32 s16, s2
	s_cbranch_execnz .LBB33_10
	s_branch .LBB33_11
.LBB33_20:
	s_mov_b32 s4, -1
                                        ; implicit-def: $sgpr5
                                        ; implicit-def: $vgpr10
                                        ; implicit-def: $vgpr134
                                        ; implicit-def: $vgpr163
                                        ; implicit-def: $vgpr164
                                        ; implicit-def: $vgpr165
                                        ; implicit-def: $vgpr166
                                        ; implicit-def: $vgpr167
.LBB33_21:
	s_delay_alu instid0(SALU_CYCLE_1) | instskip(SKIP_2) | instid1(VALU_DEP_3)
	v_cndmask_b32_e64 v0, 0, 1, s4
	v_dual_mov_b32 v7, s5 :: v_dual_mov_b32 v168, s4
	v_dual_mov_b32 v137, s4 :: v_dual_lshlrev_b32 v120, 2, v8
	v_cmp_ne_u32_e32 vcc_lo, 1, v0
	v_dual_mov_b32 v6, s5 :: v_dual_mov_b32 v5, s5
	v_dual_mov_b32 v4, s5 :: v_dual_mov_b32 v3, s5
	;; [unrolled: 1-line block ×14, first 2 shown]
	v_mov_b32_e32 v122, s4
	s_cbranch_vccnz .LBB33_42
; %bb.22:
	v_dual_mov_b32 v121, 0 :: v_dual_add_nc_u32 v4, s33, v120
	s_clause 0x1
	s_load_b128 s[4:7], s[0:1], 0x98
	s_load_b64 s[12:13], s[0:1], 0x8c
	v_lshrrev_b32_e32 v1, 2, v119
	s_sub_i32 s11, 0, s8
	v_dual_mov_b32 v134, 32 :: v_dual_add_nc_u32 v5, 1, v4
	v_dual_mov_b32 v123, 0 :: v_dual_add_nc_u32 v6, 2, v4
	s_delay_alu instid0(VALU_DEP_3) | instskip(NEXT) | instid1(VALU_DEP_3)
	v_add_nc_u32_e32 v1, v9, v1
	v_mul_hi_u32 v3, s36, v5
	v_mul_hi_u32 v2, s36, v4
	s_delay_alu instid0(VALU_DEP_4) | instskip(SKIP_4) | instid1(VALU_DEP_4)
	v_mul_hi_u32 v9, s36, v6
	s_mul_i32 s11, s11, s10
	v_dual_mov_b32 v122, 0 :: v_dual_add_nc_u32 v7, 3, v4
	s_mul_hi_u32 s11, s10, s11
	s_abs_i32 s15, s34
	v_dual_mov_b32 v124, 0 :: v_dual_add_nc_u32 v3, v5, v3
	s_add_i32 s10, s10, s11
	v_dual_mov_b32 v127, 0 :: v_dual_add_nc_u32 v2, v4, v2
	v_dual_mov_b32 v126, 0 :: v_dual_add_nc_u32 v9, v6, v9
	s_delay_alu instid0(VALU_DEP_3)
	v_lshrrev_b32_e32 v3, s37, v3
	s_ashr_i32 s11, s3, 1
	s_mul_hi_u32 s3, s15, s10
	s_ashr_i32 s10, s44, 31
	s_waitcnt lgkmcnt(0)
	s_ashr_i32 s41, s6, 2
	s_mul_i32 s5, s44, s5
	s_mul_hi_u32 s6, s44, s4
	v_mul_hi_u32 v10, s36, v7
	s_ashr_i32 s45, s12, 2
	s_mul_i32 s12, s10, s4
	s_add_i32 s5, s6, s5
	s_mul_i32 s4, s44, s4
	s_ashr_i32 s22, s34, 31
	s_ashr_i32 s9, s9, 31
	s_load_b64 s[16:17], s[0:1], 0xa8
	s_mul_i32 s23, s3, s8
	s_add_i32 s5, s5, s12
	v_lshrrev_b32_e32 v13, s37, v2
	v_lshrrev_b32_e32 v9, s37, v9
	v_mul_lo_u32 v14, v3, s38
	s_add_u32 s4, s18, s4
	s_addc_u32 s5, s19, s5
	s_xor_b32 s6, s22, s9
	s_sub_i32 s9, s15, s23
	s_add_i32 s12, s3, 1
	s_sub_i32 s15, s9, s8
	s_cmp_ge_u32 s9, s8
	v_dual_mov_b32 v129, 0 :: v_dual_add_nc_u32 v10, v7, v10
	v_mul_lo_u32 v13, v13, s38
	v_mul_lo_u32 v9, v9, s38
	s_cselect_b32 s3, s12, s3
	s_cselect_b32 s9, s15, s9
	v_sub_nc_u32_e32 v5, v5, v14
	s_add_i32 s12, s3, 1
	s_cmp_ge_u32 s9, s8
	v_lshrrev_b32_e32 v10, s37, v10
	s_cselect_b32 s3, s12, s3
	v_sub_nc_u32_e32 v4, v4, v13
	v_sub_nc_u32_e32 v6, v6, v9
	v_lshrrev_b32_e32 v9, 1, v119
	v_mul_lo_u32 v145, v5, s11
	v_lshrrev_b32_e32 v5, 3, v119
	s_xor_b32 s3, s3, s6
	v_mul_lo_u32 v10, v10, s38
	s_sub_i32 s3, s3, s6
	v_mul_lo_u32 v144, v4, s11
	s_mul_i32 s6, s3, s13
	v_lshl_add_u32 v4, v8, 4, v9
	v_dual_mov_b32 v132, 0 :: v_dual_add_nc_u32 v5, v120, v5
	v_dual_mov_b32 v135, 0 :: v_dual_and_b32 v150, 28, v104
	s_waitcnt lgkmcnt(0)
	s_mul_i32 s8, s44, s17
	s_mul_hi_u32 s9, s44, s16
	s_ashr_i32 s13, s6, 31
	s_add_u32 s46, s4, s6
	s_mul_i32 s10, s10, s16
	s_addc_u32 s47, s5, s13
	s_add_i32 s4, s9, s8
	v_lshl_add_u32 v0, v8, 5, v119
	s_mul_i32 s12, s44, s16
	v_mul_u32_u24_e32 v140, 0x500, v8
	v_sub_nc_u32_e32 v7, v7, v10
	v_mul_lo_u32 v146, v6, s11
	v_lshl_add_u32 v148, v8, 9, 0x2800
	v_dual_mov_b32 v130, 0 :: v_dual_and_b32 v149, 4, v104
	v_mul_u32_u24_e32 v6, 0xa0, v4
	v_mul_u32_u24_e32 v8, 0xa0, v5
	v_dual_mov_b32 v137, 0 :: v_dual_lshlrev_b32 v10, 2, v150
	s_add_i32 s4, s4, s10
	s_add_u32 s5, s20, s12
	s_addc_u32 s6, s21, s4
	s_movk_i32 s4, 0x3840
	v_cmp_gt_u32_e32 vcc_lo, 32, v0
	v_mad_u32_u24 v141, 0x60, v0, s4
	v_mul_lo_u32 v0, s45, v0
	v_mul_lo_u32 v147, v7, s11
	v_cmp_gt_u32_e64 s4, 16, v4
	v_mul_lo_u32 v4, s41, v4
	v_lshl_or_b32 v7, v149, 2, v6
	v_mul_lo_u32 v6, s41, v5
	v_add3_u32 v153, v8, v10, 0x3800
	v_mov_b32_e32 v8, 0xfeffffff
	v_mul_lo_u32 v2, s45, v1
	v_dual_mov_b32 v125, 0 :: v_dual_and_b32 v142, 12, v104
	s_mul_i32 s3, s3, s7
	v_mul_u32_u24_e32 v11, 0x60, v1
	s_ashr_i32 s7, s3, 31
	s_add_u32 s48, s5, s3
	v_cmp_gt_u32_e64 s3, 32, v1
	v_ashrrev_i32_e32 v1, 31, v0
	v_ashrrev_i32_e32 v3, 31, v2
	v_cmp_gt_u32_e64 s5, 16, v5
	v_dual_mov_b32 v159, 0 :: v_dual_add_nc_u32 v152, 0x3880, v7
	v_ashrrev_i32_e32 v5, 31, v4
	v_ashrrev_i32_e32 v7, 31, v6
	v_dual_mov_b32 v131, 0 :: v_dual_lshlrev_b32 v12, 2, v142
	v_dual_mov_b32 v128, 0 :: v_dual_lshlrev_b32 v9, 4, v119
	v_lshlrev_b64 v[105:106], 2, v[0:1]
	v_lshlrev_b64 v[107:108], 2, v[2:3]
	;; [unrolled: 1-line block ×4, first 2 shown]
	v_mul_u32_u24_e32 v139, 0x60, v119
	v_add3_u32 v143, v11, v12, 0x3800
	v_dual_mov_b32 v136, 0 :: v_dual_lshlrev_b32 v151, 3, v119
	v_dual_mov_b32 v9, 0xfeffffff :: v_dual_add_nc_u32 v154, v148, v9
	v_dual_mov_b32 v138, 0 :: v_dual_mov_b32 v13, 0xfeffffff
	v_dual_mov_b32 v10, 0xfeffffff :: v_dual_mov_b32 v11, 0xfeffffff
	v_dual_mov_b32 v14, 0xfeffffff :: v_dual_mov_b32 v15, 0xfeffffff
	v_dual_mov_b32 v12, 0xfeffffff :: v_dual_mov_b32 v161, 0
	v_dual_mov_b32 v158, 0 :: v_dual_mov_b32 v157, 0
	v_dual_mov_b32 v160, 0 :: v_dual_mov_b32 v155, 0
	v_mov_b32_e32 v162, 0
	v_mov_b32_e32 v156, 0
	s_addc_u32 s49, s6, s7
	s_add_u32 s26, s0, 0xd0
	s_addc_u32 s27, s1, 0
.LBB33_23:                              ; =>This Inner Loop Header: Depth=1
	s_mul_hi_i32 s7, s35, s45
	s_mul_i32 s6, s35, s45
	s_delay_alu instid0(SALU_CYCLE_1) | instskip(NEXT) | instid1(SALU_CYCLE_1)
	s_lshl_b64 s[8:9], s[6:7], 2
	s_add_u32 s7, s46, s8
	s_addc_u32 s8, s47, s9
	s_and_saveexec_b32 s9, vcc_lo
	s_cbranch_execz .LBB33_25
; %bb.24:                               ;   in Loop: Header=BB33_23 Depth=1
	v_add_co_u32 v0, s6, s7, v105
	s_delay_alu instid0(VALU_DEP_1)
	v_add_co_ci_u32_e64 v1, s6, s8, v106, s6
	global_load_b128 v[0:3], v[0:1], off offset:64
	s_waitcnt vmcnt(0)
	ds_store_b128 v141, v[0:3]
.LBB33_25:                              ;   in Loop: Header=BB33_23 Depth=1
	s_or_b32 exec_lo, exec_lo, s9
	v_lshlrev_b32_e32 v16, 2, v142
	s_and_saveexec_b32 s9, s3
	s_cbranch_execz .LBB33_27
; %bb.26:                               ;   in Loop: Header=BB33_23 Depth=1
	v_add_co_u32 v0, s6, s7, v107
	s_delay_alu instid0(VALU_DEP_1) | instskip(NEXT) | instid1(VALU_DEP_2)
	v_add_co_ci_u32_e64 v1, s6, s8, v108, s6
	v_add_co_u32 v0, s6, v0, v16
	s_delay_alu instid0(VALU_DEP_1)
	v_add_co_ci_u32_e64 v1, s6, 0, v1, s6
	global_load_b128 v[0:3], v[0:1], off
	s_waitcnt vmcnt(0)
	ds_store_b128 v143, v[0:3]
.LBB33_27:                              ;   in Loop: Header=BB33_23 Depth=1
	s_or_b32 exec_lo, exec_lo, s9
	s_waitcnt lgkmcnt(0)
	s_barrier
	buffer_gl0_inv
	ds_load_b128 v[17:20], v139 offset:14336
	ds_load_b128 v[21:24], v140
	ds_load_b128 v[25:28], v140 offset:160
	ds_load_b128 v[29:32], v140 offset:320
	;; [unrolled: 1-line block ×7, first 2 shown]
	v_dual_mov_b32 v0, 0 :: v_dual_mov_b32 v1, 0
	v_dual_mov_b32 v2, 0 :: v_dual_mov_b32 v3, 0
	;; [unrolled: 1-line block ×4, first 2 shown]
	s_waitcnt lgkmcnt(7)
	;;#ASMSTART
	v_dot2_f32_f16 v0, v17, v21, v0
	;;#ASMEND
	;;#ASMSTART
	v_dot2_f32_f16 v0, v18, v22, v0
	;;#ASMEND
	;;#ASMSTART
	v_dot2_f32_f16 v0, v19, v23, v0
	;;#ASMEND
	;;#ASMSTART
	v_dot2_f32_f16 v0, v20, v24, v0
	;;#ASMEND
	s_waitcnt lgkmcnt(6)
	;;#ASMSTART
	v_dot2_f32_f16 v1, v17, v25, v1
	;;#ASMEND
	;;#ASMSTART
	v_dot2_f32_f16 v1, v18, v26, v1
	;;#ASMEND
	;;#ASMSTART
	v_dot2_f32_f16 v1, v19, v27, v1
	;;#ASMEND
	;;#ASMSTART
	v_dot2_f32_f16 v1, v20, v28, v1
	;;#ASMEND
	;; [unrolled: 13-line block ×8, first 2 shown]
	ds_load_b128 v[17:20], v139 offset:14352
	ds_load_b128 v[21:24], v140 offset:16
	ds_load_b128 v[25:28], v140 offset:176
	ds_load_b128 v[29:32], v140 offset:336
	ds_load_b128 v[33:36], v140 offset:496
	ds_load_b128 v[37:40], v140 offset:656
	ds_load_b128 v[41:44], v140 offset:816
	ds_load_b128 v[45:48], v140 offset:976
	ds_load_b128 v[49:52], v140 offset:1136
	s_waitcnt lgkmcnt(7)
	;;#ASMSTART
	v_dot2_f32_f16 v0, v17, v21, v0
	;;#ASMEND
	;;#ASMSTART
	v_dot2_f32_f16 v0, v18, v22, v0
	;;#ASMEND
	;;#ASMSTART
	v_dot2_f32_f16 v0, v19, v23, v0
	;;#ASMEND
	;;#ASMSTART
	v_dot2_f32_f16 v0, v20, v24, v0
	;;#ASMEND
	s_waitcnt lgkmcnt(6)
	;;#ASMSTART
	v_dot2_f32_f16 v1, v17, v25, v1
	;;#ASMEND
	;;#ASMSTART
	v_dot2_f32_f16 v1, v18, v26, v1
	;;#ASMEND
	;;#ASMSTART
	v_dot2_f32_f16 v1, v19, v27, v1
	;;#ASMEND
	;;#ASMSTART
	v_dot2_f32_f16 v1, v20, v28, v1
	;;#ASMEND
	;; [unrolled: 13-line block ×8, first 2 shown]
	ds_load_b128 v[17:20], v139 offset:14368
	ds_load_b128 v[21:24], v140 offset:32
	;; [unrolled: 1-line block ×9, first 2 shown]
	s_waitcnt lgkmcnt(7)
	;;#ASMSTART
	v_dot2_f32_f16 v0, v17, v21, v0
	;;#ASMEND
	;;#ASMSTART
	v_dot2_f32_f16 v0, v18, v22, v0
	;;#ASMEND
	;;#ASMSTART
	v_dot2_f32_f16 v0, v19, v23, v0
	;;#ASMEND
	;;#ASMSTART
	v_dot2_f32_f16 v0, v20, v24, v0
	;;#ASMEND
	s_waitcnt lgkmcnt(6)
	;;#ASMSTART
	v_dot2_f32_f16 v1, v17, v25, v1
	;;#ASMEND
	;;#ASMSTART
	v_dot2_f32_f16 v1, v18, v26, v1
	;;#ASMEND
	;;#ASMSTART
	v_dot2_f32_f16 v1, v19, v27, v1
	;;#ASMEND
	;;#ASMSTART
	v_dot2_f32_f16 v1, v20, v28, v1
	;;#ASMEND
	;; [unrolled: 13-line block ×8, first 2 shown]
	ds_load_b128 v[17:20], v139 offset:14384
	ds_load_b128 v[21:24], v140 offset:48
	;; [unrolled: 1-line block ×9, first 2 shown]
	s_waitcnt lgkmcnt(7)
	;;#ASMSTART
	v_dot2_f32_f16 v0, v17, v21, v0
	;;#ASMEND
	;;#ASMSTART
	v_dot2_f32_f16 v0, v18, v22, v0
	;;#ASMEND
	;;#ASMSTART
	v_dot2_f32_f16 v0, v19, v23, v0
	;;#ASMEND
	;;#ASMSTART
	v_dot2_f32_f16 v0, v20, v24, v0
	;;#ASMEND
	s_waitcnt lgkmcnt(6)
	;;#ASMSTART
	v_dot2_f32_f16 v1, v17, v25, v1
	;;#ASMEND
	;;#ASMSTART
	v_dot2_f32_f16 v1, v18, v26, v1
	;;#ASMEND
	;;#ASMSTART
	v_dot2_f32_f16 v1, v19, v27, v1
	;;#ASMEND
	;;#ASMSTART
	v_dot2_f32_f16 v1, v20, v28, v1
	;;#ASMEND
	;; [unrolled: 13-line block ×8, first 2 shown]
	ds_load_b128 v[17:20], v139 offset:14400
	ds_load_b128 v[21:24], v140 offset:64
	;; [unrolled: 1-line block ×9, first 2 shown]
	s_waitcnt lgkmcnt(7)
	;;#ASMSTART
	v_dot2_f32_f16 v0, v17, v21, v0
	;;#ASMEND
	;;#ASMSTART
	v_dot2_f32_f16 v0, v18, v22, v0
	;;#ASMEND
	;;#ASMSTART
	v_dot2_f32_f16 v0, v19, v23, v0
	;;#ASMEND
	;;#ASMSTART
	v_dot2_f32_f16 v0, v20, v24, v0
	;;#ASMEND
	s_waitcnt lgkmcnt(6)
	;;#ASMSTART
	v_dot2_f32_f16 v1, v17, v25, v1
	;;#ASMEND
	;;#ASMSTART
	v_dot2_f32_f16 v1, v18, v26, v1
	;;#ASMEND
	;;#ASMSTART
	v_dot2_f32_f16 v1, v19, v27, v1
	;;#ASMEND
	;;#ASMSTART
	v_dot2_f32_f16 v1, v20, v28, v1
	;;#ASMEND
	;; [unrolled: 13-line block ×8, first 2 shown]
	s_barrier
	buffer_gl0_inv
	s_and_saveexec_b32 s9, vcc_lo
	s_cbranch_execz .LBB33_29
; %bb.28:                               ;   in Loop: Header=BB33_23 Depth=1
	v_add_co_u32 v17, s6, s7, v105
	s_delay_alu instid0(VALU_DEP_1)
	v_add_co_ci_u32_e64 v18, s6, s8, v106, s6
	global_load_b128 v[17:20], v[17:18], off offset:144
	s_waitcnt vmcnt(0)
	ds_store_b128 v141, v[17:20]
.LBB33_29:                              ;   in Loop: Header=BB33_23 Depth=1
	s_or_b32 exec_lo, exec_lo, s9
	s_and_saveexec_b32 s9, s3
	s_cbranch_execz .LBB33_31
; %bb.30:                               ;   in Loop: Header=BB33_23 Depth=1
	v_add_co_u32 v17, s6, s7, v107
	s_delay_alu instid0(VALU_DEP_1) | instskip(NEXT) | instid1(VALU_DEP_2)
	v_add_co_ci_u32_e64 v18, s6, s8, v108, s6
	v_add_co_u32 v16, s6, v17, v16
	s_delay_alu instid0(VALU_DEP_1)
	v_add_co_ci_u32_e64 v17, s6, 0, v18, s6
	global_load_b128 v[16:19], v[16:17], off offset:80
	s_waitcnt vmcnt(0)
	ds_store_b128 v143, v[16:19]
.LBB33_31:                              ;   in Loop: Header=BB33_23 Depth=1
	s_or_b32 exec_lo, exec_lo, s9
	s_waitcnt lgkmcnt(0)
	s_barrier
	buffer_gl0_inv
	ds_load_b128 v[16:19], v139 offset:14336
	ds_load_b128 v[20:23], v140 offset:80
	;; [unrolled: 1-line block ×9, first 2 shown]
	v_add_nc_u32_e32 v53, s35, v119
	v_xor_b32_e32 v163, 16, v133
	v_xor_b32_e32 v164, 8, v133
	;; [unrolled: 1-line block ×4, first 2 shown]
	v_add_nc_u32_e32 v54, v53, v147
	v_xor_b32_e32 v167, 1, v133
	s_mul_hi_i32 s37, s35, s41
	s_mul_i32 s36, s35, s41
	s_waitcnt lgkmcnt(7)
	;;#ASMSTART
	v_dot2_f32_f16 v0, v16, v20, v0
	;;#ASMEND
	;;#ASMSTART
	v_dot2_f32_f16 v0, v17, v21, v0
	;;#ASMEND
	;;#ASMSTART
	v_dot2_f32_f16 v0, v18, v22, v0
	;;#ASMEND
	;;#ASMSTART
	v_dot2_f32_f16 v0, v19, v23, v0
	;;#ASMEND
	s_waitcnt lgkmcnt(6)
	;;#ASMSTART
	v_dot2_f32_f16 v1, v16, v24, v1
	;;#ASMEND
	;;#ASMSTART
	v_dot2_f32_f16 v1, v17, v25, v1
	;;#ASMEND
	;;#ASMSTART
	v_dot2_f32_f16 v1, v18, v26, v1
	;;#ASMEND
	;;#ASMSTART
	v_dot2_f32_f16 v1, v19, v27, v1
	;;#ASMEND
	;; [unrolled: 13-line block ×8, first 2 shown]
	ds_load_b128 v[16:19], v139 offset:14352
	ds_load_b128 v[20:23], v140 offset:96
	;; [unrolled: 1-line block ×9, first 2 shown]
	s_lshl_b64 s[36:37], s[36:37], 2
	s_waitcnt lgkmcnt(7)
	;;#ASMSTART
	v_dot2_f32_f16 v0, v16, v20, v0
	;;#ASMEND
	;;#ASMSTART
	v_dot2_f32_f16 v0, v17, v21, v0
	;;#ASMEND
	;;#ASMSTART
	v_dot2_f32_f16 v0, v18, v22, v0
	;;#ASMEND
	;;#ASMSTART
	v_dot2_f32_f16 v0, v19, v23, v0
	;;#ASMEND
	s_waitcnt lgkmcnt(6)
	;;#ASMSTART
	v_dot2_f32_f16 v1, v16, v24, v1
	;;#ASMEND
	;;#ASMSTART
	v_dot2_f32_f16 v1, v17, v25, v1
	;;#ASMEND
	;;#ASMSTART
	v_dot2_f32_f16 v1, v18, v26, v1
	;;#ASMEND
	;;#ASMSTART
	v_dot2_f32_f16 v1, v19, v27, v1
	;;#ASMEND
	;; [unrolled: 13-line block ×8, first 2 shown]
	ds_load_b128 v[16:19], v139 offset:14368
	ds_load_b128 v[20:23], v140 offset:112
	;; [unrolled: 1-line block ×9, first 2 shown]
	s_waitcnt lgkmcnt(7)
	;;#ASMSTART
	v_dot2_f32_f16 v0, v16, v20, v0
	;;#ASMEND
	;;#ASMSTART
	v_dot2_f32_f16 v0, v17, v21, v0
	;;#ASMEND
	;;#ASMSTART
	v_dot2_f32_f16 v0, v18, v22, v0
	;;#ASMEND
	;;#ASMSTART
	v_dot2_f32_f16 v0, v19, v23, v0
	;;#ASMEND
	s_waitcnt lgkmcnt(6)
	;;#ASMSTART
	v_dot2_f32_f16 v1, v16, v24, v1
	;;#ASMEND
	;;#ASMSTART
	v_dot2_f32_f16 v1, v17, v25, v1
	;;#ASMEND
	;;#ASMSTART
	v_dot2_f32_f16 v1, v18, v26, v1
	;;#ASMEND
	;;#ASMSTART
	v_dot2_f32_f16 v1, v19, v27, v1
	;;#ASMEND
	;; [unrolled: 13-line block ×8, first 2 shown]
	ds_load_b128 v[16:19], v139 offset:14384
	ds_load_b128 v[20:23], v140 offset:128
	;; [unrolled: 1-line block ×9, first 2 shown]
	s_waitcnt lgkmcnt(7)
	;;#ASMSTART
	v_dot2_f32_f16 v0, v16, v20, v0
	;;#ASMEND
	;;#ASMSTART
	v_dot2_f32_f16 v0, v17, v21, v0
	;;#ASMEND
	;;#ASMSTART
	v_dot2_f32_f16 v0, v18, v22, v0
	;;#ASMEND
	;;#ASMSTART
	v_dot2_f32_f16 v0, v19, v23, v0
	;;#ASMEND
	s_waitcnt lgkmcnt(6)
	;;#ASMSTART
	v_dot2_f32_f16 v1, v16, v24, v1
	;;#ASMEND
	;;#ASMSTART
	v_dot2_f32_f16 v1, v17, v25, v1
	;;#ASMEND
	;;#ASMSTART
	v_dot2_f32_f16 v1, v18, v26, v1
	;;#ASMEND
	;;#ASMSTART
	v_dot2_f32_f16 v1, v19, v27, v1
	;;#ASMEND
	;; [unrolled: 13-line block ×8, first 2 shown]
	ds_load_b128 v[16:19], v139 offset:14400
	ds_load_b128 v[20:23], v140 offset:144
	v_add_nc_u32_e32 v36, v53, v144
	v_add_nc_u32_e32 v38, v53, v145
	ds_load_b128 v[24:27], v140 offset:304
	ds_load_b128 v[28:31], v140 offset:464
	;; [unrolled: 1-line block ×3, first 2 shown]
	v_ashrrev_i32_e32 v37, 31, v36
	v_ashrrev_i32_e32 v39, 31, v38
	v_add_nc_u32_e32 v52, v53, v146
	v_lshlrev_b32_e32 v188, 2, v149
	s_add_u32 s36, s48, s36
	v_lshlrev_b64 v[55:56], 1, v[36:37]
	v_lshlrev_b64 v[57:58], 1, v[38:39]
	ds_load_b128 v[36:39], v140 offset:784
	ds_load_b128 v[40:43], v140 offset:944
	;; [unrolled: 1-line block ×4, first 2 shown]
	s_waitcnt lgkmcnt(7)
	;;#ASMSTART
	v_dot2_f32_f16 v0, v16, v20, v0
	;;#ASMEND
	;;#ASMSTART
	v_dot2_f32_f16 v0, v17, v21, v0
	;;#ASMEND
	;; [unrolled: 3-line block ×4, first 2 shown]
	s_waitcnt lgkmcnt(6)
	;;#ASMSTART
	v_dot2_f32_f16 v1, v16, v24, v1
	;;#ASMEND
	;;#ASMSTART
	v_dot2_f32_f16 v1, v17, v25, v1
	;;#ASMEND
	;; [unrolled: 3-line block ×4, first 2 shown]
	v_max_f32_e32 v27, v12, v12
	s_waitcnt lgkmcnt(5)
	;;#ASMSTART
	v_dot2_f32_f16 v2, v16, v28, v2
	;;#ASMEND
	;;#ASMSTART
	v_dot2_f32_f16 v2, v17, v29, v2
	;;#ASMEND
	;;#ASMSTART
	v_dot2_f32_f16 v2, v18, v30, v2
	;;#ASMEND
	;;#ASMSTART
	v_dot2_f32_f16 v2, v19, v31, v2
	;;#ASMEND
	s_waitcnt lgkmcnt(4)
	;;#ASMSTART
	v_dot2_f32_f16 v3, v16, v32, v3
	;;#ASMEND
	;;#ASMSTART
	v_dot2_f32_f16 v3, v17, v33, v3
	;;#ASMEND
	;;#ASMSTART
	v_dot2_f32_f16 v3, v18, v34, v3
	;;#ASMEND
	;;#ASMSTART
	v_dot2_f32_f16 v3, v19, v35, v3
	;;#ASMEND
	s_waitcnt lgkmcnt(3)
	;;#ASMSTART
	v_dot2_f32_f16 v4, v16, v36, v4
	;;#ASMEND
	;;#ASMSTART
	v_dot2_f32_f16 v4, v17, v37, v4
	;;#ASMEND
	;;#ASMSTART
	v_dot2_f32_f16 v4, v18, v38, v4
	;;#ASMEND
	;;#ASMSTART
	v_dot2_f32_f16 v4, v19, v39, v4
	;;#ASMEND
	s_waitcnt lgkmcnt(2)
	;;#ASMSTART
	v_dot2_f32_f16 v5, v16, v40, v5
	;;#ASMEND
	;;#ASMSTART
	v_dot2_f32_f16 v5, v17, v41, v5
	;;#ASMEND
	;;#ASMSTART
	v_dot2_f32_f16 v5, v18, v42, v5
	;;#ASMEND
	;;#ASMSTART
	v_dot2_f32_f16 v5, v19, v43, v5
	;;#ASMEND
	s_waitcnt lgkmcnt(1)
	;;#ASMSTART
	v_dot2_f32_f16 v6, v16, v44, v6
	;;#ASMEND
	v_ashrrev_i32_e32 v53, 31, v52
	;;#ASMSTART
	v_dot2_f32_f16 v6, v17, v45, v6
	;;#ASMEND
	;;#ASMSTART
	v_dot2_f32_f16 v6, v18, v46, v6
	;;#ASMEND
	;; [unrolled: 3-line block ×3, first 2 shown]
	s_waitcnt lgkmcnt(0)
	;;#ASMSTART
	v_dot2_f32_f16 v7, v16, v48, v7
	;;#ASMEND
	;;#ASMSTART
	v_dot2_f32_f16 v7, v17, v49, v7
	;;#ASMEND
	v_add_co_u32 v16, s6, s42, v55
	v_ashrrev_i32_e32 v55, 31, v54
	;;#ASMSTART
	v_dot2_f32_f16 v7, v18, v50, v7
	;;#ASMEND
	;;#ASMSTART
	v_dot2_f32_f16 v7, v19, v51, v7
	;;#ASMEND
	v_lshlrev_b64 v[18:19], 1, v[52:53]
	v_add_co_ci_u32_e64 v17, s6, s43, v56, s6
	v_add_co_u32 v20, s6, s42, v57
	v_lshlrev_b64 v[22:23], 1, v[54:55]
	v_add_co_ci_u32_e64 v21, s6, s43, v58, s6
	v_add_co_u32 v18, s6, s42, v18
	s_delay_alu instid0(VALU_DEP_1) | instskip(NEXT) | instid1(VALU_DEP_4)
	v_add_co_ci_u32_e64 v19, s6, s43, v19, s6
	v_add_co_u32 v22, s6, s42, v22
	s_delay_alu instid0(VALU_DEP_1)
	v_add_co_ci_u32_e64 v23, s6, s43, v23, s6
	s_clause 0x3
	flat_load_u16 v16, v[16:17]
	flat_load_u16 v17, v[20:21]
	;; [unrolled: 1-line block ×4, first 2 shown]
	v_cmp_gt_i32_e64 s6, 32, v163
	v_dual_max_f32 v20, v9, v9 :: v_dual_max_f32 v21, v8, v8
	v_dual_max_f32 v22, v10, v10 :: v_dual_max_f32 v23, v13, v13
	s_delay_alu instid0(VALU_DEP_3)
	v_cndmask_b32_e64 v25, v133, v163, s6
	v_max_f32_e32 v24, v11, v11
	v_cmp_gt_i32_e64 s6, 32, v164
	s_addc_u32 s37, s49, s37
	s_waitcnt vmcnt(0) lgkmcnt(0)
	v_lshlrev_b32_e32 v25, 2, v25
	s_barrier
	buffer_gl0_inv
	v_cvt_f32_f16_e32 v16, v16
	v_max_f32_e32 v26, v14, v14
	v_cvt_f32_f16_e32 v18, v18
	v_max_f32_e32 v28, v15, v15
	v_cvt_f32_f16_e32 v17, v17
	v_cvt_f32_f16_e32 v19, v19
	v_add_f32_e32 v29, v1, v16
	v_dual_add_f32 v31, v5, v18 :: v_dual_add_f32 v16, v0, v16
	s_delay_alu instid0(VALU_DEP_4) | instskip(SKIP_1) | instid1(VALU_DEP_4)
	v_add_f32_e32 v30, v3, v17
	v_add_f32_e32 v17, v2, v17
	;; [unrolled: 1-line block ×3, first 2 shown]
	s_delay_alu instid0(VALU_DEP_4) | instskip(NEXT) | instid1(VALU_DEP_4)
	v_add_f32_e32 v5, 0x40051340, v31
	v_dual_add_f32 v32, v7, v19 :: v_dual_add_f32 v3, 0x40051340, v30
	v_dual_add_f32 v19, v6, v19 :: v_dual_add_f32 v0, 0x40051340, v16
	s_delay_alu instid0(VALU_DEP_4) | instskip(NEXT) | instid1(VALU_DEP_3)
	v_max_f32_e32 v1, v20, v1
	v_dual_add_f32 v18, v4, v18 :: v_dual_add_f32 v7, 0x40051340, v32
	s_delay_alu instid0(VALU_DEP_4) | instskip(NEXT) | instid1(VALU_DEP_4)
	v_dual_add_f32 v2, 0x40051340, v17 :: v_dual_max_f32 v3, v22, v3
	v_max_f32_e32 v0, v21, v0
	s_delay_alu instid0(VALU_DEP_3) | instskip(NEXT) | instid1(VALU_DEP_3)
	v_dual_add_f32 v4, 0x40051340, v18 :: v_dual_max_f32 v5, v24, v5
	v_max_f32_e32 v2, v23, v2
	v_max_f32_e32 v7, v27, v7
	ds_bpermute_b32 v21, v25, v0
	v_add_f32_e32 v6, 0x40051340, v19
	ds_bpermute_b32 v20, v25, v1
	ds_bpermute_b32 v23, v25, v2
	;; [unrolled: 1-line block ×3, first 2 shown]
	v_max_f32_e32 v4, v26, v4
	ds_bpermute_b32 v22, v25, v3
	ds_bpermute_b32 v24, v25, v5
	s_waitcnt lgkmcnt(5)
	v_dual_max_f32 v21, v21, v21 :: v_dual_max_f32 v6, v28, v6
	v_cndmask_b32_e64 v28, v133, v164, s6
	s_waitcnt lgkmcnt(3)
	v_max_f32_e32 v23, v23, v23
	s_waitcnt lgkmcnt(2)
	v_max_f32_e32 v27, v27, v27
	ds_bpermute_b32 v26, v25, v4
	ds_bpermute_b32 v25, v25, v6
	v_max_f32_e32 v20, v20, v20
	v_cmp_gt_i32_e64 s6, 32, v165
	s_waitcnt lgkmcnt(3)
	v_dual_max_f32 v7, v7, v27 :: v_dual_max_f32 v22, v22, v22
	s_delay_alu instid0(VALU_DEP_3) | instskip(NEXT) | instid1(VALU_DEP_2)
	v_max_f32_e32 v1, v1, v20
	v_dual_max_f32 v3, v3, v22 :: v_dual_lshlrev_b32 v28, 2, v28
	ds_bpermute_b32 v20, v28, v1
	ds_bpermute_b32 v22, v28, v3
	s_waitcnt lgkmcnt(2)
	v_dual_max_f32 v25, v25, v25 :: v_dual_max_f32 v2, v2, v23
	ds_bpermute_b32 v23, v28, v2
	v_max_f32_e32 v0, v0, v21
	s_waitcnt lgkmcnt(2)
	v_max_f32_e32 v20, v20, v20
	s_delay_alu instid0(VALU_DEP_1)
	v_dual_max_f32 v6, v6, v25 :: v_dual_max_f32 v1, v1, v20
	ds_bpermute_b32 v27, v28, v6
	s_waitcnt lgkmcnt(1)
	v_max_f32_e32 v23, v23, v23
	ds_bpermute_b32 v21, v28, v0
	s_waitcnt lgkmcnt(1)
	v_dual_max_f32 v24, v24, v24 :: v_dual_max_f32 v27, v27, v27
	s_waitcnt lgkmcnt(0)
	v_dual_max_f32 v21, v21, v21 :: v_dual_max_f32 v26, v26, v26
	s_delay_alu instid0(VALU_DEP_1)
	v_dual_max_f32 v5, v5, v24 :: v_dual_max_f32 v4, v4, v26
	ds_bpermute_b32 v24, v28, v5
	ds_bpermute_b32 v26, v28, v7
	;; [unrolled: 1-line block ×3, first 2 shown]
	v_cndmask_b32_e64 v28, v133, v165, s6
	v_cmp_gt_i32_e64 s6, 32, v166
	s_waitcnt lgkmcnt(2)
	v_max_f32_e32 v24, v24, v24
	s_waitcnt lgkmcnt(0)
	v_dual_max_f32 v22, v22, v22 :: v_dual_max_f32 v25, v25, v25
	s_delay_alu instid0(VALU_DEP_2) | instskip(NEXT) | instid1(VALU_DEP_2)
	v_max_f32_e32 v5, v5, v24
	v_dual_max_f32 v3, v3, v22 :: v_dual_lshlrev_b32 v28, 2, v28
	ds_bpermute_b32 v20, v28, v1
	ds_bpermute_b32 v24, v28, v5
	;; [unrolled: 1-line block ×3, first 2 shown]
	s_waitcnt lgkmcnt(2)
	v_max_f32_e32 v20, v20, v20
	v_max_f32_e32 v4, v4, v25
	s_waitcnt lgkmcnt(1)
	v_max_f32_e32 v24, v24, v24
	s_waitcnt lgkmcnt(0)
	v_dual_max_f32 v22, v22, v22 :: v_dual_max_f32 v1, v1, v20
	ds_bpermute_b32 v25, v28, v4
	v_dual_max_f32 v5, v5, v24 :: v_dual_max_f32 v2, v2, v23
	v_dual_max_f32 v6, v6, v27 :: v_dual_max_f32 v3, v3, v22
	ds_bpermute_b32 v27, v28, v6
	v_max_f32_e32 v0, v0, v21
	s_waitcnt lgkmcnt(1)
	v_max_f32_e32 v25, v25, v25
	ds_bpermute_b32 v23, v28, v2
	s_waitcnt lgkmcnt(1)
	v_dual_max_f32 v26, v26, v26 :: v_dual_max_f32 v27, v27, v27
	ds_bpermute_b32 v21, v28, v0
	s_waitcnt lgkmcnt(1)
	v_max_f32_e32 v23, v23, v23
	v_max_f32_e32 v7, v7, v26
	ds_bpermute_b32 v26, v28, v7
	v_cndmask_b32_e64 v28, v133, v166, s6
	s_waitcnt lgkmcnt(1)
	v_max_f32_e32 v21, v21, v21
	v_cmp_gt_i32_e64 s6, 32, v167
	s_waitcnt lgkmcnt(0)
	v_max_f32_e32 v26, v26, v26
	s_delay_alu instid0(VALU_DEP_1)
	v_dual_max_f32 v7, v7, v26 :: v_dual_lshlrev_b32 v28, 2, v28
	ds_bpermute_b32 v24, v28, v5
	ds_bpermute_b32 v20, v28, v1
	;; [unrolled: 1-line block ×4, first 2 shown]
	s_waitcnt lgkmcnt(3)
	v_max_f32_e32 v24, v24, v24
	v_max_f32_e32 v6, v6, v27
	s_waitcnt lgkmcnt(2)
	v_max_f32_e32 v20, v20, v20
	v_max_f32_e32 v2, v2, v23
	s_waitcnt lgkmcnt(1)
	v_dual_max_f32 v22, v22, v22 :: v_dual_max_f32 v5, v5, v24
	ds_bpermute_b32 v27, v28, v6
	v_max_f32_e32 v0, v0, v21
	v_dual_max_f32 v4, v4, v25 :: v_dual_max_f32 v3, v3, v22
	s_waitcnt lgkmcnt(1)
	v_dual_max_f32 v26, v26, v26 :: v_dual_max_f32 v1, v1, v20
	ds_bpermute_b32 v23, v28, v2
	ds_bpermute_b32 v25, v28, v4
	v_max_f32_e32 v7, v7, v26
	s_waitcnt lgkmcnt(2)
	v_max_f32_e32 v27, v27, v27
	ds_bpermute_b32 v21, v28, v0
	v_cndmask_b32_e64 v28, v133, v167, s6
	s_waitcnt lgkmcnt(2)
	s_delay_alu instid0(VALU_DEP_1)
	v_dual_max_f32 v23, v23, v23 :: v_dual_lshlrev_b32 v28, 2, v28
	s_waitcnt lgkmcnt(1)
	v_max_f32_e32 v25, v25, v25
	ds_bpermute_b32 v22, v28, v3
	ds_bpermute_b32 v26, v28, v7
	;; [unrolled: 1-line block ×4, first 2 shown]
	s_waitcnt lgkmcnt(3)
	v_dual_max_f32 v21, v21, v21 :: v_dual_max_f32 v22, v22, v22
	v_max_f32_e32 v2, v2, v23
	s_waitcnt lgkmcnt(2)
	v_max_f32_e32 v26, v26, v26
	s_delay_alu instid0(VALU_DEP_3)
	v_dual_max_f32 v6, v6, v27 :: v_dual_max_f32 v3, v3, v22
	ds_bpermute_b32 v23, v28, v2
	v_max_f32_e32 v7, v7, v26
	ds_bpermute_b32 v27, v28, v6
	s_waitcnt lgkmcnt(1)
	v_max_f32_e32 v23, v23, v23
	s_waitcnt lgkmcnt(0)
	v_max_f32_e32 v27, v27, v27
	s_delay_alu instid0(VALU_DEP_1) | instskip(NEXT) | instid1(VALU_DEP_1)
	v_max_f32_e32 v6, v6, v27
	v_dual_max_f32 v2, v2, v23 :: v_dual_sub_f32 v179, v15, v6
	s_delay_alu instid0(VALU_DEP_1) | instskip(SKIP_2) | instid1(VALU_DEP_3)
	v_dual_max_f32 v20, v20, v20 :: v_dual_sub_f32 v183, v13, v2
	v_max_f32_e32 v0, v0, v21
	v_dual_max_f32 v24, v24, v24 :: v_dual_sub_f32 v13, v30, v3
	v_max_f32_e32 v1, v1, v20
	v_sub_f32_e32 v15, v32, v7
	ds_bpermute_b32 v21, v28, v0
	v_cmp_ngt_f32_e64 s13, 0xc2ce8ed0, v183
	v_cmp_nlt_f32_e64 s8, 0x42b17218, v183
	v_sub_f32_e32 v186, v9, v1
	v_dual_sub_f32 v9, v17, v2 :: v_dual_max_f32 v4, v4, v25
	v_max_f32_e32 v5, v5, v24
	v_cmp_ngt_f32_e64 s20, 0xc2ce8ed0, v179
	v_cmp_nlt_f32_e64 s16, 0x42b17218, v179
	ds_bpermute_b32 v25, v28, v4
	v_sub_f32_e32 v182, v11, v5
	s_waitcnt lgkmcnt(1)
	v_max_f32_e32 v21, v21, v21
	s_delay_alu instid0(VALU_DEP_1) | instskip(NEXT) | instid1(VALU_DEP_1)
	v_max_f32_e32 v0, v0, v21
	v_sub_f32_e32 v185, v8, v0
	s_waitcnt lgkmcnt(0)
	v_dual_sub_f32 v8, v16, v0 :: v_dual_max_f32 v25, v25, v25
	s_delay_alu instid0(VALU_DEP_2) | instskip(NEXT) | instid1(VALU_DEP_2)
	v_cmp_ngt_f32_e64 s9, 0xc2ce8ed0, v185
	v_dual_mul_f32 v17, 0x3fb8aa3b, v8 :: v_dual_max_f32 v4, v4, v25
	v_sub_f32_e32 v11, v19, v6
	v_mul_f32_e32 v19, 0x3fb8aa3b, v9
	v_sub_f32_e32 v16, v29, v1
	s_delay_alu instid0(VALU_DEP_4)
	v_fma_f32 v26, 0x3fb8aa3b, v8, -v17
	v_sub_f32_e32 v181, v14, v4
	v_rndne_f32_e32 v27, v17
	v_dual_sub_f32 v14, v31, v5 :: v_dual_mul_f32 v23, 0x3fb8aa3b, v11
	v_fma_f32 v30, 0x3fb8aa3b, v9, -v19
	v_rndne_f32_e32 v31, v19
	s_delay_alu instid0(VALU_DEP_4) | instskip(SKIP_2) | instid1(VALU_DEP_4)
	v_dual_sub_f32 v17, v17, v27 :: v_dual_fmac_f32 v26, 0x32a5705f, v8
	v_sub_f32_e32 v184, v10, v3
	v_sub_f32_e32 v10, v18, v4
	v_dual_mul_f32 v18, 0x3fb8aa3b, v13 :: v_dual_sub_f32 v19, v19, v31
	v_rndne_f32_e32 v39, v23
	v_fmac_f32_e32 v30, 0x32a5705f, v9
	v_sub_f32_e32 v180, v12, v7
	v_mul_f32_e32 v12, 0x3fb8aa3b, v16
	v_fma_f32 v38, 0x3fb8aa3b, v11, -v23
	v_sub_f32_e32 v23, v23, v39
	v_fma_f32 v28, 0x3fb8aa3b, v13, -v18
	v_rndne_f32_e32 v29, v18
	v_fma_f32 v24, 0x3fb8aa3b, v16, -v12
	v_rndne_f32_e32 v25, v12
	v_fmac_f32_e32 v38, 0x32a5705f, v11
	v_mul_f32_e32 v20, 0x3fb8aa3b, v14
	v_mul_f32_e32 v21, 0x3fb8aa3b, v10
	v_fmac_f32_e32 v24, 0x32a5705f, v16
	s_delay_alu instid0(VALU_DEP_4) | instskip(SKIP_2) | instid1(VALU_DEP_3)
	v_dual_sub_f32 v12, v12, v25 :: v_dual_add_f32 v23, v23, v38
	v_fmac_f32_e32 v28, 0x32a5705f, v13
	v_dual_sub_f32 v18, v18, v29 :: v_dual_add_f32 v17, v17, v26
	v_add_f32_e32 v12, v12, v24
	v_fma_f32 v32, 0x3fb8aa3b, v14, -v20
	v_rndne_f32_e32 v33, v20
	v_fma_f32 v34, 0x3fb8aa3b, v10, -v21
	v_rndne_f32_e32 v35, v21
	v_exp_f32_e32 v12, v12
	v_cvt_i32_f32_e32 v25, v25
	v_add_f32_e32 v18, v18, v28
	v_exp_f32_e32 v17, v17
	v_cvt_i32_f32_e32 v27, v27
	v_fmac_f32_e32 v32, 0x32a5705f, v14
	v_sub_f32_e32 v20, v20, v33
	v_dual_fmac_f32 v34, 0x32a5705f, v10 :: v_dual_sub_f32 v21, v21, v35
	v_dual_mul_f32 v22, 0x3fb8aa3b, v15 :: v_dual_add_f32 v19, v19, v30
	v_exp_f32_e32 v18, v18
	v_ldexp_f32 v12, v12, v25
	s_delay_alu instid0(VALU_DEP_3)
	v_add_f32_e32 v21, v21, v34
	v_cmp_ngt_f32_e64 s22, 0xc2ce8ed0, v16
	v_fma_f32 v36, 0x3fb8aa3b, v15, -v22
	v_rndne_f32_e32 v37, v22
	v_cvt_i32_f32_e32 v29, v29
	v_add_f32_e32 v20, v20, v32
	v_exp_f32_e32 v19, v19
	v_ldexp_f32 v17, v17, v27
	v_cndmask_b32_e64 v12, 0, v12, s22
	v_cmp_ngt_f32_e64 s22, 0xc2ce8ed0, v8
	v_cvt_i32_f32_e32 v31, v31
	v_fmac_f32_e32 v36, 0x32a5705f, v15
	v_sub_f32_e32 v22, v22, v37
	v_exp_f32_e32 v20, v20
	v_ldexp_f32 v18, v18, v29
	v_cndmask_b32_e64 v17, 0, v17, s22
	v_cmp_ngt_f32_e64 s22, 0xc2ce8ed0, v13
	v_cvt_i32_f32_e32 v33, v33
	v_add_f32_e32 v22, v22, v36
	v_exp_f32_e32 v21, v21
	v_ldexp_f32 v19, v19, v31
	v_cndmask_b32_e64 v18, 0, v18, s22
	v_cmp_ngt_f32_e64 s22, 0xc2ce8ed0, v9
	v_cvt_i32_f32_e32 v35, v35
	v_exp_f32_e32 v22, v22
	v_ldexp_f32 v20, v20, v33
	v_exp_f32_e32 v23, v23
	v_cndmask_b32_e64 v19, 0, v19, s22
	v_cmp_ngt_f32_e64 s22, 0xc2ce8ed0, v14
	v_cvt_i32_f32_e32 v24, v37
	v_ldexp_f32 v21, v21, v35
	v_cvt_i32_f32_e32 v26, v39
	v_cmp_nlt_f32_e64 s6, 0x42b17218, v185
	v_cndmask_b32_e64 v20, 0, v20, s22
	v_cmp_ngt_f32_e64 s22, 0xc2ce8ed0, v10
	v_ldexp_f32 v22, v22, v24
	v_ldexp_f32 v23, v23, v26
	v_cmp_ngt_f32_e64 s12, 0xc2ce8ed0, v186
	v_cmp_nlt_f32_e64 s7, 0x42b17218, v186
	v_cndmask_b32_e64 v21, 0, v21, s22
	v_cmp_ngt_f32_e64 s22, 0xc2ce8ed0, v15
	v_cmp_ngt_f32_e64 s17, 0xc2ce8ed0, v184
	v_cmp_nlt_f32_e64 s10, 0x42b17218, v184
	v_cmp_ngt_f32_e64 s18, 0xc2ce8ed0, v181
	v_cmp_nlt_f32_e64 s11, 0x42b17218, v181
	v_cndmask_b32_e64 v22, 0, v22, s22
	v_cmp_ngt_f32_e64 s22, 0xc2ce8ed0, v11
	v_cmp_ngt_f32_e64 s19, 0xc2ce8ed0, v182
	v_cmp_nlt_f32_e64 s15, 0x42b17218, v182
	v_cmp_ngt_f32_e64 s21, 0xc2ce8ed0, v180
	s_delay_alu instid0(VALU_DEP_4) | instskip(SKIP_1) | instid1(VALU_DEP_1)
	v_cndmask_b32_e64 v23, 0, v23, s22
	v_cmp_nlt_f32_e64 s22, 0x42b17218, v16
	v_cndmask_b32_e64 v172, 0x7f800000, v12, s22
	v_cmp_nlt_f32_e64 s22, 0x42b17218, v8
	s_delay_alu instid0(VALU_DEP_2) | instskip(NEXT) | instid1(VALU_DEP_2)
	v_cvt_f16_f32_e64 v8, v172
	v_cndmask_b32_e64 v175, 0x7f800000, v17, s22
	v_cmp_nlt_f32_e64 s22, 0x42b17218, v13
	s_delay_alu instid0(VALU_DEP_1) | instskip(SKIP_1) | instid1(VALU_DEP_2)
	v_cndmask_b32_e64 v170, 0x7f800000, v18, s22
	v_cmp_nlt_f32_e64 s22, 0x42b17218, v9
	v_cvt_f16_f32_e64 v9, v170
	s_delay_alu instid0(VALU_DEP_2) | instskip(SKIP_1) | instid1(VALU_DEP_2)
	v_cndmask_b32_e64 v174, 0x7f800000, v19, s22
	v_cmp_nlt_f32_e64 s22, 0x42b17218, v14
	v_cvt_f16_f32_e64 v14, v174
	s_delay_alu instid0(VALU_DEP_2) | instskip(SKIP_1) | instid1(VALU_DEP_3)
	v_cndmask_b32_e64 v169, 0x7f800000, v20, s22
	v_cmp_nlt_f32_e64 s22, 0x42b17218, v10
	v_pack_b32_f16 v9, v14, v9
	s_delay_alu instid0(VALU_DEP_3) | instskip(NEXT) | instid1(VALU_DEP_3)
	v_cvt_f16_f32_e64 v10, v169
	v_cndmask_b32_e64 v173, 0x7f800000, v21, s22
	v_cmp_nlt_f32_e64 s22, 0x42b17218, v15
	v_cvt_f16_f32_e64 v15, v175
	s_delay_alu instid0(VALU_DEP_3) | instskip(NEXT) | instid1(VALU_DEP_3)
	v_cvt_f16_f32_e64 v13, v173
	v_cndmask_b32_e64 v168, 0x7f800000, v22, s22
	v_cmp_nlt_f32_e64 s22, 0x42b17218, v11
	s_delay_alu instid0(VALU_DEP_4) | instskip(NEXT) | instid1(VALU_DEP_4)
	v_pack_b32_f16 v8, v15, v8
	v_pack_b32_f16 v10, v13, v10
	s_delay_alu instid0(VALU_DEP_4) | instskip(NEXT) | instid1(VALU_DEP_4)
	v_cvt_f16_f32_e64 v11, v168
	v_cndmask_b32_e64 v171, 0x7f800000, v23, s22
	v_cmp_nlt_f32_e64 s22, 0x42b17218, v180
	s_delay_alu instid0(VALU_DEP_2) | instskip(NEXT) | instid1(VALU_DEP_1)
	v_cvt_f16_f32_e64 v12, v171
	v_pack_b32_f16 v11, v12, v11
	ds_store_b128 v154, v[8:11]
	s_and_saveexec_b32 s50, s4
	s_cbranch_execz .LBB33_33
; %bb.32:                               ;   in Loop: Header=BB33_23 Depth=1
	v_add_co_u32 v8, s23, s36, v109
	s_delay_alu instid0(VALU_DEP_1) | instskip(NEXT) | instid1(VALU_DEP_2)
	v_add_co_ci_u32_e64 v9, s23, s37, v110, s23
	v_add_co_u32 v8, s23, v8, v188
	s_delay_alu instid0(VALU_DEP_1)
	v_add_co_ci_u32_e64 v9, s23, 0, v9, s23
	global_load_b128 v[8:11], v[8:9], off offset:128
	s_waitcnt vmcnt(0)
	ds_store_b128 v152, v[8:11]
.LBB33_33:                              ;   in Loop: Header=BB33_23 Depth=1
	s_or_b32 exec_lo, exec_lo, s50
	v_lshlrev_b32_e32 v187, 2, v150
	s_and_saveexec_b32 s50, s5
	s_cbranch_execz .LBB33_35
; %bb.34:                               ;   in Loop: Header=BB33_23 Depth=1
	v_add_co_u32 v8, s23, s36, v111
	s_delay_alu instid0(VALU_DEP_1) | instskip(NEXT) | instid1(VALU_DEP_2)
	v_add_co_ci_u32_e64 v9, s23, s37, v112, s23
	v_add_co_u32 v8, s23, v8, v187
	s_delay_alu instid0(VALU_DEP_1)
	v_add_co_ci_u32_e64 v9, s23, 0, v9, s23
	global_load_b128 v[8:11], v[8:9], off
	s_waitcnt vmcnt(0)
	ds_store_b128 v153, v[8:11]
.LBB33_35:                              ;   in Loop: Header=BB33_23 Depth=1
	s_or_b32 exec_lo, exec_lo, s50
	v_add_nc_u32_e32 v178, 0x3800, v151
	s_waitcnt lgkmcnt(0)
	s_barrier
	buffer_gl0_inv
	v_add_nc_u32_e32 v177, 0x3c00, v151
	ds_load_2addr_b64 v[92:95], v178 offset1:20
	ds_load_b128 v[100:103], v148
	ds_load_b128 v[96:99], v148 offset:16
	ds_load_b128 v[88:91], v148 offset:32
	;; [unrolled: 1-line block ×3, first 2 shown]
	ds_load_2addr_b64 v[84:87], v178 offset0:40 offset1:60
	ds_load_2addr_b64 v[68:71], v178 offset0:80 offset1:100
	ds_load_b128 v[76:79], v148 offset:64
	ds_load_b128 v[72:75], v148 offset:80
	ds_load_2addr_b64 v[56:59], v178 offset0:120 offset1:140
	ds_load_b128 v[64:67], v148 offset:96
	ds_load_b128 v[60:63], v148 offset:112
	;; [unrolled: 3-line block ×3, first 2 shown]
	ds_load_2addr_b64 v[32:35], v178 offset0:200 offset1:220
	v_add_nc_u32_e32 v176, 0x4000, v151
	ds_load_b128 v[44:47], v148 offset:160
	ds_load_b128 v[36:39], v148 offset:176
	ds_load_2addr_b64 v[20:23], v177 offset0:112 offset1:132
	ds_load_b128 v[28:31], v148 offset:192
	ds_load_b128 v[24:27], v148 offset:208
	ds_load_2addr_b64 v[8:11], v176 offset0:24 offset1:44
	ds_load_b128 v[16:19], v148 offset:224
	ds_load_b128 v[12:15], v148 offset:240
	s_or_b32 s23, s35, 16
	s_waitcnt lgkmcnt(0)
	s_mul_hi_i32 s37, s23, s41
	s_mul_i32 s36, s23, s41
	s_barrier
	s_lshl_b64 s[36:37], s[36:37], 2
	buffer_gl0_inv
	s_add_u32 s36, s48, s36
	s_addc_u32 s37, s49, s37
	s_and_saveexec_b32 s50, s4
	s_cbranch_execz .LBB33_37
; %bb.36:                               ;   in Loop: Header=BB33_23 Depth=1
	v_add_co_u32 v189, s23, s36, v109
	s_delay_alu instid0(VALU_DEP_1) | instskip(NEXT) | instid1(VALU_DEP_2)
	v_add_co_ci_u32_e64 v190, s23, s37, v110, s23
	v_add_co_u32 v188, s23, v189, v188
	s_delay_alu instid0(VALU_DEP_1)
	v_add_co_ci_u32_e64 v189, s23, 0, v190, s23
	global_load_b128 v[188:191], v[188:189], off offset:128
	s_waitcnt vmcnt(0)
	ds_store_b128 v152, v[188:191]
.LBB33_37:                              ;   in Loop: Header=BB33_23 Depth=1
	s_or_b32 exec_lo, exec_lo, s50
	v_dual_mul_f32 v190, 0x3fb8aa3b, v183 :: v_dual_mul_f32 v191, 0x3fb8aa3b, v184
	v_dual_mul_f32 v194, 0x3fb8aa3b, v179 :: v_dual_mul_f32 v195, 0x3fb8aa3b, v180
	;; [unrolled: 1-line block ×4, first 2 shown]
	s_delay_alu instid0(VALU_DEP_4)
	v_fma_f32 v200, 0x3fb8aa3b, v183, -v190
	v_rndne_f32_e32 v201, v190
	v_fma_f32 v202, 0x3fb8aa3b, v184, -v191
	v_fma_f32 v208, 0x3fb8aa3b, v179, -v194
	v_rndne_f32_e32 v209, v194
	v_fma_f32 v196, 0x3fb8aa3b, v185, -v188
	v_rndne_f32_e32 v197, v188
	;; [unrolled: 2-line block ×3, first 2 shown]
	v_rndne_f32_e32 v203, v191
	v_fma_f32 v204, 0x3fb8aa3b, v181, -v192
	v_rndne_f32_e32 v205, v192
	v_fma_f32 v206, 0x3fb8aa3b, v182, -v193
	;; [unrolled: 2-line block ×3, first 2 shown]
	v_rndne_f32_e32 v211, v195
	v_dual_fmac_f32 v200, 0x32a5705f, v183 :: v_dual_sub_f32 v183, v190, v201
	v_fmac_f32_e32 v202, 0x32a5705f, v184
	v_dual_fmac_f32 v208, 0x32a5705f, v179 :: v_dual_sub_f32 v179, v194, v209
	s_delay_alu instid0(VALU_DEP_3)
	v_dual_fmac_f32 v196, 0x32a5705f, v185 :: v_dual_add_f32 v183, v183, v200
	v_dual_sub_f32 v185, v188, v197 :: v_dual_fmac_f32 v198, 0x32a5705f, v186
	v_sub_f32_e32 v186, v189, v199
	v_sub_f32_e32 v184, v191, v203
	v_dual_fmac_f32 v204, 0x32a5705f, v181 :: v_dual_add_f32 v179, v179, v208
	v_dual_sub_f32 v181, v192, v205 :: v_dual_fmac_f32 v206, 0x32a5705f, v182
	v_sub_f32_e32 v182, v193, v207
	v_fmac_f32_e32 v210, 0x32a5705f, v180
	s_delay_alu instid0(VALU_DEP_3) | instskip(SKIP_3) | instid1(VALU_DEP_4)
	v_dual_sub_f32 v180, v195, v211 :: v_dual_add_f32 v181, v181, v204
	v_dual_add_f32 v185, v185, v196 :: v_dual_add_f32 v186, v186, v198
	v_add_f32_e32 v184, v184, v202
	v_add_f32_e32 v182, v182, v206
	;; [unrolled: 1-line block ×3, first 2 shown]
	s_delay_alu instid0(VALU_DEP_4)
	v_exp_f32_e32 v185, v185
	v_exp_f32_e32 v186, v186
	;; [unrolled: 1-line block ×8, first 2 shown]
	v_cvt_i32_f32_e32 v188, v197
	v_cvt_i32_f32_e32 v189, v199
	;; [unrolled: 1-line block ×8, first 2 shown]
	v_ldexp_f32 v185, v185, v188
	v_ldexp_f32 v186, v186, v189
	;; [unrolled: 1-line block ×8, first 2 shown]
	v_cndmask_b32_e64 v185, 0, v185, s9
	v_cndmask_b32_e64 v188, 0, v186, s12
	;; [unrolled: 1-line block ×16, first 2 shown]
	s_and_saveexec_b32 s7, s5
	s_cbranch_execz .LBB33_39
; %bb.38:                               ;   in Loop: Header=BB33_23 Depth=1
	v_add_co_u32 v188, s6, s36, v111
	s_delay_alu instid0(VALU_DEP_1) | instskip(NEXT) | instid1(VALU_DEP_2)
	v_add_co_ci_u32_e64 v189, s6, s37, v112, s6
	v_add_co_u32 v187, s6, v188, v187
	s_delay_alu instid0(VALU_DEP_1)
	v_add_co_ci_u32_e64 v188, s6, 0, v189, s6
	global_load_b128 v[187:190], v[187:188], off
	s_waitcnt vmcnt(0)
	ds_store_b128 v153, v[187:190]
.LBB33_39:                              ;   in Loop: Header=BB33_23 Depth=1
	s_or_b32 exec_lo, exec_lo, s7
	v_dual_fmac_f32 v170, v161, v183 :: v_dual_fmac_f32 v169, v156, v181
	v_cvt_f16_f32_e64 v156, v185
	v_dual_fmac_f32 v171, v157, v180 :: v_dual_fmac_f32 v168, v155, v179
	v_cvt_f16_f32_e64 v155, v184
	v_cvt_f16_f32_e64 v157, v183
	s_delay_alu instid0(VALU_DEP_4)
	v_pk_mul_f16 v135, v156, v135 op_sel_hi:[0,1]
	v_pk_mul_f16 v136, v156, v136 op_sel_hi:[0,1]
	v_cvt_f16_f32_e64 v156, v182
	v_dual_fmac_f32 v175, v158, v186 :: v_dual_fmac_f32 v172, v159, v185
	v_cvt_f16_f32_e64 v158, v186
	v_pk_mul_f16 v131, v155, v131 op_sel_hi:[0,1]
	v_pk_mul_f16 v132, v155, v132 op_sel_hi:[0,1]
	;; [unrolled: 1-line block ×4, first 2 shown]
	v_cvt_f16_f32_e64 v155, v181
	v_pk_mul_f16 v127, v156, v127 op_sel_hi:[0,1]
	v_cvt_f16_f32_e64 v157, v180
	v_pk_mul_f16 v128, v156, v128 op_sel_hi:[0,1]
	;; [unrolled: 2-line block ×3, first 2 shown]
	v_pk_mul_f16 v138, v158, v138 op_sel_hi:[0,1]
	v_pk_mul_f16 v125, v155, v125 op_sel_hi:[0,1]
	;; [unrolled: 1-line block ×7, first 2 shown]
	v_pk_fma_f16 v137, v92, v100, v137 op_sel_hi:[1,0,1]
	v_pk_fma_f16 v135, v92, v100, v135 op_sel:[0,1,0]
	v_pk_fma_f16 v131, v92, v101, v131 op_sel_hi:[1,0,1]
	v_pk_fma_f16 v129, v92, v101, v129 op_sel:[0,1,0]
	;; [unrolled: 2-line block ×120, first 2 shown]
	s_waitcnt lgkmcnt(0)
	s_barrier
	buffer_gl0_inv
	ds_load_2addr_b64 v[16:19], v178 offset1:20
	ds_load_b128 v[20:23], v148 offset:256
	v_pk_fma_f16 v38, v10, v12, v27 op_sel_hi:[1,0,1]
	v_pk_fma_f16 v31, v10, v12, v31 op_sel:[0,1,0]
	v_pk_fma_f16 v32, v10, v13, v32 op_sel_hi:[1,0,1]
	v_pk_fma_f16 v33, v10, v13, v33 op_sel:[0,1,0]
	;; [unrolled: 2-line block ×5, first 2 shown]
	v_pk_fma_f16 v28, v11, v13, v28 op_sel_hi:[1,0,1]
	v_pk_fma_f16 v29, v11, v14, v29 op_sel_hi:[1,0,1]
	v_pk_fma_f16 v41, v11, v13, v25 op_sel:[0,1,0]
	v_pk_fma_f16 v42, v11, v14, v26 op_sel:[0,1,0]
	v_pk_fma_f16 v43, v11, v15, v30 op_sel_hi:[1,0,1]
	v_pk_fma_f16 v44, v11, v15, v9 op_sel:[0,1,0]
	ds_load_b128 v[8:11], v148 offset:272
	ds_load_b128 v[12:15], v148 offset:288
	;; [unrolled: 1-line block ×3, first 2 shown]
	v_dual_fmac_f32 v174, v160, v184 :: v_dual_fmac_f32 v173, v162, v182
	s_waitcnt lgkmcnt(3)
	v_pk_fma_f16 v38, v16, v20, v38 op_sel_hi:[1,0,1]
	v_pk_fma_f16 v45, v16, v20, v31 op_sel:[0,1,0]
	v_pk_fma_f16 v32, v16, v21, v32 op_sel_hi:[1,0,1]
	v_pk_fma_f16 v33, v16, v21, v33 op_sel:[0,1,0]
	;; [unrolled: 2-line block ×5, first 2 shown]
	v_pk_fma_f16 v39, v17, v21, v28 op_sel_hi:[1,0,1]
	v_pk_fma_f16 v40, v17, v22, v29 op_sel_hi:[1,0,1]
	ds_load_2addr_b64 v[28:31], v178 offset0:40 offset1:60
	v_pk_fma_f16 v21, v17, v21, v41 op_sel:[0,1,0]
	v_pk_fma_f16 v22, v17, v22, v42 op_sel:[0,1,0]
	v_pk_fma_f16 v41, v17, v23, v43 op_sel_hi:[1,0,1]
	v_pk_fma_f16 v17, v17, v23, v44 op_sel:[0,1,0]
	s_waitcnt lgkmcnt(3)
	v_pk_fma_f16 v23, v18, v8, v38 op_sel_hi:[1,0,1]
	v_pk_fma_f16 v38, v18, v8, v45 op_sel:[0,1,0]
	v_pk_fma_f16 v32, v18, v9, v32 op_sel_hi:[1,0,1]
	v_pk_fma_f16 v33, v18, v9, v33 op_sel:[0,1,0]
	;; [unrolled: 2-line block ×8, first 2 shown]
	s_waitcnt lgkmcnt(0)
	v_pk_fma_f16 v23, v28, v12, v23 op_sel_hi:[1,0,1]
	v_pk_fma_f16 v38, v28, v12, v38 op_sel:[0,1,0]
	v_pk_fma_f16 v32, v28, v13, v32 op_sel_hi:[1,0,1]
	v_pk_fma_f16 v33, v28, v13, v33 op_sel:[0,1,0]
	;; [unrolled: 2-line block ×7, first 2 shown]
	ds_load_2addr_b64 v[8:11], v178 offset0:80 offset1:100
	ds_load_b128 v[16:19], v148 offset:320
	v_pk_fma_f16 v22, v29, v15, v22 op_sel_hi:[1,0,1]
	v_pk_fma_f16 v29, v29, v15, v37 op_sel:[0,1,0]
	v_pk_fma_f16 v23, v30, v24, v23 op_sel_hi:[1,0,1]
	v_pk_fma_f16 v37, v30, v24, v38 op_sel:[0,1,0]
	;; [unrolled: 2-line block ×8, first 2 shown]
	ds_load_b128 v[12:15], v148 offset:336
	v_pk_fma_f16 v38, v31, v27, v22 op_sel_hi:[1,0,1]
	v_pk_fma_f16 v29, v31, v27, v29 op_sel:[0,1,0]
	s_waitcnt lgkmcnt(1)
	v_pk_fma_f16 v31, v8, v16, v23 op_sel_hi:[1,0,1]
	v_pk_fma_f16 v37, v8, v16, v37 op_sel:[0,1,0]
	v_pk_fma_f16 v32, v8, v17, v32 op_sel_hi:[1,0,1]
	v_pk_fma_f16 v33, v8, v17, v33 op_sel:[0,1,0]
	v_pk_fma_f16 v34, v8, v18, v34 op_sel_hi:[1,0,1]
	v_pk_fma_f16 v35, v8, v18, v35 op_sel:[0,1,0]
	v_pk_fma_f16 v36, v8, v19, v36 op_sel_hi:[1,0,1]
	v_pk_fma_f16 v8, v8, v19, v28 op_sel:[0,1,0]
	v_pk_fma_f16 v28, v9, v16, v30 op_sel_hi:[1,0,1]
	v_pk_fma_f16 v16, v9, v16, v24 op_sel:[0,1,0]
	v_pk_fma_f16 v30, v9, v17, v20 op_sel_hi:[1,0,1]
	v_pk_fma_f16 v17, v9, v17, v25 op_sel:[0,1,0]
	v_pk_fma_f16 v39, v9, v18, v21 op_sel_hi:[1,0,1]
	v_pk_fma_f16 v18, v9, v18, v26 op_sel:[0,1,0]
	ds_load_2addr_b64 v[20:23], v178 offset0:120 offset1:140
	ds_load_b128 v[24:27], v148 offset:352
	v_pk_fma_f16 v38, v9, v19, v38 op_sel_hi:[1,0,1]
	v_pk_fma_f16 v9, v9, v19, v29 op_sel:[0,1,0]
	s_waitcnt lgkmcnt(2)
	v_pk_fma_f16 v29, v10, v12, v31 op_sel_hi:[1,0,1]
	v_pk_fma_f16 v31, v10, v12, v37 op_sel:[0,1,0]
	v_pk_fma_f16 v32, v10, v13, v32 op_sel_hi:[1,0,1]
	v_pk_fma_f16 v33, v10, v13, v33 op_sel:[0,1,0]
	v_pk_fma_f16 v34, v10, v14, v34 op_sel_hi:[1,0,1]
	v_pk_fma_f16 v35, v10, v14, v35 op_sel:[0,1,0]
	v_pk_fma_f16 v36, v10, v15, v36 op_sel_hi:[1,0,1]
	v_pk_fma_f16 v8, v10, v15, v8 op_sel:[0,1,0]
	v_pk_fma_f16 v10, v11, v12, v28 op_sel_hi:[1,0,1]
	v_pk_fma_f16 v12, v11, v12, v16 op_sel:[0,1,0]
	v_pk_fma_f16 v28, v11, v13, v30 op_sel_hi:[1,0,1]
	v_pk_fma_f16 v13, v11, v13, v17 op_sel:[0,1,0]
	v_pk_fma_f16 v30, v11, v14, v39 op_sel_hi:[1,0,1]
	v_pk_fma_f16 v14, v11, v14, v18 op_sel:[0,1,0]
	ds_load_b128 v[16:19], v148 offset:368
	v_pk_fma_f16 v37, v11, v15, v38 op_sel_hi:[1,0,1]
	v_pk_fma_f16 v38, v11, v15, v9 op_sel:[0,1,0]
	s_waitcnt lgkmcnt(1)
	v_pk_fma_f16 v29, v20, v24, v29 op_sel_hi:[1,0,1]
	v_pk_fma_f16 v31, v20, v24, v31 op_sel:[0,1,0]
	v_pk_fma_f16 v32, v20, v25, v32 op_sel_hi:[1,0,1]
	v_pk_fma_f16 v33, v20, v25, v33 op_sel:[0,1,0]
	v_pk_fma_f16 v34, v20, v26, v34 op_sel_hi:[1,0,1]
	v_pk_fma_f16 v35, v20, v26, v35 op_sel:[0,1,0]
	v_pk_fma_f16 v36, v20, v27, v36 op_sel_hi:[1,0,1]
	v_pk_fma_f16 v20, v20, v27, v8 op_sel:[0,1,0]
	v_pk_fma_f16 v39, v21, v24, v10 op_sel_hi:[1,0,1]
	v_pk_fma_f16 v24, v21, v24, v12 op_sel:[0,1,0]
	v_pk_fma_f16 v28, v21, v25, v28 op_sel_hi:[1,0,1]
	v_pk_fma_f16 v25, v21, v25, v13 op_sel:[0,1,0]
	v_pk_fma_f16 v30, v21, v26, v30 op_sel_hi:[1,0,1]
	v_pk_fma_f16 v26, v21, v26, v14 op_sel:[0,1,0]
	ds_load_2addr_b64 v[8:11], v178 offset0:160 offset1:180
	ds_load_b128 v[12:15], v148 offset:384
	v_pk_fma_f16 v37, v21, v27, v37 op_sel_hi:[1,0,1]
	v_pk_fma_f16 v21, v21, v27, v38 op_sel:[0,1,0]
	s_waitcnt lgkmcnt(2)
	v_pk_fma_f16 v29, v22, v16, v29 op_sel_hi:[1,0,1]
	v_pk_fma_f16 v31, v22, v16, v31 op_sel:[0,1,0]
	v_pk_fma_f16 v32, v22, v17, v32 op_sel_hi:[1,0,1]
	v_pk_fma_f16 v33, v22, v17, v33 op_sel:[0,1,0]
	v_pk_fma_f16 v34, v22, v18, v34 op_sel_hi:[1,0,1]
	v_pk_fma_f16 v35, v22, v18, v35 op_sel:[0,1,0]
	v_pk_fma_f16 v36, v22, v19, v36 op_sel_hi:[1,0,1]
	v_pk_fma_f16 v20, v22, v19, v20 op_sel:[0,1,0]
	v_pk_fma_f16 v22, v23, v16, v39 op_sel_hi:[1,0,1]
	v_pk_fma_f16 v16, v23, v16, v24 op_sel:[0,1,0]
	v_pk_fma_f16 v28, v23, v17, v28 op_sel_hi:[1,0,1]
	v_pk_fma_f16 v17, v23, v17, v25 op_sel:[0,1,0]
	v_pk_fma_f16 v30, v23, v18, v30 op_sel_hi:[1,0,1]
	v_pk_fma_f16 v18, v23, v18, v26 op_sel:[0,1,0]
	;; [unrolled: 37-line block ×4, first 2 shown]
	ds_load_b128 v[20:23], v148 offset:464
	v_pk_fma_f16 v37, v19, v15, v37 op_sel_hi:[1,0,1]
	v_pk_fma_f16 v38, v19, v15, v17 op_sel:[0,1,0]
	s_waitcnt lgkmcnt(1)
	v_pk_fma_f16 v29, v8, v24, v29 op_sel_hi:[1,0,1]
	v_pk_fma_f16 v31, v8, v24, v31 op_sel:[0,1,0]
	v_pk_fma_f16 v32, v8, v25, v32 op_sel_hi:[1,0,1]
	v_pk_fma_f16 v33, v8, v25, v33 op_sel:[0,1,0]
	;; [unrolled: 2-line block ×8, first 2 shown]
	ds_load_2addr_b64 v[12:15], v176 offset0:24 offset1:44
	ds_load_b128 v[16:19], v148 offset:480
	s_waitcnt lgkmcnt(2)
	v_pk_fma_f16 v27, v10, v20, v29 op_sel_hi:[1,0,1]
	v_pk_fma_f16 v29, v10, v20, v31 op_sel:[0,1,0]
	v_pk_fma_f16 v31, v10, v21, v32 op_sel_hi:[1,0,1]
	v_pk_fma_f16 v32, v10, v21, v33 op_sel:[0,1,0]
	;; [unrolled: 2-line block ×8, first 2 shown]
	ds_load_b128 v[8:11], v148 offset:496
	s_waitcnt lgkmcnt(0)
	s_barrier
	buffer_gl0_inv
	s_load_b32 s6, s[26:27], 0x4
	v_pk_fma_f16 v27, v12, v16, v27 op_sel_hi:[1,0,1]
	v_pk_fma_f16 v28, v12, v16, v29 op_sel:[0,1,0]
	v_pk_fma_f16 v29, v12, v17, v31 op_sel_hi:[1,0,1]
	v_pk_fma_f16 v30, v12, v17, v32 op_sel:[0,1,0]
	;; [unrolled: 2-line block ×9, first 2 shown]
	v_pk_fma_f16 v131, v14, v9, v29 op_sel_hi:[1,0,1]
	s_waitcnt lgkmcnt(0)
	s_lshl_b32 s6, s6, 5
	v_pk_fma_f16 v129, v14, v9, v30 op_sel:[0,1,0]
	v_pk_fma_f16 v127, v14, v10, v31 op_sel_hi:[1,0,1]
	v_pk_fma_f16 v125, v14, v10, v32 op_sel:[0,1,0]
	v_pk_fma_f16 v123, v14, v11, v33 op_sel_hi:[1,0,1]
	;; [unrolled: 2-line block ×6, first 2 shown]
	v_pk_fma_f16 v121, v15, v11, v13 op_sel:[0,1,0]
	s_add_i32 s35, s6, s35
	s_delay_alu instid0(SALU_CYCLE_1)
	s_cmp_ge_i32 s35, s40
	s_cbranch_scc1 .LBB33_41
; %bb.40:                               ;   in Loop: Header=BB33_23 Depth=1
	v_dual_mov_b32 v8, v0 :: v_dual_mov_b32 v9, v1
	v_dual_mov_b32 v13, v2 :: v_dual_mov_b32 v10, v3
	;; [unrolled: 1-line block ×8, first 2 shown]
	s_branch .LBB33_23
.LBB33_41:
	v_mov_b32_e32 v10, v133
.LBB33_42:
	v_cmp_lt_i32_e32 vcc_lo, v163, v134
	s_cmp_lg_u64 s[24:25], 0
	s_cselect_b32 s3, -1, 0
	s_cmp_eq_u32 s14, 0
	v_cndmask_b32_e32 v8, v10, v163, vcc_lo
	v_cmp_lt_i32_e32 vcc_lo, v164, v134
	s_cselect_b32 s4, -1, 0
	s_delay_alu instid0(SALU_CYCLE_1) | instskip(SKIP_2) | instid1(VALU_DEP_2)
	s_and_b32 s3, s4, s3
	v_cndmask_b32_e32 v17, v10, v164, vcc_lo
	v_cmp_lt_i32_e32 vcc_lo, v165, v134
	v_lshlrev_b32_e32 v17, 2, v17
	v_lshlrev_b32_e32 v8, 2, v8
	ds_bpermute_b32 v9, v8, v175
	s_waitcnt lgkmcnt(0)
	v_add_f32_e32 v9, v175, v9
	ds_bpermute_b32 v11, v8, v172
	ds_bpermute_b32 v12, v8, v174
	ds_bpermute_b32 v14, v8, v173
	ds_bpermute_b32 v13, v8, v170
	ds_bpermute_b32 v16, v8, v171
	ds_bpermute_b32 v15, v8, v169
	ds_bpermute_b32 v8, v8, v168
	ds_bpermute_b32 v18, v17, v9
	s_waitcnt lgkmcnt(6)
	v_dual_add_f32 v11, v172, v11 :: v_dual_add_f32 v12, v174, v12
	s_waitcnt lgkmcnt(4)
	v_dual_add_f32 v14, v173, v14 :: v_dual_add_f32 v13, v170, v13
	;; [unrolled: 2-line block ×3, first 2 shown]
	s_waitcnt lgkmcnt(1)
	v_add_f32_e32 v8, v168, v8
	ds_bpermute_b32 v20, v17, v12
	ds_bpermute_b32 v22, v17, v14
	;; [unrolled: 1-line block ×7, first 2 shown]
	v_cndmask_b32_e32 v25, v10, v165, vcc_lo
	s_waitcnt lgkmcnt(7)
	v_add_f32_e32 v9, v9, v18
	v_cmp_lt_i32_e32 vcc_lo, v166, v134
	s_waitcnt lgkmcnt(6)
	v_dual_add_f32 v12, v12, v20 :: v_dual_lshlrev_b32 v25, 2, v25
	s_waitcnt lgkmcnt(4)
	v_dual_add_f32 v14, v14, v22 :: v_dual_add_f32 v11, v11, v19
	s_waitcnt lgkmcnt(2)
	v_add_f32_e32 v16, v16, v24
	s_waitcnt lgkmcnt(0)
	v_add_f32_e32 v8, v8, v17
	ds_bpermute_b32 v19, v25, v12
	v_add_f32_e32 v13, v13, v21
	ds_bpermute_b32 v21, v25, v14
	;; [unrolled: 2-line block ×3, first 2 shown]
	ds_bpermute_b32 v23, v25, v16
	ds_bpermute_b32 v24, v25, v8
	;; [unrolled: 1-line block ×3, first 2 shown]
	s_waitcnt lgkmcnt(5)
	v_add_f32_e32 v12, v12, v19
	ds_bpermute_b32 v20, v25, v13
	s_waitcnt lgkmcnt(5)
	v_add_f32_e32 v14, v14, v21
	ds_bpermute_b32 v22, v25, v15
	s_waitcnt lgkmcnt(4)
	v_dual_cndmask_b32 v25, v10, v166 :: v_dual_add_f32 v16, v16, v23
	v_cmp_lt_i32_e32 vcc_lo, v167, v134
	s_waitcnt lgkmcnt(3)
	v_dual_add_f32 v9, v9, v17 :: v_dual_add_f32 v8, v8, v24
	s_delay_alu instid0(VALU_DEP_3)
	v_dual_cndmask_b32 v10, v10, v167 :: v_dual_lshlrev_b32 v25, 2, v25
	s_and_b32 vcc_lo, exec_lo, s3
	ds_bpermute_b32 v17, v25, v9
	ds_bpermute_b32 v19, v25, v12
	ds_bpermute_b32 v21, v25, v14
	ds_bpermute_b32 v23, v25, v16
	ds_bpermute_b32 v24, v25, v8
	s_waitcnt lgkmcnt(7)
	v_add_f32_e32 v11, v11, v18
	s_waitcnt lgkmcnt(6)
	v_dual_add_f32 v13, v13, v20 :: v_dual_lshlrev_b32 v10, 2, v10
	s_waitcnt lgkmcnt(5)
	v_add_f32_e32 v15, v15, v22
	ds_bpermute_b32 v20, v25, v13
	s_waitcnt lgkmcnt(4)
	v_dual_add_f32 v9, v9, v17 :: v_dual_add_f32 v12, v12, v19
	ds_bpermute_b32 v18, v25, v11
	s_waitcnt lgkmcnt(3)
	v_add_f32_e32 v16, v16, v23
	v_add_f32_e32 v14, v14, v21
	ds_bpermute_b32 v22, v25, v15
	s_waitcnt lgkmcnt(3)
	v_add_f32_e32 v17, v8, v24
	ds_bpermute_b32 v8, v10, v9
	ds_bpermute_b32 v19, v10, v12
	;; [unrolled: 1-line block ×5, first 2 shown]
	s_waitcnt lgkmcnt(7)
	v_add_f32_e32 v13, v13, v20
	ds_bpermute_b32 v20, v10, v13
	s_waitcnt lgkmcnt(7)
	v_add_f32_e32 v11, v11, v18
	s_waitcnt lgkmcnt(5)
	v_dual_add_f32 v15, v15, v22 :: v_dual_add_f32 v8, v9, v8
	ds_bpermute_b32 v18, v10, v11
	ds_bpermute_b32 v22, v10, v15
	s_waitcnt lgkmcnt(6)
	v_add_f32_e32 v10, v12, v19
	s_waitcnt lgkmcnt(5)
	v_add_f32_e32 v12, v14, v21
	s_waitcnt lgkmcnt(1)
	v_dual_add_f32 v14, v16, v23 :: v_dual_add_f32 v9, v11, v18
	v_add_f32_e32 v11, v13, v20
	s_waitcnt lgkmcnt(0)
	v_add_f32_e32 v13, v15, v22
	v_add_f32_e32 v15, v17, v24
	s_cbranch_vccz .LBB33_45
; %bb.43:
	s_ashr_i32 s35, s34, 31
	v_dual_mov_b32 v16, 0 :: v_dual_max_f32 v17, v1, v1
	s_lshl_b64 s[4:5], s[34:35], 2
	v_dual_max_f32 v20, v4, v4 :: v_dual_max_f32 v21, v5, v5
	s_add_u32 s4, s24, s4
	s_addc_u32 s5, s25, s5
	v_max_f32_e32 v19, v3, v3
	global_load_b64 v[24:25], v16, s[4:5]
	v_max_f32_e32 v16, v0, v0
	v_dual_max_f32 v18, v2, v2 :: v_dual_max_f32 v27, v7, v7
	s_waitcnt vmcnt(0)
	v_dual_max_f32 v23, v25, v25 :: v_dual_max_f32 v22, v24, v24
	s_delay_alu instid0(VALU_DEP_1) | instskip(NEXT) | instid1(VALU_DEP_2)
	v_dual_max_f32 v26, v6, v6 :: v_dual_max_f32 v17, v17, v23
	v_dual_max_f32 v16, v16, v22 :: v_dual_max_f32 v19, v19, v23
	;; [unrolled: 1-line block ×4, first 2 shown]
	s_delay_alu instid0(VALU_DEP_3) | instskip(SKIP_1) | instid1(VALU_DEP_4)
	v_dual_max_f32 v22, v26, v22 :: v_dual_sub_f32 v27, v24, v16
	v_dual_sub_f32 v26, v0, v16 :: v_dual_sub_f32 v29, v25, v17
	v_dual_sub_f32 v28, v1, v17 :: v_dual_sub_f32 v31, v24, v18
	;; [unrolled: 1-line block ×7, first 2 shown]
	v_dual_mov_b32 v0, v16 :: v_dual_mov_b32 v3, v19
	v_dual_sub_f32 v24, v24, v22 :: v_dual_mov_b32 v1, v17
	v_dual_mov_b32 v2, v18 :: v_dual_mov_b32 v5, v21
	v_dual_mov_b32 v4, v20 :: v_dual_mov_b32 v7, v23
	v_dual_mov_b32 v6, v22 :: v_dual_mul_f32 v17, 0x3fb8aa3b, v27
	v_dual_mul_f32 v16, 0x3fb8aa3b, v26 :: v_dual_mul_f32 v19, 0x3fb8aa3b, v29
	v_dual_mul_f32 v22, 0x3fb8aa3b, v32 :: v_dual_mul_f32 v41, 0x3fb8aa3b, v35
	;; [unrolled: 1-line block ×3, first 2 shown]
	s_delay_alu instid0(VALU_DEP_3)
	v_fma_f32 v48, 0x3fb8aa3b, v26, -v16
	v_rndne_f32_e32 v49, v16
	v_fma_f32 v50, 0x3fb8aa3b, v27, -v17
	v_rndne_f32_e32 v51, v17
	;; [unrolled: 2-line block ×3, first 2 shown]
	v_rndne_f32_e32 v67, v41
	s_delay_alu instid0(VALU_DEP_4) | instskip(NEXT) | instid1(VALU_DEP_3)
	v_dual_fmac_f32 v48, 0x32a5705f, v26 :: v_dual_sub_f32 v17, v17, v51
	v_dual_sub_f32 v16, v16, v49 :: v_dual_sub_f32 v19, v19, v55
	v_dual_mul_f32 v20, 0x3fb8aa3b, v30 :: v_dual_mul_f32 v23, 0x3fb8aa3b, v33
	v_fma_f32 v52, 0x3fb8aa3b, v28, -v18
	v_rndne_f32_e32 v53, v18
	v_fma_f32 v66, 0x3fb8aa3b, v35, -v41
	v_dual_fmac_f32 v54, 0x32a5705f, v29 :: v_dual_sub_f32 v41, v41, v67
	v_fmac_f32_e32 v50, 0x32a5705f, v27
	v_add_f32_e32 v16, v16, v48
	v_dual_mul_f32 v44, 0x3fb8aa3b, v38 :: v_dual_mul_f32 v45, 0x3fb8aa3b, v24
	v_rndne_f32_e32 v59, v21
	v_rndne_f32_e32 v63, v23
	v_fmac_f32_e32 v52, 0x32a5705f, v28
	v_dual_sub_f32 v18, v18, v53 :: v_dual_add_f32 v19, v19, v54
	v_dual_mul_f32 v46, 0x3fb8aa3b, v39 :: v_dual_add_f32 v17, v17, v50
	v_exp_f32_e32 v16, v16
	v_dual_mul_f32 v40, 0x3fb8aa3b, v34 :: v_dual_mul_f32 v43, 0x3fb8aa3b, v37
	v_fma_f32 v56, 0x3fb8aa3b, v30, -v20
	v_rndne_f32_e32 v57, v20
	v_fma_f32 v58, 0x3fb8aa3b, v31, -v21
	v_fma_f32 v62, 0x3fb8aa3b, v33, -v23
	;; [unrolled: 1-line block ×3, first 2 shown]
	v_rndne_f32_e32 v75, v45
	v_cvt_i32_f32_e32 v49, v49
	v_sub_f32_e32 v21, v21, v59
	v_dual_sub_f32 v23, v23, v63 :: v_dual_add_f32 v18, v18, v52
	v_exp_f32_e32 v17, v17
	v_rndne_f32_e32 v71, v43
	v_cvt_i32_f32_e32 v51, v51
	v_fmac_f32_e32 v56, 0x32a5705f, v30
	v_dual_sub_f32 v20, v20, v57 :: v_dual_sub_f32 v45, v45, v75
	v_fmac_f32_e32 v74, 0x32a5705f, v24
	v_fmac_f32_e32 v66, 0x32a5705f, v35
	v_exp_f32_e32 v18, v18
	v_ldexp_f32 v16, v16, v49
	v_cmp_ngt_f32_e32 vcc_lo, 0xc2ce8ed0, v26
	v_dual_add_f32 v45, v45, v74 :: v_dual_mul_f32 v42, 0x3fb8aa3b, v36
	v_mul_f32_e32 v47, 0x3fb8aa3b, v25
	v_fma_f32 v60, 0x3fb8aa3b, v32, -v22
	v_rndne_f32_e32 v61, v22
	v_fma_f32 v64, 0x3fb8aa3b, v34, -v40
	v_fma_f32 v70, 0x3fb8aa3b, v37, -v43
	v_cvt_i32_f32_e32 v53, v53
	v_dual_fmac_f32 v62, 0x32a5705f, v33 :: v_dual_add_f32 v41, v41, v66
	v_fmac_f32_e32 v58, 0x32a5705f, v31
	v_dual_sub_f32 v43, v43, v71 :: v_dual_add_f32 v20, v20, v56
	v_exp_f32_e32 v19, v19
	v_ldexp_f32 v17, v17, v51
	v_cndmask_b32_e32 v16, 0, v16, vcc_lo
	v_cmp_ngt_f32_e32 vcc_lo, 0xc2ce8ed0, v27
	v_rndne_f32_e32 v79, v47
	v_cvt_i32_f32_e32 v55, v55
	v_fmac_f32_e32 v60, 0x32a5705f, v32
	v_dual_fmac_f32 v64, 0x32a5705f, v34 :: v_dual_cndmask_b32 v17, 0, v17
	v_dual_add_f32 v23, v23, v62 :: v_dual_sub_f32 v22, v22, v61
	v_add_f32_e32 v21, v21, v58
	v_exp_f32_e32 v20, v20
	v_ldexp_f32 v18, v18, v53
	v_cmp_ngt_f32_e32 vcc_lo, 0xc2ce8ed0, v28
	v_rndne_f32_e32 v69, v42
	v_fma_f32 v78, 0x3fb8aa3b, v25, -v47
	v_cvt_i32_f32_e32 v57, v57
	v_dual_sub_f32 v47, v47, v79 :: v_dual_add_f32 v22, v22, v60
	v_exp_f32_e32 v21, v21
	v_ldexp_f32 v19, v19, v55
	v_cndmask_b32_e32 v18, 0, v18, vcc_lo
	v_cmp_ngt_f32_e32 vcc_lo, 0xc2ce8ed0, v29
	v_fma_f32 v68, 0x3fb8aa3b, v36, -v42
	v_cvt_i32_f32_e32 v59, v59
	v_sub_f32_e32 v42, v42, v69
	v_exp_f32_e32 v22, v22
	v_cndmask_b32_e32 v19, 0, v19, vcc_lo
	v_ldexp_f32 v20, v20, v57
	v_cmp_ngt_f32_e32 vcc_lo, 0xc2ce8ed0, v30
	v_fma_f32 v72, 0x3fb8aa3b, v38, -v44
	v_cvt_i32_f32_e32 v61, v61
	v_exp_f32_e32 v23, v23
	v_ldexp_f32 v21, v21, v59
	v_cndmask_b32_e32 v20, 0, v20, vcc_lo
	v_cmp_ngt_f32_e32 vcc_lo, 0xc2ce8ed0, v31
	v_cvt_i32_f32_e32 v63, v63
	v_fmac_f32_e32 v72, 0x32a5705f, v38
	v_ldexp_f32 v22, v22, v61
	v_rndne_f32_e32 v65, v40
	v_cndmask_b32_e32 v21, 0, v21, vcc_lo
	v_cmp_ngt_f32_e32 vcc_lo, 0xc2ce8ed0, v32
	v_ldexp_f32 v23, v23, v63
	v_fmac_f32_e32 v78, 0x32a5705f, v25
	v_fmac_f32_e32 v68, 0x32a5705f, v36
	v_exp_f32_e32 v41, v41
	v_cndmask_b32_e32 v22, 0, v22, vcc_lo
	v_cmp_ngt_f32_e32 vcc_lo, 0xc2ce8ed0, v33
	v_dual_fmac_f32 v70, 0x32a5705f, v37 :: v_dual_add_f32 v47, v47, v78
	v_add_f32_e32 v42, v42, v68
	v_cvt_i32_f32_e32 v67, v67
	v_dual_cndmask_b32 v23, 0, v23 :: v_dual_sub_f32 v40, v40, v65
	s_delay_alu instid0(VALU_DEP_4)
	v_add_f32_e32 v43, v43, v70
	v_cvt_i32_f32_e32 v65, v65
	v_exp_f32_e32 v42, v42
	v_cmp_ngt_f32_e32 vcc_lo, 0xc2ce8ed0, v34
	v_add_f32_e32 v40, v40, v64
	v_cvt_i32_f32_e32 v69, v69
	v_exp_f32_e32 v43, v43
	v_ldexp_f32 v41, v41, v67
	v_rndne_f32_e32 v73, v44
	v_exp_f32_e32 v40, v40
	v_cvt_i32_f32_e32 v71, v71
	v_exp_f32_e32 v45, v45
	v_ldexp_f32 v42, v42, v69
	v_exp_f32_e32 v47, v47
	v_fma_f32 v76, 0x3fb8aa3b, v39, -v46
	v_rndne_f32_e32 v77, v46
	v_ldexp_f32 v43, v43, v71
	v_cvt_i32_f32_e32 v75, v75
	v_cvt_i32_f32_e32 v79, v79
	v_ldexp_f32 v40, v40, v65
	s_delay_alu instid0(TRANS32_DEP_2) | instid1(VALU_DEP_3)
	v_ldexp_f32 v45, v45, v75
	s_delay_alu instid0(TRANS32_DEP_1) | instid1(VALU_DEP_3)
	v_ldexp_f32 v47, v47, v79
	s_delay_alu instid0(VALU_DEP_3)
	v_cndmask_b32_e32 v40, 0, v40, vcc_lo
	v_cmp_ngt_f32_e32 vcc_lo, 0xc2ce8ed0, v35
	v_sub_f32_e32 v46, v46, v77
	v_cvt_i32_f32_e32 v77, v77
	v_cndmask_b32_e32 v41, 0, v41, vcc_lo
	v_cmp_ngt_f32_e32 vcc_lo, 0xc2ce8ed0, v36
	v_cndmask_b32_e32 v42, 0, v42, vcc_lo
	v_cmp_ngt_f32_e32 vcc_lo, 0xc2ce8ed0, v37
	v_sub_f32_e32 v44, v44, v73
	v_cvt_i32_f32_e32 v73, v73
	s_delay_alu instid0(VALU_DEP_2) | instskip(SKIP_1) | instid1(VALU_DEP_2)
	v_dual_cndmask_b32 v43, 0, v43 :: v_dual_add_f32 v44, v44, v72
	v_cmp_ngt_f32_e32 vcc_lo, 0xc2ce8ed0, v38
	v_exp_f32_e32 v44, v44
	s_waitcnt_depctr 0xfff
	v_ldexp_f32 v44, v44, v73
	s_delay_alu instid0(VALU_DEP_1) | instskip(SKIP_2) | instid1(VALU_DEP_1)
	v_cndmask_b32_e32 v44, 0, v44, vcc_lo
	v_cmp_ngt_f32_e32 vcc_lo, 0xc2ce8ed0, v24
	v_dual_fmac_f32 v76, 0x32a5705f, v39 :: v_dual_cndmask_b32 v45, 0, v45
	v_add_f32_e32 v46, v46, v76
	v_cmp_ngt_f32_e32 vcc_lo, 0xc2ce8ed0, v39
	s_delay_alu instid0(VALU_DEP_2) | instskip(SKIP_2) | instid1(VALU_DEP_1)
	v_exp_f32_e32 v46, v46
	s_waitcnt_depctr 0xfff
	v_ldexp_f32 v46, v46, v77
	v_cndmask_b32_e32 v46, 0, v46, vcc_lo
	v_cmp_ngt_f32_e32 vcc_lo, 0xc2ce8ed0, v25
	v_cndmask_b32_e32 v47, 0, v47, vcc_lo
	v_cmp_nlt_f32_e32 vcc_lo, 0x42b17218, v26
	v_cndmask_b32_e32 v26, 0x7f800000, v16, vcc_lo
	v_cmp_nlt_f32_e32 vcc_lo, 0x42b17218, v27
	;; [unrolled: 2-line block ×3, first 2 shown]
	s_delay_alu instid0(VALU_DEP_2)
	v_fmac_f32_e32 v16, v8, v26
	v_cndmask_b32_e32 v27, 0x7f800000, v18, vcc_lo
	v_cmp_nlt_f32_e32 vcc_lo, 0x42b17218, v29
	v_cvt_f16_f32_e32 v8, v26
	v_cndmask_b32_e32 v17, 0x7f800000, v19, vcc_lo
	v_cmp_nlt_f32_e32 vcc_lo, 0x42b17218, v30
	s_delay_alu instid0(VALU_DEP_3) | instskip(SKIP_1) | instid1(VALU_DEP_4)
	v_pk_mul_f16 v137, v8, v137 op_sel_hi:[0,1]
	v_pk_mul_f16 v138, v8, v138 op_sel_hi:[0,1]
	v_dual_mov_b32 v8, v16 :: v_dual_fmac_f32 v17, v9, v27
	v_cvt_f16_f32_e32 v9, v27
	s_delay_alu instid0(VALU_DEP_1) | instskip(SKIP_1) | instid1(VALU_DEP_4)
	v_pk_mul_f16 v135, v9, v135 op_sel_hi:[0,1]
	v_pk_mul_f16 v136, v9, v136 op_sel_hi:[0,1]
	v_dual_mov_b32 v9, v17 :: v_dual_cndmask_b32 v28, 0x7f800000, v20
	v_cmp_nlt_f32_e32 vcc_lo, 0x42b17218, v31
	v_cndmask_b32_e32 v18, 0x7f800000, v21, vcc_lo
	v_cmp_nlt_f32_e32 vcc_lo, 0x42b17218, v32
	s_delay_alu instid0(VALU_DEP_2) | instskip(SKIP_4) | instid1(VALU_DEP_3)
	v_dual_fmac_f32 v18, v10, v28 :: v_dual_cndmask_b32 v29, 0x7f800000, v22
	v_cmp_nlt_f32_e32 vcc_lo, 0x42b17218, v33
	v_cvt_f16_f32_e32 v10, v28
	v_cndmask_b32_e32 v19, 0x7f800000, v23, vcc_lo
	v_cmp_nlt_f32_e32 vcc_lo, 0x42b17218, v34
	v_pk_mul_f16 v131, v10, v131 op_sel_hi:[0,1]
	v_pk_mul_f16 v132, v10, v132 op_sel_hi:[0,1]
	s_delay_alu instid0(VALU_DEP_4)
	v_dual_mov_b32 v10, v18 :: v_dual_fmac_f32 v19, v11, v29
	v_cndmask_b32_e32 v30, 0x7f800000, v40, vcc_lo
	v_cmp_nlt_f32_e32 vcc_lo, 0x42b17218, v35
	v_cvt_f16_f32_e32 v11, v29
	v_cndmask_b32_e32 v20, 0x7f800000, v41, vcc_lo
	v_cmp_nlt_f32_e32 vcc_lo, 0x42b17218, v36
	s_delay_alu instid0(VALU_DEP_3) | instskip(SKIP_1) | instid1(VALU_DEP_4)
	v_pk_mul_f16 v129, v11, v129 op_sel_hi:[0,1]
	v_pk_mul_f16 v130, v11, v130 op_sel_hi:[0,1]
	v_dual_mov_b32 v11, v19 :: v_dual_fmac_f32 v20, v12, v30
	v_cndmask_b32_e32 v31, 0x7f800000, v42, vcc_lo
	v_cmp_nlt_f32_e32 vcc_lo, 0x42b17218, v37
	v_cvt_f16_f32_e32 v12, v30
	v_cndmask_b32_e32 v21, 0x7f800000, v43, vcc_lo
	v_cmp_nlt_f32_e32 vcc_lo, 0x42b17218, v38
	s_delay_alu instid0(VALU_DEP_3) | instskip(SKIP_1) | instid1(VALU_DEP_4)
	v_pk_mul_f16 v127, v12, v127 op_sel_hi:[0,1]
	v_pk_mul_f16 v128, v12, v128 op_sel_hi:[0,1]
	;; [unrolled: 9-line block ×3, first 2 shown]
	v_dual_mov_b32 v13, v21 :: v_dual_fmac_f32 v22, v14, v32
	v_cndmask_b32_e32 v24, 0x7f800000, v46, vcc_lo
	v_cmp_nlt_f32_e32 vcc_lo, 0x42b17218, v25
	v_cvt_f16_f32_e32 v14, v32
	v_cndmask_b32_e32 v23, 0x7f800000, v47, vcc_lo
	s_delay_alu instid0(VALU_DEP_2) | instskip(SKIP_1) | instid1(VALU_DEP_3)
	v_pk_mul_f16 v123, v14, v123 op_sel_hi:[0,1]
	v_pk_mul_f16 v124, v14, v124 op_sel_hi:[0,1]
	v_dual_mov_b32 v14, v22 :: v_dual_fmac_f32 v23, v15, v24
	v_cvt_f16_f32_e32 v15, v24
	s_delay_alu instid0(VALU_DEP_1) | instskip(SKIP_1) | instid1(VALU_DEP_4)
	v_pk_mul_f16 v122, v15, v122 op_sel_hi:[0,1]
	v_pk_mul_f16 v121, v15, v121 op_sel_hi:[0,1]
	v_dual_mov_b32 v15, v23 :: v_dual_add_nc_u32 v24, s33, v120
	s_mov_b32 s3, exec_lo
	s_delay_alu instid0(VALU_DEP_1)
	v_cmpx_gt_i32_e64 s38, v24
	s_cbranch_execnz .LBB33_46
.LBB33_44:
	s_nop 0
	s_sendmsg sendmsg(MSG_DEALLOC_VGPRS)
	s_endpgm
.LBB33_45:
	s_delay_alu instid0(VALU_DEP_1) | instskip(NEXT) | instid1(VALU_DEP_3)
	v_dual_mov_b32 v23, v15 :: v_dual_mov_b32 v22, v14
	v_dual_mov_b32 v21, v13 :: v_dual_mov_b32 v20, v12
	;; [unrolled: 1-line block ×4, first 2 shown]
	v_add_nc_u32_e32 v24, s33, v120
	s_mov_b32 s3, exec_lo
	s_delay_alu instid0(VALU_DEP_1)
	v_cmpx_gt_i32_e64 s38, v24
	s_cbranch_execz .LBB33_44
.LBB33_46:
	s_load_b32 s1, s[0:1], 0xd4
	v_mov_b32_e32 v26, 1.0
	s_waitcnt lgkmcnt(0)
	s_cmp_lg_u32 s1, 1
	s_cselect_b32 s4, -1, 0
	s_cmp_eq_u32 s1, 1
	s_cselect_b32 s0, -1, 0
	s_and_b32 vcc_lo, exec_lo, s4
	s_cbranch_vccnz .LBB33_48
; %bb.47:
	v_div_scale_f32 v24, null, v8, v8, 1.0
	s_delay_alu instid0(VALU_DEP_1) | instskip(SKIP_2) | instid1(VALU_DEP_1)
	v_rcp_f32_e32 v25, v24
	s_waitcnt_depctr 0xfff
	v_fma_f32 v26, -v24, v25, 1.0
	v_fmac_f32_e32 v25, v26, v25
	v_div_scale_f32 v26, vcc_lo, 1.0, v8, 1.0
	s_delay_alu instid0(VALU_DEP_1) | instskip(NEXT) | instid1(VALU_DEP_1)
	v_mul_f32_e32 v27, v26, v25
	v_fma_f32 v28, -v24, v27, v26
	s_delay_alu instid0(VALU_DEP_1) | instskip(NEXT) | instid1(VALU_DEP_1)
	v_fmac_f32_e32 v27, v28, v25
	v_fma_f32 v24, -v24, v27, v26
	s_delay_alu instid0(VALU_DEP_1) | instskip(NEXT) | instid1(VALU_DEP_1)
	v_div_fmas_f32 v24, v24, v25, v27
	v_div_fixup_f32 v26, v24, v8, 1.0
.LBB33_48:
	s_mul_i32 s3, s44, s38
	s_delay_alu instid0(SALU_CYCLE_1) | instskip(NEXT) | instid1(SALU_CYCLE_1)
	s_add_i32 s3, s3, s33
	v_add_nc_u32_e32 v8, s3, v120
	s_delay_alu instid0(VALU_DEP_1) | instskip(NEXT) | instid1(VALU_DEP_1)
	v_mul_lo_u32 v8, v8, s39
	v_add_nc_u32_e32 v27, s34, v8
	s_delay_alu instid0(VALU_DEP_1)
	v_mad_u64_u32 v[24:25], null, s1, v27, s[14:15]
	s_and_saveexec_b32 s5, s2
	s_cbranch_execz .LBB33_50
; %bb.49:
	v_lshrrev_b32_e32 v25, 16, v138
	s_delay_alu instid0(VALU_DEP_2) | instskip(SKIP_2) | instid1(VALU_DEP_4)
	v_mad_u64_u32 v[27:28], null, 0x50, v24, v[104:105]
	v_lshrrev_b32_e32 v29, 16, v137
	v_cvt_f32_f16_e64 v32, v138
	v_cvt_f32_f16_e32 v25, v25
	v_mov_b32_e32 v28, 0
	v_cvt_f32_f16_e64 v34, v137
	v_cvt_f32_f16_e32 v33, v29
	s_delay_alu instid0(VALU_DEP_4) | instskip(NEXT) | instid1(VALU_DEP_4)
	v_mul_f32_e32 v29, v26, v25
	v_lshlrev_b64 v[30:31], 2, v[27:28]
	v_mul_f32_e32 v28, v26, v32
	s_delay_alu instid0(VALU_DEP_4) | instskip(SKIP_1) | instid1(VALU_DEP_4)
	v_mul_f32_e32 v27, v26, v33
	v_mul_f32_e32 v26, v26, v34
	v_add_co_u32 v30, vcc_lo, s28, v30
	v_add_co_ci_u32_e32 v31, vcc_lo, s29, v31, vcc_lo
	global_store_b128 v[30:31], v[26:29], off
.LBB33_50:
	s_or_b32 exec_lo, exec_lo, s5
	v_cmp_eq_u32_e32 vcc_lo, 0, v119
	s_and_b32 s4, vcc_lo, s4
	s_delay_alu instid0(SALU_CYCLE_1)
	s_and_saveexec_b32 s5, s4
	s_cbranch_execz .LBB33_52
; %bb.51:
	v_ashrrev_i32_e32 v25, 31, v24
	v_mov_b32_e32 v26, v0
	v_mov_b32_e32 v27, v16
	s_delay_alu instid0(VALU_DEP_3) | instskip(NEXT) | instid1(VALU_DEP_1)
	v_lshlrev_b64 v[24:25], 3, v[24:25]
	v_add_co_u32 v24, vcc_lo, s30, v24
	s_delay_alu instid0(VALU_DEP_2)
	v_add_co_ci_u32_e32 v25, vcc_lo, s31, v25, vcc_lo
	global_store_b64 v[24:25], v[26:27], off
.LBB33_52:
	s_or_b32 exec_lo, exec_lo, s5
	v_cndmask_b32_e64 v24, 0, 1, s0
	v_mov_b32_e32 v0, 1.0
	s_and_not1_b32 vcc_lo, exec_lo, s0
	s_cbranch_vccnz .LBB33_54
; %bb.53:
	v_div_scale_f32 v0, null, v9, v9, 1.0
	s_delay_alu instid0(VALU_DEP_1) | instskip(SKIP_2) | instid1(VALU_DEP_1)
	v_rcp_f32_e32 v16, v0
	s_waitcnt_depctr 0xfff
	v_fma_f32 v25, -v0, v16, 1.0
	v_fmac_f32_e32 v16, v25, v16
	v_div_scale_f32 v25, vcc_lo, 1.0, v9, 1.0
	s_delay_alu instid0(VALU_DEP_1) | instskip(NEXT) | instid1(VALU_DEP_1)
	v_mul_f32_e32 v26, v25, v16
	v_fma_f32 v27, -v0, v26, v25
	s_delay_alu instid0(VALU_DEP_1) | instskip(NEXT) | instid1(VALU_DEP_1)
	v_fmac_f32_e32 v26, v27, v16
	v_fma_f32 v0, -v0, v26, v25
	s_delay_alu instid0(VALU_DEP_1) | instskip(NEXT) | instid1(VALU_DEP_1)
	v_div_fmas_f32 v0, v0, v16, v26
	v_div_fixup_f32 v0, v0, v9, 1.0
.LBB33_54:
	s_add_i32 s0, s34, 1
	s_delay_alu instid0(SALU_CYCLE_1) | instskip(NEXT) | instid1(VALU_DEP_1)
	v_add_nc_u32_e32 v16, s0, v8
	v_mad_u64_u32 v[8:9], null, s1, v16, s[14:15]
	s_and_saveexec_b32 s5, s2
	s_cbranch_execz .LBB33_56
; %bb.55:
	s_delay_alu instid0(VALU_DEP_1)
	v_mad_u64_u32 v[25:26], null, 0x50, v8, v[104:105]
	v_cvt_f32_f16_e64 v27, v136
	v_mov_b32_e32 v26, 0
	v_lshrrev_b32_e32 v9, 16, v136
	v_lshrrev_b32_e32 v16, 16, v135
	v_cvt_f32_f16_e64 v31, v135
	v_mul_f32_e32 v27, v0, v27
	v_lshlrev_b64 v[29:30], 2, v[25:26]
	v_cvt_f32_f16_e32 v9, v9
	v_cvt_f32_f16_e32 v16, v16
	v_mul_f32_e32 v25, v0, v31
	s_delay_alu instid0(VALU_DEP_3) | instskip(SKIP_1) | instid1(VALU_DEP_4)
	v_mul_f32_e32 v28, v0, v9
	v_add_co_u32 v29, vcc_lo, s28, v29
	v_mul_f32_e32 v26, v0, v16
	v_add_co_ci_u32_e32 v30, vcc_lo, s29, v30, vcc_lo
	global_store_b128 v[29:30], v[25:28], off
.LBB33_56:
	s_or_b32 exec_lo, exec_lo, s5
	s_and_saveexec_b32 s5, s4
	s_cbranch_execz .LBB33_58
; %bb.57:
	s_delay_alu instid0(VALU_DEP_1) | instskip(SKIP_1) | instid1(VALU_DEP_2)
	v_ashrrev_i32_e32 v9, 31, v8
	v_mov_b32_e32 v16, v1
	v_lshlrev_b64 v[8:9], 3, v[8:9]
	s_delay_alu instid0(VALU_DEP_1) | instskip(NEXT) | instid1(VALU_DEP_2)
	v_add_co_u32 v8, vcc_lo, s30, v8
	v_add_co_ci_u32_e32 v9, vcc_lo, s31, v9, vcc_lo
	global_store_b64 v[8:9], v[16:17], off
.LBB33_58:
	s_or_b32 exec_lo, exec_lo, s5
	v_add_nc_u32_e32 v0, s33, v118
	s_delay_alu instid0(VALU_DEP_1)
	v_cmp_gt_i32_e32 vcc_lo, s38, v0
	s_and_b32 exec_lo, exec_lo, vcc_lo
	s_cbranch_execz .LBB33_44
; %bb.59:
	v_cmp_ne_u32_e32 vcc_lo, 1, v24
	v_mov_b32_e32 v8, 1.0
	s_cbranch_vccnz .LBB33_61
; %bb.60:
	v_div_scale_f32 v0, null, v10, v10, 1.0
	s_delay_alu instid0(VALU_DEP_1) | instskip(SKIP_2) | instid1(VALU_DEP_1)
	v_rcp_f32_e32 v1, v0
	s_waitcnt_depctr 0xfff
	v_fma_f32 v8, -v0, v1, 1.0
	v_fmac_f32_e32 v1, v8, v1
	v_div_scale_f32 v8, vcc_lo, 1.0, v10, 1.0
	s_delay_alu instid0(VALU_DEP_1) | instskip(NEXT) | instid1(VALU_DEP_1)
	v_mul_f32_e32 v9, v8, v1
	v_fma_f32 v16, -v0, v9, v8
	s_delay_alu instid0(VALU_DEP_1) | instskip(NEXT) | instid1(VALU_DEP_1)
	v_fmac_f32_e32 v9, v16, v1
	v_fma_f32 v0, -v0, v9, v8
	s_delay_alu instid0(VALU_DEP_1) | instskip(NEXT) | instid1(VALU_DEP_1)
	v_div_fmas_f32 v0, v0, v1, v9
	v_div_fixup_f32 v8, v0, v10, 1.0
.LBB33_61:
	v_add_nc_u32_e32 v0, s3, v118
	s_delay_alu instid0(VALU_DEP_1) | instskip(NEXT) | instid1(VALU_DEP_1)
	v_mad_u64_u32 v[9:10], null, v0, s39, s[34:35]
	v_mad_u64_u32 v[0:1], null, s1, v9, s[14:15]
	s_and_saveexec_b32 s5, s2
	s_cbranch_execz .LBB33_63
; %bb.62:
	s_delay_alu instid0(VALU_DEP_1)
	v_mad_u64_u32 v[9:10], null, 0x50, v0, v[104:105]
	v_cvt_f32_f16_e64 v17, v132
	v_mov_b32_e32 v10, 0
	v_lshrrev_b32_e32 v1, 16, v132
	v_lshrrev_b32_e32 v16, 16, v131
	v_cvt_f32_f16_e64 v25, v131
	v_mul_f32_e32 v27, v8, v17
	v_lshlrev_b64 v[9:10], 2, v[9:10]
	v_cvt_f32_f16_e32 v1, v1
	v_cvt_f32_f16_e32 v16, v16
	v_mul_f32_e32 v25, v8, v25
	s_delay_alu instid0(VALU_DEP_3) | instskip(NEXT) | instid1(VALU_DEP_3)
	v_mul_f32_e32 v28, v8, v1
	v_mul_f32_e32 v26, v8, v16
	v_add_co_u32 v8, vcc_lo, s28, v9
	v_add_co_ci_u32_e32 v9, vcc_lo, s29, v10, vcc_lo
	global_store_b128 v[8:9], v[25:28], off
.LBB33_63:
	s_or_b32 exec_lo, exec_lo, s5
	s_and_saveexec_b32 s5, s4
	s_cbranch_execz .LBB33_65
; %bb.64:
	s_delay_alu instid0(VALU_DEP_1) | instskip(SKIP_1) | instid1(VALU_DEP_2)
	v_ashrrev_i32_e32 v1, 31, v0
	v_mov_b32_e32 v17, v2
	v_lshlrev_b64 v[0:1], 3, v[0:1]
	s_delay_alu instid0(VALU_DEP_1) | instskip(NEXT) | instid1(VALU_DEP_2)
	v_add_co_u32 v0, vcc_lo, s30, v0
	v_add_co_ci_u32_e32 v1, vcc_lo, s31, v1, vcc_lo
	global_store_b64 v[0:1], v[17:18], off
.LBB33_65:
	s_or_b32 exec_lo, exec_lo, s5
	v_lshrrev_b32_e32 v0, 1, v117
	s_delay_alu instid0(VALU_DEP_1) | instskip(NEXT) | instid1(VALU_DEP_1)
	v_add_nc_u32_e32 v1, s33, v0
	v_cmp_gt_i32_e32 vcc_lo, s38, v1
	s_and_b32 exec_lo, exec_lo, vcc_lo
	s_cbranch_execz .LBB33_44
; %bb.66:
	v_cmp_ne_u32_e32 vcc_lo, 1, v24
	v_mov_b32_e32 v2, 1.0
	s_cbranch_vccnz .LBB33_68
; %bb.67:
	v_div_scale_f32 v1, null, v11, v11, 1.0
	s_delay_alu instid0(VALU_DEP_1) | instskip(SKIP_2) | instid1(VALU_DEP_1)
	v_rcp_f32_e32 v2, v1
	s_waitcnt_depctr 0xfff
	v_fma_f32 v8, -v1, v2, 1.0
	v_fmac_f32_e32 v2, v8, v2
	v_div_scale_f32 v8, vcc_lo, 1.0, v11, 1.0
	s_delay_alu instid0(VALU_DEP_1) | instskip(NEXT) | instid1(VALU_DEP_1)
	v_mul_f32_e32 v9, v8, v2
	v_fma_f32 v10, -v1, v9, v8
	s_delay_alu instid0(VALU_DEP_1) | instskip(NEXT) | instid1(VALU_DEP_1)
	v_fmac_f32_e32 v9, v10, v2
	v_fma_f32 v1, -v1, v9, v8
	s_delay_alu instid0(VALU_DEP_1) | instskip(NEXT) | instid1(VALU_DEP_1)
	v_div_fmas_f32 v1, v1, v2, v9
	v_div_fixup_f32 v2, v1, v11, 1.0
.LBB33_68:
	v_add_nc_u32_e32 v0, s3, v0
	s_delay_alu instid0(VALU_DEP_1) | instskip(NEXT) | instid1(VALU_DEP_1)
	v_mad_u64_u32 v[8:9], null, v0, s39, s[0:1]
	v_mad_u64_u32 v[0:1], null, s1, v8, s[14:15]
	s_and_saveexec_b32 s5, s2
	s_cbranch_execz .LBB33_70
; %bb.69:
	s_delay_alu instid0(VALU_DEP_1)
	v_mad_u64_u32 v[8:9], null, 0x50, v0, v[104:105]
	v_lshrrev_b32_e32 v10, 16, v129
	v_cvt_f32_f16_e64 v18, v130
	v_mov_b32_e32 v9, 0
	v_lshrrev_b32_e32 v1, 16, v130
	v_cvt_f32_f16_e64 v26, v129
	v_cvt_f32_f16_e32 v25, v10
	v_mul_f32_e32 v10, v2, v18
	v_lshlrev_b64 v[16:17], 2, v[8:9]
	v_cvt_f32_f16_e32 v1, v1
	v_mul_f32_e32 v8, v2, v26
	v_mul_f32_e32 v9, v2, v25
	s_delay_alu instid0(VALU_DEP_3)
	v_mul_f32_e32 v11, v2, v1
	v_add_co_u32 v1, vcc_lo, s28, v16
	v_add_co_ci_u32_e32 v2, vcc_lo, s29, v17, vcc_lo
	global_store_b128 v[1:2], v[8:11], off
.LBB33_70:
	s_or_b32 exec_lo, exec_lo, s5
	s_and_saveexec_b32 s5, s4
	s_cbranch_execz .LBB33_72
; %bb.71:
	s_delay_alu instid0(VALU_DEP_1) | instskip(SKIP_1) | instid1(VALU_DEP_2)
	v_ashrrev_i32_e32 v1, 31, v0
	v_mov_b32_e32 v18, v3
	v_lshlrev_b64 v[0:1], 3, v[0:1]
	s_delay_alu instid0(VALU_DEP_1) | instskip(NEXT) | instid1(VALU_DEP_2)
	v_add_co_u32 v0, vcc_lo, s30, v0
	v_add_co_ci_u32_e32 v1, vcc_lo, s31, v1, vcc_lo
	global_store_b64 v[0:1], v[18:19], off
.LBB33_72:
	s_or_b32 exec_lo, exec_lo, s5
	v_lshrrev_b32_e32 v0, 1, v116
	s_delay_alu instid0(VALU_DEP_1) | instskip(NEXT) | instid1(VALU_DEP_1)
	v_add_nc_u32_e32 v1, s33, v0
	v_cmp_gt_i32_e32 vcc_lo, s38, v1
	s_and_b32 exec_lo, exec_lo, vcc_lo
	s_cbranch_execz .LBB33_44
; %bb.73:
	v_cmp_ne_u32_e32 vcc_lo, 1, v24
	v_mov_b32_e32 v2, 1.0
	s_cbranch_vccnz .LBB33_75
; %bb.74:
	v_div_scale_f32 v1, null, v12, v12, 1.0
	s_delay_alu instid0(VALU_DEP_1) | instskip(SKIP_2) | instid1(VALU_DEP_1)
	v_rcp_f32_e32 v2, v1
	s_waitcnt_depctr 0xfff
	v_fma_f32 v3, -v1, v2, 1.0
	v_fmac_f32_e32 v2, v3, v2
	v_div_scale_f32 v3, vcc_lo, 1.0, v12, 1.0
	s_delay_alu instid0(VALU_DEP_1) | instskip(NEXT) | instid1(VALU_DEP_1)
	v_mul_f32_e32 v8, v3, v2
	v_fma_f32 v9, -v1, v8, v3
	s_delay_alu instid0(VALU_DEP_1) | instskip(NEXT) | instid1(VALU_DEP_1)
	v_fmac_f32_e32 v8, v9, v2
	v_fma_f32 v1, -v1, v8, v3
	s_delay_alu instid0(VALU_DEP_1) | instskip(NEXT) | instid1(VALU_DEP_1)
	v_div_fmas_f32 v1, v1, v2, v8
	v_div_fixup_f32 v2, v1, v12, 1.0
.LBB33_75:
	v_add_nc_u32_e32 v0, s3, v0
	s_delay_alu instid0(VALU_DEP_1) | instskip(NEXT) | instid1(VALU_DEP_1)
	v_mad_u64_u32 v[8:9], null, v0, s39, s[34:35]
	v_mad_u64_u32 v[0:1], null, s1, v8, s[14:15]
	s_and_saveexec_b32 s5, s2
	s_cbranch_execz .LBB33_77
; %bb.76:
	s_delay_alu instid0(VALU_DEP_1)
	v_mad_u64_u32 v[8:9], null, 0x50, v0, v[104:105]
	v_cvt_f32_f16_e64 v10, v128
	v_mov_b32_e32 v9, 0
	v_lshrrev_b32_e32 v1, 16, v128
	v_lshrrev_b32_e32 v3, 16, v127
	v_cvt_f32_f16_e32 v12, v127
	v_mul_f32_e32 v10, v2, v10
	v_lshlrev_b64 v[16:17], 2, v[8:9]
	v_cvt_f32_f16_e32 v1, v1
	v_cvt_f32_f16_e32 v3, v3
	v_mul_f32_e32 v8, v2, v12
	s_delay_alu instid0(VALU_DEP_3) | instskip(SKIP_1) | instid1(VALU_DEP_4)
	v_mul_f32_e32 v11, v2, v1
	v_add_co_u32 v1, vcc_lo, s28, v16
	v_mul_f32_e32 v9, v2, v3
	v_add_co_ci_u32_e32 v2, vcc_lo, s29, v17, vcc_lo
	global_store_b128 v[1:2], v[8:11], off
.LBB33_77:
	s_or_b32 exec_lo, exec_lo, s5
	s_and_saveexec_b32 s5, s4
	s_cbranch_execz .LBB33_79
; %bb.78:
	s_delay_alu instid0(VALU_DEP_1) | instskip(SKIP_1) | instid1(VALU_DEP_2)
	v_ashrrev_i32_e32 v1, 31, v0
	v_mov_b32_e32 v19, v4
	v_lshlrev_b64 v[0:1], 3, v[0:1]
	s_delay_alu instid0(VALU_DEP_1) | instskip(NEXT) | instid1(VALU_DEP_2)
	v_add_co_u32 v0, vcc_lo, s30, v0
	v_add_co_ci_u32_e32 v1, vcc_lo, s31, v1, vcc_lo
	global_store_b64 v[0:1], v[19:20], off
.LBB33_79:
	s_or_b32 exec_lo, exec_lo, s5
	v_lshrrev_b32_e32 v0, 1, v115
	s_delay_alu instid0(VALU_DEP_1) | instskip(NEXT) | instid1(VALU_DEP_1)
	v_add_nc_u32_e32 v1, s33, v0
	v_cmp_gt_i32_e32 vcc_lo, s38, v1
	s_and_b32 exec_lo, exec_lo, vcc_lo
	s_cbranch_execz .LBB33_44
; %bb.80:
	v_cmp_ne_u32_e32 vcc_lo, 1, v24
	v_mov_b32_e32 v2, 1.0
	s_cbranch_vccnz .LBB33_82
; %bb.81:
	v_div_scale_f32 v1, null, v13, v13, 1.0
	s_delay_alu instid0(VALU_DEP_1) | instskip(SKIP_2) | instid1(VALU_DEP_1)
	v_rcp_f32_e32 v2, v1
	s_waitcnt_depctr 0xfff
	v_fma_f32 v3, -v1, v2, 1.0
	v_fmac_f32_e32 v2, v3, v2
	v_div_scale_f32 v3, vcc_lo, 1.0, v13, 1.0
	s_delay_alu instid0(VALU_DEP_1) | instskip(NEXT) | instid1(VALU_DEP_1)
	v_mul_f32_e32 v4, v3, v2
	v_fma_f32 v8, -v1, v4, v3
	s_delay_alu instid0(VALU_DEP_1) | instskip(NEXT) | instid1(VALU_DEP_1)
	v_fmac_f32_e32 v4, v8, v2
	v_fma_f32 v1, -v1, v4, v3
	s_delay_alu instid0(VALU_DEP_1) | instskip(NEXT) | instid1(VALU_DEP_1)
	v_div_fmas_f32 v1, v1, v2, v4
	v_div_fixup_f32 v2, v1, v13, 1.0
.LBB33_82:
	v_add_nc_u32_e32 v0, s3, v0
	s_delay_alu instid0(VALU_DEP_1) | instskip(NEXT) | instid1(VALU_DEP_1)
	v_mad_u64_u32 v[3:4], null, v0, s39, s[0:1]
	v_mad_u64_u32 v[0:1], null, s1, v3, s[14:15]
	s_and_saveexec_b32 s5, s2
	s_cbranch_execz .LBB33_84
; %bb.83:
	v_lshrrev_b32_e32 v1, 16, v126
	s_delay_alu instid0(VALU_DEP_2) | instskip(SKIP_2) | instid1(VALU_DEP_4)
	v_mad_u64_u32 v[3:4], null, 0x50, v0, v[104:105]
	v_lshrrev_b32_e32 v8, 16, v125
	v_cvt_f32_f16_e32 v9, v126
	v_cvt_f32_f16_e32 v1, v1
	v_mov_b32_e32 v4, 0
	v_cvt_f32_f16_e32 v12, v125
	v_cvt_f32_f16_e32 v8, v8
	v_mul_f32_e32 v10, v2, v9
	v_mul_f32_e32 v11, v2, v1
	v_lshlrev_b64 v[3:4], 2, v[3:4]
	s_delay_alu instid0(VALU_DEP_4) | instskip(SKIP_1) | instid1(VALU_DEP_3)
	v_mul_f32_e32 v9, v2, v8
	v_mul_f32_e32 v8, v2, v12
	v_add_co_u32 v1, vcc_lo, s28, v3
	s_delay_alu instid0(VALU_DEP_4)
	v_add_co_ci_u32_e32 v2, vcc_lo, s29, v4, vcc_lo
	global_store_b128 v[1:2], v[8:11], off
.LBB33_84:
	s_or_b32 exec_lo, exec_lo, s5
	s_and_saveexec_b32 s5, s4
	s_cbranch_execz .LBB33_86
; %bb.85:
	s_delay_alu instid0(VALU_DEP_1) | instskip(SKIP_1) | instid1(VALU_DEP_2)
	v_ashrrev_i32_e32 v1, 31, v0
	v_mov_b32_e32 v20, v5
	v_lshlrev_b64 v[0:1], 3, v[0:1]
	s_delay_alu instid0(VALU_DEP_1) | instskip(NEXT) | instid1(VALU_DEP_2)
	v_add_co_u32 v0, vcc_lo, s30, v0
	v_add_co_ci_u32_e32 v1, vcc_lo, s31, v1, vcc_lo
	global_store_b64 v[0:1], v[20:21], off
.LBB33_86:
	s_or_b32 exec_lo, exec_lo, s5
	v_lshrrev_b32_e32 v0, 1, v114
	s_delay_alu instid0(VALU_DEP_1) | instskip(NEXT) | instid1(VALU_DEP_1)
	v_add_nc_u32_e32 v1, s33, v0
	v_cmp_gt_i32_e32 vcc_lo, s38, v1
	s_and_b32 exec_lo, exec_lo, vcc_lo
	s_cbranch_execz .LBB33_44
; %bb.87:
	v_cmp_ne_u32_e32 vcc_lo, 1, v24
	v_mov_b32_e32 v2, 1.0
	s_cbranch_vccnz .LBB33_89
; %bb.88:
	v_div_scale_f32 v1, null, v14, v14, 1.0
	s_delay_alu instid0(VALU_DEP_1) | instskip(SKIP_2) | instid1(VALU_DEP_1)
	v_rcp_f32_e32 v2, v1
	s_waitcnt_depctr 0xfff
	v_fma_f32 v3, -v1, v2, 1.0
	v_fmac_f32_e32 v2, v3, v2
	v_div_scale_f32 v3, vcc_lo, 1.0, v14, 1.0
	s_delay_alu instid0(VALU_DEP_1) | instskip(NEXT) | instid1(VALU_DEP_1)
	v_mul_f32_e32 v4, v3, v2
	v_fma_f32 v5, -v1, v4, v3
	s_delay_alu instid0(VALU_DEP_1) | instskip(NEXT) | instid1(VALU_DEP_1)
	v_fmac_f32_e32 v4, v5, v2
	v_fma_f32 v1, -v1, v4, v3
	s_delay_alu instid0(VALU_DEP_1) | instskip(NEXT) | instid1(VALU_DEP_1)
	v_div_fmas_f32 v1, v1, v2, v4
	v_div_fixup_f32 v2, v1, v14, 1.0
.LBB33_89:
	v_add_nc_u32_e32 v0, s3, v0
	s_delay_alu instid0(VALU_DEP_1) | instskip(NEXT) | instid1(VALU_DEP_1)
	v_mad_u64_u32 v[3:4], null, v0, s39, s[34:35]
	v_mad_u64_u32 v[0:1], null, s1, v3, s[14:15]
	s_and_saveexec_b32 s5, s2
	s_cbranch_execz .LBB33_91
; %bb.90:
	v_lshrrev_b32_e32 v1, 16, v124
	s_delay_alu instid0(VALU_DEP_2) | instskip(SKIP_2) | instid1(VALU_DEP_4)
	v_mad_u64_u32 v[3:4], null, 0x50, v0, v[104:105]
	v_lshrrev_b32_e32 v5, 16, v123
	v_cvt_f32_f16_e32 v10, v124
	v_cvt_f32_f16_e32 v1, v1
	v_mov_b32_e32 v4, 0
	v_cvt_f32_f16_e32 v12, v123
	v_cvt_f32_f16_e32 v11, v5
	s_delay_alu instid0(VALU_DEP_4) | instskip(NEXT) | instid1(VALU_DEP_4)
	v_mul_f32_e32 v5, v2, v1
	v_lshlrev_b64 v[8:9], 2, v[3:4]
	v_mul_f32_e32 v4, v2, v10
	s_delay_alu instid0(VALU_DEP_4) | instskip(SKIP_1) | instid1(VALU_DEP_4)
	v_mul_f32_e32 v3, v2, v11
	v_mul_f32_e32 v2, v2, v12
	v_add_co_u32 v8, vcc_lo, s28, v8
	v_add_co_ci_u32_e32 v9, vcc_lo, s29, v9, vcc_lo
	global_store_b128 v[8:9], v[2:5], off
.LBB33_91:
	s_or_b32 exec_lo, exec_lo, s5
	s_and_saveexec_b32 s5, s4
	s_cbranch_execz .LBB33_93
; %bb.92:
	s_delay_alu instid0(VALU_DEP_1) | instskip(SKIP_1) | instid1(VALU_DEP_2)
	v_ashrrev_i32_e32 v1, 31, v0
	v_mov_b32_e32 v21, v6
	v_lshlrev_b64 v[0:1], 3, v[0:1]
	s_delay_alu instid0(VALU_DEP_1) | instskip(NEXT) | instid1(VALU_DEP_2)
	v_add_co_u32 v0, vcc_lo, s30, v0
	v_add_co_ci_u32_e32 v1, vcc_lo, s31, v1, vcc_lo
	global_store_b64 v[0:1], v[21:22], off
.LBB33_93:
	s_or_b32 exec_lo, exec_lo, s5
	v_lshrrev_b32_e32 v0, 1, v113
	s_delay_alu instid0(VALU_DEP_1) | instskip(NEXT) | instid1(VALU_DEP_1)
	v_add_nc_u32_e32 v1, s33, v0
	v_cmp_gt_i32_e32 vcc_lo, s38, v1
	s_and_b32 exec_lo, exec_lo, vcc_lo
	s_cbranch_execz .LBB33_44
; %bb.94:
	v_cmp_ne_u32_e32 vcc_lo, 1, v24
	v_mov_b32_e32 v2, 1.0
	s_cbranch_vccnz .LBB33_96
; %bb.95:
	v_div_scale_f32 v1, null, v15, v15, 1.0
	s_delay_alu instid0(VALU_DEP_1) | instskip(SKIP_2) | instid1(VALU_DEP_1)
	v_rcp_f32_e32 v2, v1
	s_waitcnt_depctr 0xfff
	v_fma_f32 v3, -v1, v2, 1.0
	v_fmac_f32_e32 v2, v3, v2
	v_div_scale_f32 v3, vcc_lo, 1.0, v15, 1.0
	s_delay_alu instid0(VALU_DEP_1) | instskip(NEXT) | instid1(VALU_DEP_1)
	v_mul_f32_e32 v4, v3, v2
	v_fma_f32 v5, -v1, v4, v3
	s_delay_alu instid0(VALU_DEP_1) | instskip(NEXT) | instid1(VALU_DEP_1)
	v_fmac_f32_e32 v4, v5, v2
	v_fma_f32 v1, -v1, v4, v3
	s_delay_alu instid0(VALU_DEP_1) | instskip(NEXT) | instid1(VALU_DEP_1)
	v_div_fmas_f32 v1, v1, v2, v4
	v_div_fixup_f32 v2, v1, v15, 1.0
.LBB33_96:
	v_add_nc_u32_e32 v0, s3, v0
	s_delay_alu instid0(VALU_DEP_1) | instskip(NEXT) | instid1(VALU_DEP_1)
	v_mad_u64_u32 v[3:4], null, v0, s39, s[0:1]
	v_mad_u64_u32 v[0:1], null, s1, v3, s[14:15]
	s_and_saveexec_b32 s0, s2
	s_cbranch_execz .LBB33_98
; %bb.97:
	v_lshrrev_b32_e32 v1, 16, v121
	s_delay_alu instid0(VALU_DEP_2) | instskip(SKIP_2) | instid1(VALU_DEP_4)
	v_mad_u64_u32 v[3:4], null, 0x50, v0, v[104:105]
	v_lshrrev_b32_e32 v5, 16, v122
	v_cvt_f32_f16_e32 v6, v121
	v_cvt_f32_f16_e32 v1, v1
	v_mov_b32_e32 v4, 0
	v_cvt_f32_f16_e32 v11, v122
	v_cvt_f32_f16_e32 v10, v5
	s_delay_alu instid0(VALU_DEP_4) | instskip(NEXT) | instid1(VALU_DEP_4)
	v_mul_f32_e32 v5, v2, v1
	v_lshlrev_b64 v[8:9], 2, v[3:4]
	v_mul_f32_e32 v4, v2, v6
	s_delay_alu instid0(VALU_DEP_4) | instskip(SKIP_1) | instid1(VALU_DEP_4)
	v_mul_f32_e32 v3, v2, v10
	v_mul_f32_e32 v2, v2, v11
	v_add_co_u32 v8, vcc_lo, s28, v8
	v_add_co_ci_u32_e32 v9, vcc_lo, s29, v9, vcc_lo
	global_store_b128 v[8:9], v[2:5], off
.LBB33_98:
	s_or_b32 exec_lo, exec_lo, s0
	s_delay_alu instid0(SALU_CYCLE_1)
	s_and_b32 exec_lo, exec_lo, s4
	s_cbranch_execz .LBB33_44
; %bb.99:
	s_delay_alu instid0(VALU_DEP_1) | instskip(SKIP_1) | instid1(VALU_DEP_2)
	v_ashrrev_i32_e32 v1, 31, v0
	v_mov_b32_e32 v22, v7
	v_lshlrev_b64 v[0:1], 3, v[0:1]
	s_delay_alu instid0(VALU_DEP_1) | instskip(NEXT) | instid1(VALU_DEP_2)
	v_add_co_u32 v0, vcc_lo, s30, v0
	v_add_co_ci_u32_e32 v1, vcc_lo, s31, v1, vcc_lo
	global_store_b64 v[0:1], v[22:23], off
	s_nop 0
	s_sendmsg sendmsg(MSG_DEALLOC_VGPRS)
	s_endpgm
	.section	.rodata,"a",@progbits
	.p2align	6, 0x0
	.amdhsa_kernel _ZL15flash_attn_tileILi80ELi80ELi32ELi2ELb0EEvPKcS1_S1_S1_S1_PKiPfP15HIP_vector_typeIfLj2EEffffjfiS5_IjLj3EEiiiiiiiiiiiliiliiiiil
		.amdhsa_group_segment_fixed_size 17600
		.amdhsa_private_segment_fixed_size 0
		.amdhsa_kernarg_size 464
		.amdhsa_user_sgpr_count 13
		.amdhsa_user_sgpr_dispatch_ptr 0
		.amdhsa_user_sgpr_queue_ptr 0
		.amdhsa_user_sgpr_kernarg_segment_ptr 1
		.amdhsa_user_sgpr_dispatch_id 0
		.amdhsa_user_sgpr_private_segment_size 0
		.amdhsa_wavefront_size32 1
		.amdhsa_uses_dynamic_stack 0
		.amdhsa_enable_private_segment 0
		.amdhsa_system_sgpr_workgroup_id_x 1
		.amdhsa_system_sgpr_workgroup_id_y 1
		.amdhsa_system_sgpr_workgroup_id_z 1
		.amdhsa_system_sgpr_workgroup_info 0
		.amdhsa_system_vgpr_workitem_id 1
		.amdhsa_next_free_vgpr 212
		.amdhsa_next_free_sgpr 52
		.amdhsa_reserve_vcc 1
		.amdhsa_float_round_mode_32 0
		.amdhsa_float_round_mode_16_64 0
		.amdhsa_float_denorm_mode_32 3
		.amdhsa_float_denorm_mode_16_64 3
		.amdhsa_dx10_clamp 1
		.amdhsa_ieee_mode 1
		.amdhsa_fp16_overflow 0
		.amdhsa_workgroup_processor_mode 1
		.amdhsa_memory_ordered 1
		.amdhsa_forward_progress 0
		.amdhsa_shared_vgpr_count 0
		.amdhsa_exception_fp_ieee_invalid_op 0
		.amdhsa_exception_fp_denorm_src 0
		.amdhsa_exception_fp_ieee_div_zero 0
		.amdhsa_exception_fp_ieee_overflow 0
		.amdhsa_exception_fp_ieee_underflow 0
		.amdhsa_exception_fp_ieee_inexact 0
		.amdhsa_exception_int_div_zero 0
	.end_amdhsa_kernel
	.section	.text._ZL15flash_attn_tileILi80ELi80ELi32ELi2ELb0EEvPKcS1_S1_S1_S1_PKiPfP15HIP_vector_typeIfLj2EEffffjfiS5_IjLj3EEiiiiiiiiiiiliiliiiiil,"axG",@progbits,_ZL15flash_attn_tileILi80ELi80ELi32ELi2ELb0EEvPKcS1_S1_S1_S1_PKiPfP15HIP_vector_typeIfLj2EEffffjfiS5_IjLj3EEiiiiiiiiiiiliiliiiiil,comdat
.Lfunc_end33:
	.size	_ZL15flash_attn_tileILi80ELi80ELi32ELi2ELb0EEvPKcS1_S1_S1_S1_PKiPfP15HIP_vector_typeIfLj2EEffffjfiS5_IjLj3EEiiiiiiiiiiiliiliiiiil, .Lfunc_end33-_ZL15flash_attn_tileILi80ELi80ELi32ELi2ELb0EEvPKcS1_S1_S1_S1_PKiPfP15HIP_vector_typeIfLj2EEffffjfiS5_IjLj3EEiiiiiiiiiiiliiliiiiil
                                        ; -- End function
	.section	.AMDGPU.csdata,"",@progbits
; Kernel info:
; codeLenInByte = 24892
; NumSgprs: 54
; NumVgprs: 212
; ScratchSize: 0
; MemoryBound: 0
; FloatMode: 240
; IeeeMode: 1
; LDSByteSize: 17600 bytes/workgroup (compile time only)
; SGPRBlocks: 6
; VGPRBlocks: 26
; NumSGPRsForWavesPerEU: 54
; NumVGPRsForWavesPerEU: 212
; Occupancy: 7
; WaveLimiterHint : 1
; COMPUTE_PGM_RSRC2:SCRATCH_EN: 0
; COMPUTE_PGM_RSRC2:USER_SGPR: 13
; COMPUTE_PGM_RSRC2:TRAP_HANDLER: 0
; COMPUTE_PGM_RSRC2:TGID_X_EN: 1
; COMPUTE_PGM_RSRC2:TGID_Y_EN: 1
; COMPUTE_PGM_RSRC2:TGID_Z_EN: 1
; COMPUTE_PGM_RSRC2:TIDIG_COMP_CNT: 1
	.section	.text._ZL25flash_attn_mask_to_KV_maxILi32EEvPK7__half2Piiii,"axG",@progbits,_ZL25flash_attn_mask_to_KV_maxILi32EEvPK7__half2Piiii,comdat
	.globl	_ZL25flash_attn_mask_to_KV_maxILi32EEvPK7__half2Piiii ; -- Begin function _ZL25flash_attn_mask_to_KV_maxILi32EEvPK7__half2Piiii
	.p2align	8
	.type	_ZL25flash_attn_mask_to_KV_maxILi32EEvPK7__half2Piiii,@function
_ZL25flash_attn_mask_to_KV_maxILi32EEvPK7__half2Piiii: ; @_ZL25flash_attn_mask_to_KV_maxILi32EEvPK7__half2Piiii
; %bb.0:
	s_load_b128 s[4:7], s[0:1], 0x0
	s_mov_b32 s2, exec_lo
	v_cmpx_gt_u32_e32 32, v0
	s_cbranch_execz .LBB34_2
; %bb.1:
	v_dual_mov_b32 v2, 1 :: v_dual_lshlrev_b32 v1, 2, v0
	ds_store_b32 v1, v2
.LBB34_2:
	s_or_b32 exec_lo, exec_lo, s2
	s_clause 0x1
	s_load_b128 s[8:11], s[0:1], 0x10
	s_load_b32 s1, s[0:1], 0x20
	v_dual_mov_b32 v2, 0 :: v_dual_and_b32 v1, 31, v0
	v_lshrrev_b32_e32 v5, 3, v0
	s_waitcnt lgkmcnt(0)
	s_barrier
	s_delay_alu instid0(VALU_DEP_2) | instskip(SKIP_4) | instid1(SALU_CYCLE_1)
	v_lshlrev_b32_e32 v6, 2, v1
	buffer_gl0_inv
	s_mul_i32 s0, s14, s9
	s_mul_i32 s2, s15, s10
	s_lshl_b32 s0, s0, 5
	s_add_i32 s2, s2, s0
	v_cmp_eq_u32_e64 s0, 0, v1
	s_ashr_i32 s3, s2, 31
	s_delay_alu instid0(SALU_CYCLE_1) | instskip(NEXT) | instid1(SALU_CYCLE_1)
	s_lshl_b64 s[10:11], s[2:3], 2
	s_add_u32 s3, s4, s10
	s_addc_u32 s4, s5, s11
	s_lshl_b32 s5, s8, 8
	s_branch .LBB34_4
.LBB34_3:                               ;   in Loop: Header=BB34_4 Depth=1
	s_or_b32 exec_lo, exec_lo, s10
	s_waitcnt lgkmcnt(0)
	s_barrier
	buffer_gl0_inv
	ds_load_b32 v1, v6
	s_waitcnt lgkmcnt(0)
	s_barrier
	buffer_gl0_inv
	;;#ASMSTART
	;;#ASMEND
	v_cmp_ne_u32_e32 vcc_lo, 0, v1
	s_cmp_lg_u32 vcc_lo, exec_lo
	s_cselect_b32 s8, -1, 0
	s_delay_alu instid0(SALU_CYCLE_1)
	s_and_b32 vcc_lo, exec_lo, s8
	s_cbranch_vccnz .LBB34_132
.LBB34_4:                               ; =>This Inner Loop Header: Depth=1
	s_mov_b32 s2, s5
	s_addk_i32 s5, 0xff00
	s_delay_alu instid0(SALU_CYCLE_1)
	s_cmp_lt_i32 s5, 0
	s_cbranch_scc1 .LBB34_131
; %bb.5:                                ;   in Loop: Header=BB34_4 Depth=1
	s_lshr_b32 s8, s5, 1
	s_mov_b32 s10, 0
	v_add_nc_u32_e32 v1, s8, v0
	s_delay_alu instid0(VALU_DEP_1) | instskip(NEXT) | instid1(VALU_DEP_1)
	v_lshlrev_b64 v[3:4], 2, v[1:2]
	v_add_co_u32 v3, vcc_lo, s3, v3
	s_delay_alu instid0(VALU_DEP_2) | instskip(SKIP_4) | instid1(VALU_DEP_2)
	v_add_co_ci_u32_e32 v4, vcc_lo, s4, v4, vcc_lo
	global_load_b32 v3, v[3:4], off
	s_waitcnt vmcnt(0)
	v_lshrrev_b32_e32 v4, 16, v3
	v_cmp_class_f16_e64 s8, v3, 0x204
	v_and_b32_e32 v4, 0x7fff, v4
	s_delay_alu instid0(VALU_DEP_1) | instskip(NEXT) | instid1(VALU_DEP_3)
	v_cmp_eq_f16_e32 vcc_lo, 0x7c00, v4
	s_and_b32 s11, s8, vcc_lo
	s_delay_alu instid0(SALU_CYCLE_1)
	s_and_saveexec_b32 s8, s11
	s_cbranch_execz .LBB34_129
; %bb.6:                                ;   in Loop: Header=BB34_4 Depth=1
	v_add_nc_u32_e32 v3, s9, v1
	s_mov_b32 s11, 0
	s_delay_alu instid0(VALU_DEP_1) | instskip(NEXT) | instid1(VALU_DEP_1)
	v_ashrrev_i32_e32 v4, 31, v3
	v_lshlrev_b64 v[7:8], 2, v[3:4]
	s_delay_alu instid0(VALU_DEP_1) | instskip(NEXT) | instid1(VALU_DEP_2)
	v_add_co_u32 v7, vcc_lo, s3, v7
	v_add_co_ci_u32_e32 v8, vcc_lo, s4, v8, vcc_lo
	global_load_b32 v1, v[7:8], off
	s_waitcnt vmcnt(0)
	v_cmp_class_f16_e64 s12, v1, 0x204
	s_delay_alu instid0(VALU_DEP_1)
	s_and_saveexec_b32 s10, s12
	s_cbranch_execz .LBB34_128
; %bb.7:                                ;   in Loop: Header=BB34_4 Depth=1
	v_lshrrev_b32_e32 v1, 16, v1
	s_mov_b32 s12, 0
	s_delay_alu instid0(VALU_DEP_1) | instskip(NEXT) | instid1(VALU_DEP_1)
	v_cmp_class_f16_e64 s13, v1, 0x204
	s_and_saveexec_b32 s11, s13
	s_cbranch_execz .LBB34_127
; %bb.8:                                ;   in Loop: Header=BB34_4 Depth=1
	v_add_nc_u32_e32 v3, s9, v3
	s_mov_b32 s13, 0
	s_delay_alu instid0(VALU_DEP_1) | instskip(NEXT) | instid1(VALU_DEP_1)
	v_ashrrev_i32_e32 v4, 31, v3
	v_lshlrev_b64 v[7:8], 2, v[3:4]
	s_delay_alu instid0(VALU_DEP_1) | instskip(NEXT) | instid1(VALU_DEP_2)
	v_add_co_u32 v7, vcc_lo, s3, v7
	v_add_co_ci_u32_e32 v8, vcc_lo, s4, v8, vcc_lo
	global_load_b32 v1, v[7:8], off
	s_waitcnt vmcnt(0)
	v_cmp_class_f16_e64 s16, v1, 0x204
	s_delay_alu instid0(VALU_DEP_1)
	s_and_saveexec_b32 s12, s16
	s_cbranch_execz .LBB34_126
; %bb.9:                                ;   in Loop: Header=BB34_4 Depth=1
	v_lshrrev_b32_e32 v1, 16, v1
	s_mov_b32 s16, 0
	s_delay_alu instid0(VALU_DEP_1) | instskip(NEXT) | instid1(VALU_DEP_1)
	v_cmp_class_f16_e64 s17, v1, 0x204
	s_and_saveexec_b32 s13, s17
	s_cbranch_execz .LBB34_125
; %bb.10:                               ;   in Loop: Header=BB34_4 Depth=1
	v_add_nc_u32_e32 v3, s9, v3
	s_mov_b32 s17, 0
	s_delay_alu instid0(VALU_DEP_1) | instskip(NEXT) | instid1(VALU_DEP_1)
	v_ashrrev_i32_e32 v4, 31, v3
	v_lshlrev_b64 v[7:8], 2, v[3:4]
	s_delay_alu instid0(VALU_DEP_1) | instskip(NEXT) | instid1(VALU_DEP_2)
	v_add_co_u32 v7, vcc_lo, s3, v7
	v_add_co_ci_u32_e32 v8, vcc_lo, s4, v8, vcc_lo
	global_load_b32 v1, v[7:8], off
	s_waitcnt vmcnt(0)
	v_cmp_class_f16_e64 s18, v1, 0x204
	s_delay_alu instid0(VALU_DEP_1)
	s_and_saveexec_b32 s16, s18
	s_cbranch_execz .LBB34_124
; %bb.11:                               ;   in Loop: Header=BB34_4 Depth=1
	v_lshrrev_b32_e32 v1, 16, v1
	s_mov_b32 s18, 0
	s_delay_alu instid0(VALU_DEP_1) | instskip(NEXT) | instid1(VALU_DEP_1)
	v_cmp_class_f16_e64 s19, v1, 0x204
	s_and_saveexec_b32 s17, s19
	s_cbranch_execz .LBB34_123
; %bb.12:                               ;   in Loop: Header=BB34_4 Depth=1
	v_add_nc_u32_e32 v3, s9, v3
	s_mov_b32 s19, 0
	s_delay_alu instid0(VALU_DEP_1) | instskip(NEXT) | instid1(VALU_DEP_1)
	v_ashrrev_i32_e32 v4, 31, v3
	v_lshlrev_b64 v[7:8], 2, v[3:4]
	s_delay_alu instid0(VALU_DEP_1) | instskip(NEXT) | instid1(VALU_DEP_2)
	v_add_co_u32 v7, vcc_lo, s3, v7
	v_add_co_ci_u32_e32 v8, vcc_lo, s4, v8, vcc_lo
	global_load_b32 v1, v[7:8], off
	s_waitcnt vmcnt(0)
	v_cmp_class_f16_e64 s20, v1, 0x204
	s_delay_alu instid0(VALU_DEP_1)
	s_and_saveexec_b32 s18, s20
	s_cbranch_execz .LBB34_122
; %bb.13:                               ;   in Loop: Header=BB34_4 Depth=1
	;; [unrolled: 22-line block ×28, first 2 shown]
	v_lshrrev_b32_e32 v1, 16, v1
	s_mov_b32 s73, 0
	s_delay_alu instid0(VALU_DEP_1) | instskip(NEXT) | instid1(VALU_DEP_1)
	v_cmp_class_f16_e64 s74, v1, 0x204
	s_and_saveexec_b32 s72, s74
	s_cbranch_execz .LBB34_69
; %bb.66:                               ;   in Loop: Header=BB34_4 Depth=1
	v_add_nc_u32_e32 v3, s9, v3
	s_delay_alu instid0(VALU_DEP_1) | instskip(NEXT) | instid1(VALU_DEP_1)
	v_ashrrev_i32_e32 v4, 31, v3
	v_lshlrev_b64 v[3:4], 2, v[3:4]
	s_delay_alu instid0(VALU_DEP_1) | instskip(NEXT) | instid1(VALU_DEP_2)
	v_add_co_u32 v3, vcc_lo, s3, v3
	v_add_co_ci_u32_e32 v4, vcc_lo, s4, v4, vcc_lo
	global_load_b32 v1, v[3:4], off
	s_waitcnt vmcnt(0)
	v_cmp_class_f16_e64 s75, v1, 0x204
	s_delay_alu instid0(VALU_DEP_1)
	s_and_saveexec_b32 s74, s75
; %bb.67:                               ;   in Loop: Header=BB34_4 Depth=1
	v_lshrrev_b32_e32 v1, 16, v1
	s_delay_alu instid0(VALU_DEP_1) | instskip(NEXT) | instid1(VALU_DEP_1)
	v_cmp_class_f16_e64 s73, v1, 0x204
	s_and_b32 s73, s73, exec_lo
; %bb.68:                               ;   in Loop: Header=BB34_4 Depth=1
	s_or_b32 exec_lo, exec_lo, s74
	s_delay_alu instid0(SALU_CYCLE_1)
	s_and_b32 s73, s73, exec_lo
.LBB34_69:                              ;   in Loop: Header=BB34_4 Depth=1
	s_or_b32 exec_lo, exec_lo, s72
	s_delay_alu instid0(SALU_CYCLE_1)
	s_and_b32 s72, s73, exec_lo
.LBB34_70:                              ;   in Loop: Header=BB34_4 Depth=1
	s_or_b32 exec_lo, exec_lo, s71
	s_delay_alu instid0(SALU_CYCLE_1)
	s_and_b32 s71, s72, exec_lo
.LBB34_71:                              ;   in Loop: Header=BB34_4 Depth=1
	s_or_b32 exec_lo, exec_lo, s70
	s_delay_alu instid0(SALU_CYCLE_1)
	s_and_b32 s70, s71, exec_lo
.LBB34_72:                              ;   in Loop: Header=BB34_4 Depth=1
	s_or_b32 exec_lo, exec_lo, s69
	s_delay_alu instid0(SALU_CYCLE_1)
	s_and_b32 s69, s70, exec_lo
.LBB34_73:                              ;   in Loop: Header=BB34_4 Depth=1
	s_or_b32 exec_lo, exec_lo, s68
	s_delay_alu instid0(SALU_CYCLE_1)
	s_and_b32 s68, s69, exec_lo
.LBB34_74:                              ;   in Loop: Header=BB34_4 Depth=1
	s_or_b32 exec_lo, exec_lo, s67
	s_delay_alu instid0(SALU_CYCLE_1)
	s_and_b32 s67, s68, exec_lo
.LBB34_75:                              ;   in Loop: Header=BB34_4 Depth=1
	s_or_b32 exec_lo, exec_lo, s66
	s_delay_alu instid0(SALU_CYCLE_1)
	s_and_b32 s66, s67, exec_lo
.LBB34_76:                              ;   in Loop: Header=BB34_4 Depth=1
	s_or_b32 exec_lo, exec_lo, s65
	s_delay_alu instid0(SALU_CYCLE_1)
	s_and_b32 s65, s66, exec_lo
.LBB34_77:                              ;   in Loop: Header=BB34_4 Depth=1
	s_or_b32 exec_lo, exec_lo, s64
	s_delay_alu instid0(SALU_CYCLE_1)
	s_and_b32 s64, s65, exec_lo
.LBB34_78:                              ;   in Loop: Header=BB34_4 Depth=1
	s_or_b32 exec_lo, exec_lo, s63
	s_delay_alu instid0(SALU_CYCLE_1)
	s_and_b32 s63, s64, exec_lo
.LBB34_79:                              ;   in Loop: Header=BB34_4 Depth=1
	s_or_b32 exec_lo, exec_lo, s62
	s_delay_alu instid0(SALU_CYCLE_1)
	s_and_b32 s62, s63, exec_lo
.LBB34_80:                              ;   in Loop: Header=BB34_4 Depth=1
	s_or_b32 exec_lo, exec_lo, s61
	s_delay_alu instid0(SALU_CYCLE_1)
	s_and_b32 s61, s62, exec_lo
.LBB34_81:                              ;   in Loop: Header=BB34_4 Depth=1
	s_or_b32 exec_lo, exec_lo, s60
	s_delay_alu instid0(SALU_CYCLE_1)
	s_and_b32 s60, s61, exec_lo
.LBB34_82:                              ;   in Loop: Header=BB34_4 Depth=1
	s_or_b32 exec_lo, exec_lo, s59
	s_delay_alu instid0(SALU_CYCLE_1)
	s_and_b32 s59, s60, exec_lo
.LBB34_83:                              ;   in Loop: Header=BB34_4 Depth=1
	s_or_b32 exec_lo, exec_lo, s58
	s_delay_alu instid0(SALU_CYCLE_1)
	s_and_b32 s58, s59, exec_lo
.LBB34_84:                              ;   in Loop: Header=BB34_4 Depth=1
	s_or_b32 exec_lo, exec_lo, s57
	s_delay_alu instid0(SALU_CYCLE_1)
	s_and_b32 s57, s58, exec_lo
.LBB34_85:                              ;   in Loop: Header=BB34_4 Depth=1
	s_or_b32 exec_lo, exec_lo, s56
	s_delay_alu instid0(SALU_CYCLE_1)
	s_and_b32 s56, s57, exec_lo
.LBB34_86:                              ;   in Loop: Header=BB34_4 Depth=1
	s_or_b32 exec_lo, exec_lo, s55
	s_delay_alu instid0(SALU_CYCLE_1)
	s_and_b32 s55, s56, exec_lo
.LBB34_87:                              ;   in Loop: Header=BB34_4 Depth=1
	s_or_b32 exec_lo, exec_lo, s54
	s_delay_alu instid0(SALU_CYCLE_1)
	s_and_b32 s54, s55, exec_lo
.LBB34_88:                              ;   in Loop: Header=BB34_4 Depth=1
	s_or_b32 exec_lo, exec_lo, s53
	s_delay_alu instid0(SALU_CYCLE_1)
	s_and_b32 s53, s54, exec_lo
.LBB34_89:                              ;   in Loop: Header=BB34_4 Depth=1
	s_or_b32 exec_lo, exec_lo, s52
	s_delay_alu instid0(SALU_CYCLE_1)
	s_and_b32 s52, s53, exec_lo
.LBB34_90:                              ;   in Loop: Header=BB34_4 Depth=1
	s_or_b32 exec_lo, exec_lo, s51
	s_delay_alu instid0(SALU_CYCLE_1)
	s_and_b32 s51, s52, exec_lo
.LBB34_91:                              ;   in Loop: Header=BB34_4 Depth=1
	s_or_b32 exec_lo, exec_lo, s50
	s_delay_alu instid0(SALU_CYCLE_1)
	s_and_b32 s50, s51, exec_lo
.LBB34_92:                              ;   in Loop: Header=BB34_4 Depth=1
	s_or_b32 exec_lo, exec_lo, s49
	s_delay_alu instid0(SALU_CYCLE_1)
	s_and_b32 s49, s50, exec_lo
.LBB34_93:                              ;   in Loop: Header=BB34_4 Depth=1
	s_or_b32 exec_lo, exec_lo, s48
	s_delay_alu instid0(SALU_CYCLE_1)
	s_and_b32 s48, s49, exec_lo
.LBB34_94:                              ;   in Loop: Header=BB34_4 Depth=1
	s_or_b32 exec_lo, exec_lo, s47
	s_delay_alu instid0(SALU_CYCLE_1)
	s_and_b32 s47, s48, exec_lo
.LBB34_95:                              ;   in Loop: Header=BB34_4 Depth=1
	s_or_b32 exec_lo, exec_lo, s46
	s_delay_alu instid0(SALU_CYCLE_1)
	s_and_b32 s46, s47, exec_lo
.LBB34_96:                              ;   in Loop: Header=BB34_4 Depth=1
	s_or_b32 exec_lo, exec_lo, s45
	s_delay_alu instid0(SALU_CYCLE_1)
	s_and_b32 s45, s46, exec_lo
.LBB34_97:                              ;   in Loop: Header=BB34_4 Depth=1
	s_or_b32 exec_lo, exec_lo, s44
	s_delay_alu instid0(SALU_CYCLE_1)
	s_and_b32 s44, s45, exec_lo
.LBB34_98:                              ;   in Loop: Header=BB34_4 Depth=1
	s_or_b32 exec_lo, exec_lo, s43
	s_delay_alu instid0(SALU_CYCLE_1)
	s_and_b32 s43, s44, exec_lo
.LBB34_99:                              ;   in Loop: Header=BB34_4 Depth=1
	s_or_b32 exec_lo, exec_lo, s42
	s_delay_alu instid0(SALU_CYCLE_1)
	s_and_b32 s42, s43, exec_lo
.LBB34_100:                             ;   in Loop: Header=BB34_4 Depth=1
	s_or_b32 exec_lo, exec_lo, s41
	s_delay_alu instid0(SALU_CYCLE_1)
	s_and_b32 s41, s42, exec_lo
.LBB34_101:                             ;   in Loop: Header=BB34_4 Depth=1
	s_or_b32 exec_lo, exec_lo, s40
	s_delay_alu instid0(SALU_CYCLE_1)
	s_and_b32 s40, s41, exec_lo
.LBB34_102:                             ;   in Loop: Header=BB34_4 Depth=1
	s_or_b32 exec_lo, exec_lo, s39
	s_delay_alu instid0(SALU_CYCLE_1)
	s_and_b32 s39, s40, exec_lo
.LBB34_103:                             ;   in Loop: Header=BB34_4 Depth=1
	s_or_b32 exec_lo, exec_lo, s38
	s_delay_alu instid0(SALU_CYCLE_1)
	s_and_b32 s38, s39, exec_lo
.LBB34_104:                             ;   in Loop: Header=BB34_4 Depth=1
	s_or_b32 exec_lo, exec_lo, s37
	s_delay_alu instid0(SALU_CYCLE_1)
	s_and_b32 s37, s38, exec_lo
.LBB34_105:                             ;   in Loop: Header=BB34_4 Depth=1
	s_or_b32 exec_lo, exec_lo, s36
	s_delay_alu instid0(SALU_CYCLE_1)
	s_and_b32 s36, s37, exec_lo
.LBB34_106:                             ;   in Loop: Header=BB34_4 Depth=1
	s_or_b32 exec_lo, exec_lo, s35
	s_delay_alu instid0(SALU_CYCLE_1)
	s_and_b32 s35, s36, exec_lo
.LBB34_107:                             ;   in Loop: Header=BB34_4 Depth=1
	s_or_b32 exec_lo, exec_lo, s34
	s_delay_alu instid0(SALU_CYCLE_1)
	s_and_b32 s34, s35, exec_lo
.LBB34_108:                             ;   in Loop: Header=BB34_4 Depth=1
	s_or_b32 exec_lo, exec_lo, s33
	s_delay_alu instid0(SALU_CYCLE_1)
	s_and_b32 s33, s34, exec_lo
.LBB34_109:                             ;   in Loop: Header=BB34_4 Depth=1
	s_or_b32 exec_lo, exec_lo, s31
	s_delay_alu instid0(SALU_CYCLE_1)
	s_and_b32 s31, s33, exec_lo
.LBB34_110:                             ;   in Loop: Header=BB34_4 Depth=1
	s_or_b32 exec_lo, exec_lo, s30
	s_delay_alu instid0(SALU_CYCLE_1)
	s_and_b32 s30, s31, exec_lo
.LBB34_111:                             ;   in Loop: Header=BB34_4 Depth=1
	s_or_b32 exec_lo, exec_lo, s29
	s_delay_alu instid0(SALU_CYCLE_1)
	s_and_b32 s29, s30, exec_lo
.LBB34_112:                             ;   in Loop: Header=BB34_4 Depth=1
	s_or_b32 exec_lo, exec_lo, s28
	s_delay_alu instid0(SALU_CYCLE_1)
	s_and_b32 s28, s29, exec_lo
.LBB34_113:                             ;   in Loop: Header=BB34_4 Depth=1
	s_or_b32 exec_lo, exec_lo, s27
	s_delay_alu instid0(SALU_CYCLE_1)
	s_and_b32 s27, s28, exec_lo
.LBB34_114:                             ;   in Loop: Header=BB34_4 Depth=1
	s_or_b32 exec_lo, exec_lo, s26
	s_delay_alu instid0(SALU_CYCLE_1)
	s_and_b32 s26, s27, exec_lo
.LBB34_115:                             ;   in Loop: Header=BB34_4 Depth=1
	s_or_b32 exec_lo, exec_lo, s25
	s_delay_alu instid0(SALU_CYCLE_1)
	s_and_b32 s25, s26, exec_lo
.LBB34_116:                             ;   in Loop: Header=BB34_4 Depth=1
	s_or_b32 exec_lo, exec_lo, s24
	s_delay_alu instid0(SALU_CYCLE_1)
	s_and_b32 s24, s25, exec_lo
.LBB34_117:                             ;   in Loop: Header=BB34_4 Depth=1
	s_or_b32 exec_lo, exec_lo, s23
	s_delay_alu instid0(SALU_CYCLE_1)
	s_and_b32 s23, s24, exec_lo
.LBB34_118:                             ;   in Loop: Header=BB34_4 Depth=1
	s_or_b32 exec_lo, exec_lo, s22
	s_delay_alu instid0(SALU_CYCLE_1)
	s_and_b32 s22, s23, exec_lo
.LBB34_119:                             ;   in Loop: Header=BB34_4 Depth=1
	s_or_b32 exec_lo, exec_lo, s21
	s_delay_alu instid0(SALU_CYCLE_1)
	s_and_b32 s21, s22, exec_lo
.LBB34_120:                             ;   in Loop: Header=BB34_4 Depth=1
	s_or_b32 exec_lo, exec_lo, s20
	s_delay_alu instid0(SALU_CYCLE_1)
	s_and_b32 s20, s21, exec_lo
.LBB34_121:                             ;   in Loop: Header=BB34_4 Depth=1
	s_or_b32 exec_lo, exec_lo, s19
	s_delay_alu instid0(SALU_CYCLE_1)
	s_and_b32 s19, s20, exec_lo
.LBB34_122:                             ;   in Loop: Header=BB34_4 Depth=1
	s_or_b32 exec_lo, exec_lo, s18
	s_delay_alu instid0(SALU_CYCLE_1)
	s_and_b32 s18, s19, exec_lo
.LBB34_123:                             ;   in Loop: Header=BB34_4 Depth=1
	s_or_b32 exec_lo, exec_lo, s17
	s_delay_alu instid0(SALU_CYCLE_1)
	s_and_b32 s17, s18, exec_lo
.LBB34_124:                             ;   in Loop: Header=BB34_4 Depth=1
	s_or_b32 exec_lo, exec_lo, s16
	s_delay_alu instid0(SALU_CYCLE_1)
	s_and_b32 s16, s17, exec_lo
.LBB34_125:                             ;   in Loop: Header=BB34_4 Depth=1
	s_or_b32 exec_lo, exec_lo, s13
	s_delay_alu instid0(SALU_CYCLE_1)
	s_and_b32 s13, s16, exec_lo
.LBB34_126:                             ;   in Loop: Header=BB34_4 Depth=1
	s_or_b32 exec_lo, exec_lo, s12
	s_delay_alu instid0(SALU_CYCLE_1)
	s_and_b32 s12, s13, exec_lo
.LBB34_127:                             ;   in Loop: Header=BB34_4 Depth=1
	s_or_b32 exec_lo, exec_lo, s11
	s_delay_alu instid0(SALU_CYCLE_1)
	s_and_b32 s11, s12, exec_lo
.LBB34_128:                             ;   in Loop: Header=BB34_4 Depth=1
	s_or_b32 exec_lo, exec_lo, s10
	s_delay_alu instid0(SALU_CYCLE_1)
	s_and_b32 s10, s11, exec_lo
.LBB34_129:                             ;   in Loop: Header=BB34_4 Depth=1
	s_or_b32 exec_lo, exec_lo, s8
	v_cndmask_b32_e64 v1, 0, 1, s10
	;;#ASMSTART
	;;#ASMEND
	s_delay_alu instid0(VALU_DEP_1)
	v_cmp_ne_u32_e32 vcc_lo, 0, v1
	s_mov_b32 s8, exec_lo
	s_and_saveexec_b32 s10, s0
	s_cbranch_execz .LBB34_3
; %bb.130:                              ;   in Loop: Header=BB34_4 Depth=1
	s_cmp_eq_u32 vcc_lo, s8
	s_cselect_b32 s8, -1, 0
	s_delay_alu instid0(SALU_CYCLE_1)
	v_cndmask_b32_e64 v1, 0, 1, s8
	ds_store_b32 v5, v1
	s_branch .LBB34_3
.LBB34_131:                             ;   in Loop: Header=BB34_4 Depth=1
                                        ; implicit-def: $sgpr5
	s_cbranch_execz .LBB34_4
.LBB34_132:
	s_mov_b32 s0, exec_lo
	v_cmpx_eq_u32_e32 0, v0
	s_cbranch_execz .LBB34_134
; %bb.133:
	s_mul_i32 s0, s1, s15
	v_dual_mov_b32 v0, 0 :: v_dual_mov_b32 v1, s2
	s_add_i32 s0, s0, s14
	s_delay_alu instid0(SALU_CYCLE_1) | instskip(NEXT) | instid1(SALU_CYCLE_1)
	s_ashr_i32 s1, s0, 31
	s_lshl_b64 s[0:1], s[0:1], 2
	s_delay_alu instid0(SALU_CYCLE_1)
	s_add_u32 s0, s6, s0
	s_addc_u32 s1, s7, s1
	global_store_b32 v0, v1, s[0:1]
.LBB34_134:
	s_nop 0
	s_sendmsg sendmsg(MSG_DEALLOC_VGPRS)
	s_endpgm
	.section	.rodata,"a",@progbits
	.p2align	6, 0x0
	.amdhsa_kernel _ZL25flash_attn_mask_to_KV_maxILi32EEvPK7__half2Piiii
		.amdhsa_group_segment_fixed_size 128
		.amdhsa_private_segment_fixed_size 0
		.amdhsa_kernarg_size 288
		.amdhsa_user_sgpr_count 14
		.amdhsa_user_sgpr_dispatch_ptr 0
		.amdhsa_user_sgpr_queue_ptr 0
		.amdhsa_user_sgpr_kernarg_segment_ptr 1
		.amdhsa_user_sgpr_dispatch_id 0
		.amdhsa_user_sgpr_private_segment_size 0
		.amdhsa_wavefront_size32 1
		.amdhsa_uses_dynamic_stack 0
		.amdhsa_enable_private_segment 0
		.amdhsa_system_sgpr_workgroup_id_x 1
		.amdhsa_system_sgpr_workgroup_id_y 1
		.amdhsa_system_sgpr_workgroup_id_z 0
		.amdhsa_system_sgpr_workgroup_info 0
		.amdhsa_system_vgpr_workitem_id 0
		.amdhsa_next_free_vgpr 9
		.amdhsa_next_free_sgpr 76
		.amdhsa_reserve_vcc 1
		.amdhsa_float_round_mode_32 0
		.amdhsa_float_round_mode_16_64 0
		.amdhsa_float_denorm_mode_32 3
		.amdhsa_float_denorm_mode_16_64 3
		.amdhsa_dx10_clamp 1
		.amdhsa_ieee_mode 1
		.amdhsa_fp16_overflow 0
		.amdhsa_workgroup_processor_mode 1
		.amdhsa_memory_ordered 1
		.amdhsa_forward_progress 0
		.amdhsa_shared_vgpr_count 0
		.amdhsa_exception_fp_ieee_invalid_op 0
		.amdhsa_exception_fp_denorm_src 0
		.amdhsa_exception_fp_ieee_div_zero 0
		.amdhsa_exception_fp_ieee_overflow 0
		.amdhsa_exception_fp_ieee_underflow 0
		.amdhsa_exception_fp_ieee_inexact 0
		.amdhsa_exception_int_div_zero 0
	.end_amdhsa_kernel
	.section	.text._ZL25flash_attn_mask_to_KV_maxILi32EEvPK7__half2Piiii,"axG",@progbits,_ZL25flash_attn_mask_to_KV_maxILi32EEvPK7__half2Piiii,comdat
.Lfunc_end34:
	.size	_ZL25flash_attn_mask_to_KV_maxILi32EEvPK7__half2Piiii, .Lfunc_end34-_ZL25flash_attn_mask_to_KV_maxILi32EEvPK7__half2Piiii
                                        ; -- End function
	.section	.AMDGPU.csdata,"",@progbits
; Kernel info:
; codeLenInByte = 4544
; NumSgprs: 78
; NumVgprs: 9
; ScratchSize: 0
; MemoryBound: 0
; FloatMode: 240
; IeeeMode: 1
; LDSByteSize: 128 bytes/workgroup (compile time only)
; SGPRBlocks: 9
; VGPRBlocks: 1
; NumSGPRsForWavesPerEU: 78
; NumVGPRsForWavesPerEU: 9
; Occupancy: 16
; WaveLimiterHint : 0
; COMPUTE_PGM_RSRC2:SCRATCH_EN: 0
; COMPUTE_PGM_RSRC2:USER_SGPR: 14
; COMPUTE_PGM_RSRC2:TRAP_HANDLER: 0
; COMPUTE_PGM_RSRC2:TGID_X_EN: 1
; COMPUTE_PGM_RSRC2:TGID_Y_EN: 1
; COMPUTE_PGM_RSRC2:TGID_Z_EN: 0
; COMPUTE_PGM_RSRC2:TIDIG_COMP_CNT: 0
	.section	.text._ZL33flash_attn_stream_k_fixup_uniformILi80ELi32ELi2EEvPfPK15HIP_vector_typeIfLj2EEiiiiiiS1_IjLj3EES5_S5_,"axG",@progbits,_ZL33flash_attn_stream_k_fixup_uniformILi80ELi32ELi2EEvPfPK15HIP_vector_typeIfLj2EEiiiiiiS1_IjLj3EES5_S5_,comdat
	.globl	_ZL33flash_attn_stream_k_fixup_uniformILi80ELi32ELi2EEvPfPK15HIP_vector_typeIfLj2EEiiiiiiS1_IjLj3EES5_S5_ ; -- Begin function _ZL33flash_attn_stream_k_fixup_uniformILi80ELi32ELi2EEvPfPK15HIP_vector_typeIfLj2EEiiiiiiS1_IjLj3EES5_S5_
	.p2align	8
	.type	_ZL33flash_attn_stream_k_fixup_uniformILi80ELi32ELi2EEvPfPK15HIP_vector_typeIfLj2EEiiiiiiS1_IjLj3EES5_S5_,@function
_ZL33flash_attn_stream_k_fixup_uniformILi80ELi32ELi2EEvPfPK15HIP_vector_typeIfLj2EEiiiiiiS1_IjLj3EES5_S5_: ; @_ZL33flash_attn_stream_k_fixup_uniformILi80ELi32ELi2EEvPfPK15HIP_vector_typeIfLj2EEiiiiiiS1_IjLj3EES5_S5_
; %bb.0:
	s_clause 0x1
	s_load_b256 s[4:11], s[0:1], 0x1c
	s_load_b128 s[16:19], s[0:1], 0x3c
	s_waitcnt lgkmcnt(0)
	s_mul_hi_u32 s2, s7, s13
	s_delay_alu instid0(SALU_CYCLE_1) | instskip(NEXT) | instid1(SALU_CYCLE_1)
	s_add_i32 s2, s13, s2
	s_lshr_b32 s2, s2, s8
	s_delay_alu instid0(SALU_CYCLE_1) | instskip(SKIP_2) | instid1(SALU_CYCLE_1)
	s_mul_i32 s3, s2, s9
	s_load_b64 s[8:9], s[0:1], 0x10
	s_sub_i32 s3, s13, s3
	s_mul_hi_u32 s7, s3, s10
	s_delay_alu instid0(SALU_CYCLE_1) | instskip(NEXT) | instid1(SALU_CYCLE_1)
	s_add_i32 s7, s3, s7
	s_lshr_b32 s7, s7, s11
	s_delay_alu instid0(SALU_CYCLE_1) | instskip(NEXT) | instid1(SALU_CYCLE_1)
	s_mul_i32 s10, s7, s16
	s_sub_i32 s3, s3, s10
	s_delay_alu instid0(SALU_CYCLE_1) | instskip(NEXT) | instid1(SALU_CYCLE_1)
	s_mul_hi_u32 s10, s3, s17
	s_add_i32 s10, s3, s10
	s_delay_alu instid0(SALU_CYCLE_1) | instskip(NEXT) | instid1(SALU_CYCLE_1)
	s_lshr_b32 s11, s10, s18
	s_mul_i32 s10, s11, s19
	s_lshl_b32 s11, s11, 1
	s_sub_i32 s10, s3, s10
	s_delay_alu instid0(SALU_CYCLE_1) | instskip(NEXT) | instid1(SALU_CYCLE_1)
	s_lshl_b32 s3, s10, 5
	s_add_i32 s3, s3, s14
	s_waitcnt lgkmcnt(0)
	s_cmp_lt_i32 s3, s8
	s_cselect_b32 s3, -1, 0
	s_add_i32 s11, s11, s15
	s_delay_alu instid0(SALU_CYCLE_1) | instskip(SKIP_1) | instid1(SALU_CYCLE_1)
	s_cmp_lt_i32 s11, s5
	s_cselect_b32 s12, -1, 0
	s_and_b32 s3, s3, s12
	s_delay_alu instid0(SALU_CYCLE_1)
	s_and_not1_b32 vcc_lo, exec_lo, s3
	s_cbranch_vccnz .LBB35_6
; %bb.1:
	s_mul_i32 s8, s2, s8
	s_mul_i32 s7, s7, s5
	s_add_i32 s8, s8, s14
	s_add_i32 s5, s11, s7
	s_mul_i32 s8, s8, s9
	s_load_b128 s[0:3], s[0:1], 0x0
	s_mul_i32 s7, s9, s10
	s_add_i32 s5, s5, s8
	s_mulk_i32 s7, 0xa00
	s_mulk_i32 s5, 0x50
	s_lshl_b32 s9, s14, 1
	v_add3_u32 v1, s5, s7, v0
	s_mul_i32 s5, s13, s6
	s_delay_alu instid0(SALU_CYCLE_1) | instskip(NEXT) | instid1(VALU_DEP_1)
	s_add_i32 s10, s5, s6
	v_ashrrev_i32_e32 v2, 31, v1
	s_delay_alu instid0(VALU_DEP_1) | instskip(SKIP_1) | instid1(VALU_DEP_1)
	v_lshlrev_b64 v[1:2], 2, v[1:2]
	s_waitcnt lgkmcnt(0)
	v_add_co_u32 v1, vcc_lo, s0, v1
	s_delay_alu instid0(VALU_DEP_2) | instskip(SKIP_4) | instid1(SALU_CYCLE_1)
	v_add_co_ci_u32_e32 v2, vcc_lo, s1, v2, vcc_lo
	s_add_i32 s0, s9, s15
	s_lshl_b32 s1, s10, 6
	global_load_b32 v5, v[1:2], off
	s_add_i32 s0, s0, s1
	s_sub_i32 s0, s0, 64
	s_delay_alu instid0(SALU_CYCLE_1) | instskip(NEXT) | instid1(SALU_CYCLE_1)
	s_ashr_i32 s1, s0, 31
	s_lshl_b64 s[0:1], s[0:1], 3
	s_delay_alu instid0(SALU_CYCLE_1)
	s_add_u32 s0, s2, s0
	s_addc_u32 s1, s3, s1
	s_add_i32 s7, s10, -2
	s_load_b32 s11, s[0:1], 0x4
	s_cmp_lt_i32 s7, s5
	s_cbranch_scc1 .LBB35_4
; %bb.2:
	s_load_b32 s12, s[0:1], 0x0
	s_lshl_b32 s16, s4, 8
	s_mulk_i32 s14, 0xa0
	s_ashr_i32 s17, s16, 31
	s_waitcnt lgkmcnt(0)
	v_mov_b32_e32 v6, s11
	s_lshl_b64 s[0:1], s[16:17], 2
	s_delay_alu instid0(SALU_CYCLE_1)
	s_add_u32 s7, s2, s0
	s_addc_u32 s8, s3, s1
	s_add_i32 s13, s13, 1
	s_lshl_b32 s4, s4, 6
	s_mul_i32 s0, s6, s13
	s_mul_i32 s6, s15, 0x50
	s_lshl_b32 s1, s0, 6
	s_mulk_i32 s0, 0x1400
	s_add_i32 s6, s6, s14
	s_add_i32 s1, s15, s1
	s_add_i32 s6, s6, s0
	s_add_i32 s0, s1, s4
	v_add3_u32 v3, s6, v0, 0xffffd800
	v_mov_b32_e32 v0, s12
	s_add_i32 s0, s0, s9
	s_add_i32 s4, s10, -1
	s_addk_i32 s0, 0xff80
.LBB35_3:                               ; =>This Inner Loop Header: Depth=1
	s_delay_alu instid0(VALU_DEP_2) | instskip(SKIP_1) | instid1(SALU_CYCLE_1)
	v_ashrrev_i32_e32 v4, 31, v3
	s_ashr_i32 s1, s0, 31
	s_lshl_b64 s[10:11], s[0:1], 3
	s_delay_alu instid0(SALU_CYCLE_1) | instskip(NEXT) | instid1(VALU_DEP_1)
	s_add_u32 s10, s2, s10
	v_lshlrev_b64 v[7:8], 2, v[3:4]
	s_addc_u32 s11, s3, s11
	s_add_i32 s4, s4, -1
	s_sub_i32 s0, s0, 64
	s_cmp_le_i32 s4, s5
	s_load_b64 s[10:11], s[10:11], 0x0
	v_add_co_u32 v7, vcc_lo, s7, v7
	v_add_co_ci_u32_e32 v8, vcc_lo, s8, v8, vcc_lo
	global_load_b32 v4, v[7:8], off
	v_max_f32_e32 v7, v0, v0
	s_waitcnt lgkmcnt(0)
	v_max_f32_e64 v8, s10, s10
	s_delay_alu instid0(VALU_DEP_1) | instskip(NEXT) | instid1(VALU_DEP_1)
	v_max_f32_e32 v7, v7, v8
	v_sub_f32_e32 v8, s10, v7
	s_delay_alu instid0(VALU_DEP_1) | instskip(NEXT) | instid1(VALU_DEP_1)
	v_dual_sub_f32 v0, v0, v7 :: v_dual_mul_f32 v9, 0x3fb8aa3b, v8
	v_fma_f32 v10, 0x3fb8aa3b, v8, -v9
	v_rndne_f32_e32 v11, v9
	s_delay_alu instid0(VALU_DEP_3) | instskip(NEXT) | instid1(VALU_DEP_2)
	v_mul_f32_e32 v12, 0x3fb8aa3b, v0
	v_dual_fmac_f32 v10, 0x32a5705f, v8 :: v_dual_sub_f32 v9, v9, v11
	v_cvt_i32_f32_e32 v11, v11
	s_delay_alu instid0(VALU_DEP_3) | instskip(SKIP_1) | instid1(VALU_DEP_4)
	v_fma_f32 v13, 0x3fb8aa3b, v0, -v12
	v_rndne_f32_e32 v14, v12
	v_add_f32_e32 v9, v9, v10
	v_cmp_ngt_f32_e32 vcc_lo, 0xc2ce8ed0, v8
	s_delay_alu instid0(VALU_DEP_3) | instskip(NEXT) | instid1(VALU_DEP_3)
	v_sub_f32_e32 v10, v12, v14
	v_exp_f32_e32 v9, v9
	s_waitcnt_depctr 0xfff
	v_ldexp_f32 v9, v9, v11
	v_cvt_i32_f32_e32 v11, v14
	s_delay_alu instid0(VALU_DEP_2) | instskip(SKIP_1) | instid1(VALU_DEP_2)
	v_cndmask_b32_e32 v9, 0, v9, vcc_lo
	v_cmp_nlt_f32_e32 vcc_lo, 0x42b17218, v8
	v_cndmask_b32_e32 v9, 0x7f800000, v9, vcc_lo
	v_cmp_ngt_f32_e32 vcc_lo, 0xc2ce8ed0, v0
	v_fmac_f32_e32 v13, 0x32a5705f, v0
	s_delay_alu instid0(VALU_DEP_1) | instskip(NEXT) | instid1(VALU_DEP_1)
	v_add_f32_e32 v10, v10, v13
	v_exp_f32_e32 v10, v10
	s_waitcnt_depctr 0xfff
	v_ldexp_f32 v10, v10, v11
	s_delay_alu instid0(VALU_DEP_1)
	v_dual_mov_b32 v11, v6 :: v_dual_cndmask_b32 v10, 0, v10
	v_cmp_le_f32_e32 vcc_lo, 0xc1a00000, v8
	s_waitcnt vmcnt(1)
	v_dual_cndmask_b32 v8, 0, v9 :: v_dual_mov_b32 v9, v5
	v_cmp_nlt_f32_e32 vcc_lo, 0x42b17218, v0
	v_cndmask_b32_e32 v5, 0x7f800000, v10, vcc_lo
	s_delay_alu instid0(VALU_DEP_3) | instskip(SKIP_2) | instid1(VALU_DEP_3)
	v_mul_f32_e32 v10, s11, v8
	v_cmp_le_f32_e32 vcc_lo, 0xc1a00000, v0
	v_mov_b32_e32 v0, v7
	v_mov_b32_e32 v6, v10
	s_waitcnt vmcnt(0)
	v_dual_cndmask_b32 v12, 0, v5 :: v_dual_mul_f32 v5, v4, v8
	s_delay_alu instid0(VALU_DEP_1) | instskip(NEXT) | instid1(VALU_DEP_2)
	v_dual_fmac_f32 v6, v11, v12 :: v_dual_add_nc_u32 v3, 0xffffec00, v3
	v_fmac_f32_e32 v5, v9, v12
	s_cbranch_scc0 .LBB35_3
	s_branch .LBB35_5
.LBB35_4:
	s_waitcnt lgkmcnt(0)
	v_mov_b32_e32 v6, s11
.LBB35_5:
	s_waitcnt vmcnt(0)
	s_delay_alu instid0(VALU_DEP_1) | instskip(NEXT) | instid1(VALU_DEP_1)
	v_div_scale_f32 v0, null, v6, v6, v5
	v_rcp_f32_e32 v3, v0
	s_waitcnt_depctr 0xfff
	v_fma_f32 v4, -v0, v3, 1.0
	s_delay_alu instid0(VALU_DEP_1) | instskip(SKIP_1) | instid1(VALU_DEP_1)
	v_fmac_f32_e32 v3, v4, v3
	v_div_scale_f32 v4, vcc_lo, v5, v6, v5
	v_mul_f32_e32 v7, v4, v3
	s_delay_alu instid0(VALU_DEP_1) | instskip(NEXT) | instid1(VALU_DEP_1)
	v_fma_f32 v8, -v0, v7, v4
	v_fmac_f32_e32 v7, v8, v3
	s_delay_alu instid0(VALU_DEP_1) | instskip(NEXT) | instid1(VALU_DEP_1)
	v_fma_f32 v0, -v0, v7, v4
	v_div_fmas_f32 v0, v0, v3, v7
	s_delay_alu instid0(VALU_DEP_1)
	v_div_fixup_f32 v0, v0, v6, v5
	global_store_b32 v[1:2], v0, off
.LBB35_6:
	s_nop 0
	s_sendmsg sendmsg(MSG_DEALLOC_VGPRS)
	s_endpgm
	.section	.rodata,"a",@progbits
	.p2align	6, 0x0
	.amdhsa_kernel _ZL33flash_attn_stream_k_fixup_uniformILi80ELi32ELi2EEvPfPK15HIP_vector_typeIfLj2EEiiiiiiS1_IjLj3EES5_S5_
		.amdhsa_group_segment_fixed_size 0
		.amdhsa_private_segment_fixed_size 0
		.amdhsa_kernarg_size 76
		.amdhsa_user_sgpr_count 13
		.amdhsa_user_sgpr_dispatch_ptr 0
		.amdhsa_user_sgpr_queue_ptr 0
		.amdhsa_user_sgpr_kernarg_segment_ptr 1
		.amdhsa_user_sgpr_dispatch_id 0
		.amdhsa_user_sgpr_private_segment_size 0
		.amdhsa_wavefront_size32 1
		.amdhsa_uses_dynamic_stack 0
		.amdhsa_enable_private_segment 0
		.amdhsa_system_sgpr_workgroup_id_x 1
		.amdhsa_system_sgpr_workgroup_id_y 1
		.amdhsa_system_sgpr_workgroup_id_z 1
		.amdhsa_system_sgpr_workgroup_info 0
		.amdhsa_system_vgpr_workitem_id 0
		.amdhsa_next_free_vgpr 15
		.amdhsa_next_free_sgpr 20
		.amdhsa_reserve_vcc 1
		.amdhsa_float_round_mode_32 0
		.amdhsa_float_round_mode_16_64 0
		.amdhsa_float_denorm_mode_32 3
		.amdhsa_float_denorm_mode_16_64 3
		.amdhsa_dx10_clamp 1
		.amdhsa_ieee_mode 1
		.amdhsa_fp16_overflow 0
		.amdhsa_workgroup_processor_mode 1
		.amdhsa_memory_ordered 1
		.amdhsa_forward_progress 0
		.amdhsa_shared_vgpr_count 0
		.amdhsa_exception_fp_ieee_invalid_op 0
		.amdhsa_exception_fp_denorm_src 0
		.amdhsa_exception_fp_ieee_div_zero 0
		.amdhsa_exception_fp_ieee_overflow 0
		.amdhsa_exception_fp_ieee_underflow 0
		.amdhsa_exception_fp_ieee_inexact 0
		.amdhsa_exception_int_div_zero 0
	.end_amdhsa_kernel
	.section	.text._ZL33flash_attn_stream_k_fixup_uniformILi80ELi32ELi2EEvPfPK15HIP_vector_typeIfLj2EEiiiiiiS1_IjLj3EES5_S5_,"axG",@progbits,_ZL33flash_attn_stream_k_fixup_uniformILi80ELi32ELi2EEvPfPK15HIP_vector_typeIfLj2EEiiiiiiS1_IjLj3EES5_S5_,comdat
.Lfunc_end35:
	.size	_ZL33flash_attn_stream_k_fixup_uniformILi80ELi32ELi2EEvPfPK15HIP_vector_typeIfLj2EEiiiiiiS1_IjLj3EES5_S5_, .Lfunc_end35-_ZL33flash_attn_stream_k_fixup_uniformILi80ELi32ELi2EEvPfPK15HIP_vector_typeIfLj2EEiiiiiiS1_IjLj3EES5_S5_
                                        ; -- End function
	.section	.AMDGPU.csdata,"",@progbits
; Kernel info:
; codeLenInByte = 992
; NumSgprs: 22
; NumVgprs: 15
; ScratchSize: 0
; MemoryBound: 0
; FloatMode: 240
; IeeeMode: 1
; LDSByteSize: 0 bytes/workgroup (compile time only)
; SGPRBlocks: 2
; VGPRBlocks: 1
; NumSGPRsForWavesPerEU: 22
; NumVGPRsForWavesPerEU: 15
; Occupancy: 16
; WaveLimiterHint : 0
; COMPUTE_PGM_RSRC2:SCRATCH_EN: 0
; COMPUTE_PGM_RSRC2:USER_SGPR: 13
; COMPUTE_PGM_RSRC2:TRAP_HANDLER: 0
; COMPUTE_PGM_RSRC2:TGID_X_EN: 1
; COMPUTE_PGM_RSRC2:TGID_Y_EN: 1
; COMPUTE_PGM_RSRC2:TGID_Z_EN: 1
; COMPUTE_PGM_RSRC2:TIDIG_COMP_CNT: 0
	.section	.text._ZL33flash_attn_stream_k_fixup_generalILi80ELi32ELi2EEvPfPK15HIP_vector_typeIfLj2EEiiiiS1_IjLj3EES5_S5_S5_,"axG",@progbits,_ZL33flash_attn_stream_k_fixup_generalILi80ELi32ELi2EEvPfPK15HIP_vector_typeIfLj2EEiiiiS1_IjLj3EES5_S5_S5_,comdat
	.globl	_ZL33flash_attn_stream_k_fixup_generalILi80ELi32ELi2EEvPfPK15HIP_vector_typeIfLj2EEiiiiS1_IjLj3EES5_S5_S5_ ; -- Begin function _ZL33flash_attn_stream_k_fixup_generalILi80ELi32ELi2EEvPfPK15HIP_vector_typeIfLj2EEiiiiS1_IjLj3EES5_S5_S5_
	.p2align	8
	.type	_ZL33flash_attn_stream_k_fixup_generalILi80ELi32ELi2EEvPfPK15HIP_vector_typeIfLj2EEiiiiS1_IjLj3EES5_S5_S5_,@function
_ZL33flash_attn_stream_k_fixup_generalILi80ELi32ELi2EEvPfPK15HIP_vector_typeIfLj2EEiiiiS1_IjLj3EES5_S5_S5_: ; @_ZL33flash_attn_stream_k_fixup_generalILi80ELi32ELi2EEvPfPK15HIP_vector_typeIfLj2EEiiiiS1_IjLj3EES5_S5_S5_
; %bb.0:
	s_clause 0x1
	s_load_b128 s[4:7], s[0:1], 0x10
	s_load_b32 s20, s[0:1], 0x50
	s_mov_b32 s2, 0
	s_waitcnt lgkmcnt(0)
	s_mul_hi_i32 s3, s7, s13
	s_mul_i32 s12, s7, s13
	s_cmp_lg_u64 s[2:3], 0
	s_cbranch_scc0 .LBB36_21
; %bb.1:
	v_cvt_f32_ubyte0_e32 v1, 0
	v_cvt_f32_u32_e32 v2, s20
	s_sub_u32 s10, 0, s20
	s_subb_u32 s11, 0, 0
	s_delay_alu instid0(VALU_DEP_1) | instskip(NEXT) | instid1(VALU_DEP_1)
	v_fmamk_f32 v1, v1, 0x4f800000, v2
	v_rcp_f32_e32 v1, v1
	s_waitcnt_depctr 0xfff
	v_mul_f32_e32 v1, 0x5f7ffffc, v1
	s_delay_alu instid0(VALU_DEP_1) | instskip(NEXT) | instid1(VALU_DEP_1)
	v_mul_f32_e32 v2, 0x2f800000, v1
	v_trunc_f32_e32 v2, v2
	s_delay_alu instid0(VALU_DEP_1) | instskip(SKIP_1) | instid1(VALU_DEP_2)
	v_fmamk_f32 v1, v2, 0xcf800000, v1
	v_cvt_u32_f32_e32 v2, v2
	v_cvt_u32_f32_e32 v1, v1
	s_delay_alu instid0(VALU_DEP_2) | instskip(NEXT) | instid1(VALU_DEP_2)
	v_readfirstlane_b32 s8, v2
	v_readfirstlane_b32 s9, v1
	s_delay_alu instid0(VALU_DEP_2) | instskip(NEXT) | instid1(VALU_DEP_1)
	s_mul_i32 s16, s10, s8
	s_mul_hi_u32 s18, s10, s9
	s_mul_i32 s17, s11, s9
	s_add_i32 s16, s18, s16
	s_mul_i32 s19, s10, s9
	s_add_i32 s16, s16, s17
	s_mul_hi_u32 s18, s9, s19
	s_mul_hi_u32 s21, s8, s19
	s_mul_i32 s17, s8, s19
	s_mul_hi_u32 s19, s9, s16
	s_mul_i32 s9, s9, s16
	s_mul_hi_u32 s22, s8, s16
	s_add_u32 s9, s18, s9
	s_addc_u32 s18, 0, s19
	s_add_u32 s9, s9, s17
	s_mul_i32 s16, s8, s16
	s_addc_u32 s9, s18, s21
	s_addc_u32 s17, s22, 0
	s_add_u32 s9, s9, s16
	s_addc_u32 s16, 0, s17
	v_add_co_u32 v1, s9, v1, s9
	s_delay_alu instid0(VALU_DEP_1) | instskip(SKIP_1) | instid1(VALU_DEP_1)
	s_cmp_lg_u32 s9, 0
	s_addc_u32 s8, s8, s16
	v_readfirstlane_b32 s9, v1
	s_mul_i32 s16, s10, s8
	s_delay_alu instid0(VALU_DEP_1)
	s_mul_hi_u32 s17, s10, s9
	s_mul_i32 s11, s11, s9
	s_add_i32 s16, s17, s16
	s_mul_i32 s10, s10, s9
	s_add_i32 s16, s16, s11
	s_mul_hi_u32 s17, s8, s10
	s_mul_i32 s18, s8, s10
	s_mul_hi_u32 s10, s9, s10
	s_mul_hi_u32 s19, s9, s16
	s_mul_i32 s9, s9, s16
	s_mul_hi_u32 s11, s8, s16
	s_add_u32 s9, s10, s9
	s_addc_u32 s10, 0, s19
	s_add_u32 s9, s9, s18
	s_mul_i32 s16, s8, s16
	s_addc_u32 s9, s10, s17
	s_addc_u32 s10, s11, 0
	s_add_u32 s9, s9, s16
	s_addc_u32 s10, 0, s10
	v_add_co_u32 v1, s9, v1, s9
	s_delay_alu instid0(VALU_DEP_1) | instskip(SKIP_2) | instid1(SALU_CYCLE_1)
	s_cmp_lg_u32 s9, 0
	s_addc_u32 s16, s8, s10
	s_ashr_i32 s8, s3, 31
	s_add_u32 s10, s12, s8
	s_addc_u32 s11, s3, s8
	v_readfirstlane_b32 s3, v1
	s_mov_b32 s9, s8
	s_delay_alu instid0(SALU_CYCLE_1) | instskip(NEXT) | instid1(SALU_CYCLE_1)
	s_xor_b64 s[10:11], s[10:11], s[8:9]
	s_mul_i32 s18, s10, s16
	s_delay_alu instid0(VALU_DEP_1)
	s_mul_hi_u32 s19, s10, s3
	s_mul_hi_u32 s17, s10, s16
	;; [unrolled: 1-line block ×3, first 2 shown]
	s_mul_i32 s3, s11, s3
	s_add_u32 s18, s19, s18
	s_addc_u32 s17, 0, s17
	s_mul_hi_u32 s21, s11, s16
	s_add_u32 s3, s18, s3
	s_mul_i32 s16, s11, s16
	s_addc_u32 s3, s17, s22
	s_addc_u32 s17, s21, 0
	s_add_u32 s3, s3, s16
	s_addc_u32 s16, 0, s17
	s_mul_i32 s18, s20, s3
	s_add_u32 s17, s3, 1
	v_sub_co_u32 v1, s10, s10, s18
	s_mul_hi_u32 s18, s20, s3
	s_addc_u32 s19, s16, 0
	s_mul_i32 s21, s20, s16
	s_delay_alu instid0(VALU_DEP_1)
	v_sub_co_u32 v2, s22, v1, s20
	s_add_u32 s23, s3, 2
	s_addc_u32 s24, s16, 0
	s_add_i32 s18, s18, s21
	s_cmp_lg_u32 s10, 0
	v_readfirstlane_b32 s10, v2
	s_subb_u32 s11, s11, s18
	s_cmp_lg_u32 s22, 0
	s_subb_u32 s18, s11, 0
	s_delay_alu instid0(VALU_DEP_1) | instskip(SKIP_4) | instid1(SALU_CYCLE_1)
	s_cmp_ge_u32 s10, s20
	s_cselect_b32 s10, -1, 0
	s_cmp_eq_u32 s18, 0
	v_readfirstlane_b32 s18, v1
	s_cselect_b32 s10, s10, -1
	s_cmp_lg_u32 s10, 0
	s_cselect_b32 s10, s23, s17
	s_cselect_b32 s17, s24, s19
	s_cmp_ge_u32 s18, s20
	s_cselect_b32 s18, -1, 0
	s_cmp_eq_u32 s11, 0
	s_cselect_b32 s11, s18, -1
	s_delay_alu instid0(SALU_CYCLE_1) | instskip(SKIP_2) | instid1(SALU_CYCLE_1)
	s_cmp_lg_u32 s11, 0
	s_cselect_b32 s11, s17, s16
	s_cselect_b32 s10, s10, s3
	s_xor_b64 s[10:11], s[10:11], s[8:9]
	s_delay_alu instid0(SALU_CYCLE_1)
	s_sub_u32 s16, s10, s8
	s_load_b128 s[8:11], s[0:1], 0x44
	s_and_not1_b32 vcc_lo, exec_lo, s2
	s_cbranch_vccnz .LBB36_3
.LBB36_2:
	v_cvt_f32_u32_e32 v1, s20
	s_sub_i32 s3, 0, s20
	s_delay_alu instid0(VALU_DEP_1) | instskip(SKIP_2) | instid1(VALU_DEP_1)
	v_rcp_iflag_f32_e32 v1, v1
	s_waitcnt_depctr 0xfff
	v_mul_f32_e32 v1, 0x4f7ffffe, v1
	v_cvt_u32_f32_e32 v1, v1
	s_delay_alu instid0(VALU_DEP_1) | instskip(NEXT) | instid1(VALU_DEP_1)
	v_readfirstlane_b32 s2, v1
	s_mul_i32 s3, s3, s2
	s_delay_alu instid0(SALU_CYCLE_1) | instskip(NEXT) | instid1(SALU_CYCLE_1)
	s_mul_hi_u32 s3, s2, s3
	s_add_i32 s2, s2, s3
	s_delay_alu instid0(SALU_CYCLE_1) | instskip(NEXT) | instid1(SALU_CYCLE_1)
	s_mul_hi_u32 s2, s12, s2
	s_mul_i32 s3, s2, s20
	s_waitcnt lgkmcnt(0)
	s_add_i32 s11, s2, 1
	s_sub_i32 s3, s12, s3
	s_delay_alu instid0(SALU_CYCLE_1)
	s_sub_i32 s12, s3, s20
	s_cmp_ge_u32 s3, s20
	s_cselect_b32 s2, s11, s2
	s_cselect_b32 s3, s12, s3
	s_add_i32 s11, s2, 1
	s_cmp_ge_u32 s3, s20
	s_cselect_b32 s16, s11, s2
.LBB36_3:
	s_waitcnt lgkmcnt(0)
	s_add_i32 s11, s13, 1
	s_mov_b32 s2, 0
	s_mul_hi_i32 s3, s7, s11
	s_mul_i32 s11, s7, s11
	s_cmp_lg_u64 s[2:3], 0
	s_cbranch_scc0 .LBB36_22
; %bb.4:
	v_cvt_f32_ubyte0_e32 v1, 0
	v_cvt_f32_u32_e32 v2, s20
	s_sub_u32 s18, 0, s20
	s_subb_u32 s19, 0, 0
	s_delay_alu instid0(VALU_DEP_1) | instskip(NEXT) | instid1(VALU_DEP_1)
	v_fmamk_f32 v1, v1, 0x4f800000, v2
	v_rcp_f32_e32 v1, v1
	s_waitcnt_depctr 0xfff
	v_mul_f32_e32 v1, 0x5f7ffffc, v1
	s_delay_alu instid0(VALU_DEP_1) | instskip(NEXT) | instid1(VALU_DEP_1)
	v_mul_f32_e32 v2, 0x2f800000, v1
	v_trunc_f32_e32 v2, v2
	s_delay_alu instid0(VALU_DEP_1) | instskip(SKIP_1) | instid1(VALU_DEP_2)
	v_fmamk_f32 v1, v2, 0xcf800000, v1
	v_cvt_u32_f32_e32 v2, v2
	v_cvt_u32_f32_e32 v1, v1
	s_delay_alu instid0(VALU_DEP_2) | instskip(NEXT) | instid1(VALU_DEP_2)
	v_readfirstlane_b32 s12, v2
	v_readfirstlane_b32 s17, v1
	s_delay_alu instid0(VALU_DEP_2) | instskip(NEXT) | instid1(VALU_DEP_1)
	s_mul_i32 s21, s18, s12
	s_mul_hi_u32 s23, s18, s17
	s_mul_i32 s22, s19, s17
	s_add_i32 s21, s23, s21
	s_mul_i32 s24, s18, s17
	s_add_i32 s21, s21, s22
	s_mul_hi_u32 s23, s17, s24
	s_mul_hi_u32 s25, s12, s24
	s_mul_i32 s22, s12, s24
	s_mul_hi_u32 s24, s17, s21
	s_mul_i32 s17, s17, s21
	s_mul_hi_u32 s26, s12, s21
	s_add_u32 s17, s23, s17
	s_addc_u32 s23, 0, s24
	s_add_u32 s17, s17, s22
	s_mul_i32 s21, s12, s21
	s_addc_u32 s17, s23, s25
	s_addc_u32 s22, s26, 0
	s_add_u32 s17, s17, s21
	s_addc_u32 s21, 0, s22
	v_add_co_u32 v1, s17, v1, s17
	s_delay_alu instid0(VALU_DEP_1) | instskip(SKIP_1) | instid1(VALU_DEP_1)
	s_cmp_lg_u32 s17, 0
	s_addc_u32 s12, s12, s21
	v_readfirstlane_b32 s17, v1
	s_mul_i32 s21, s18, s12
	s_delay_alu instid0(VALU_DEP_1)
	s_mul_hi_u32 s22, s18, s17
	s_mul_i32 s19, s19, s17
	s_add_i32 s21, s22, s21
	s_mul_i32 s18, s18, s17
	s_add_i32 s21, s21, s19
	s_mul_hi_u32 s22, s12, s18
	s_mul_i32 s23, s12, s18
	s_mul_hi_u32 s18, s17, s18
	s_mul_hi_u32 s24, s17, s21
	s_mul_i32 s17, s17, s21
	s_mul_hi_u32 s19, s12, s21
	s_add_u32 s17, s18, s17
	s_addc_u32 s18, 0, s24
	s_add_u32 s17, s17, s23
	s_mul_i32 s21, s12, s21
	s_addc_u32 s17, s18, s22
	s_addc_u32 s18, s19, 0
	s_add_u32 s17, s17, s21
	s_addc_u32 s18, 0, s18
	v_add_co_u32 v1, s17, v1, s17
	s_delay_alu instid0(VALU_DEP_1) | instskip(SKIP_2) | instid1(SALU_CYCLE_1)
	s_cmp_lg_u32 s17, 0
	s_addc_u32 s12, s12, s18
	s_ashr_i32 s18, s3, 31
	s_add_u32 s22, s11, s18
	s_addc_u32 s23, s3, s18
	v_readfirstlane_b32 s3, v1
	s_mov_b32 s19, s18
	s_delay_alu instid0(SALU_CYCLE_1) | instskip(NEXT) | instid1(SALU_CYCLE_1)
	s_xor_b64 s[22:23], s[22:23], s[18:19]
	s_mul_i32 s21, s22, s12
	s_delay_alu instid0(VALU_DEP_1)
	s_mul_hi_u32 s24, s22, s3
	s_mul_hi_u32 s17, s22, s12
	;; [unrolled: 1-line block ×3, first 2 shown]
	s_mul_i32 s3, s23, s3
	s_add_u32 s21, s24, s21
	s_addc_u32 s17, 0, s17
	s_mul_hi_u32 s25, s23, s12
	s_add_u32 s3, s21, s3
	s_mul_i32 s12, s23, s12
	s_addc_u32 s3, s17, s26
	s_addc_u32 s17, s25, 0
	s_add_u32 s3, s3, s12
	s_addc_u32 s12, 0, s17
	s_mul_i32 s21, s20, s3
	s_add_u32 s17, s3, 1
	v_sub_co_u32 v1, s21, s22, s21
	s_mul_hi_u32 s22, s20, s3
	s_addc_u32 s24, s12, 0
	s_mul_i32 s25, s20, s12
	s_delay_alu instid0(VALU_DEP_1)
	v_sub_co_u32 v2, s26, v1, s20
	s_add_u32 s27, s3, 2
	s_addc_u32 s28, s12, 0
	s_add_i32 s22, s22, s25
	s_cmp_lg_u32 s21, 0
	v_readfirstlane_b32 s21, v2
	s_subb_u32 s22, s23, s22
	s_cmp_lg_u32 s26, 0
	s_subb_u32 s23, s22, 0
	s_delay_alu instid0(VALU_DEP_1) | instskip(SKIP_4) | instid1(SALU_CYCLE_1)
	s_cmp_ge_u32 s21, s20
	s_cselect_b32 s21, -1, 0
	s_cmp_eq_u32 s23, 0
	v_readfirstlane_b32 s23, v1
	s_cselect_b32 s21, s21, -1
	s_cmp_lg_u32 s21, 0
	s_cselect_b32 s17, s27, s17
	s_cselect_b32 s21, s28, s24
	s_cmp_ge_u32 s23, s20
	s_cselect_b32 s23, -1, 0
	s_cmp_eq_u32 s22, 0
	s_cselect_b32 s22, s23, -1
	s_delay_alu instid0(SALU_CYCLE_1) | instskip(SKIP_2) | instid1(SALU_CYCLE_1)
	s_cmp_lg_u32 s22, 0
	s_cselect_b32 s23, s21, s12
	s_cselect_b32 s22, s17, s3
	s_xor_b64 s[22:23], s[22:23], s[18:19]
	s_delay_alu instid0(SALU_CYCLE_1)
	s_sub_u32 s18, s22, s18
	s_and_not1_b32 vcc_lo, exec_lo, s2
	s_cbranch_vccnz .LBB36_6
.LBB36_5:
	v_cvt_f32_u32_e32 v1, s20
	s_sub_i32 s3, 0, s20
	s_delay_alu instid0(VALU_DEP_1) | instskip(SKIP_2) | instid1(VALU_DEP_1)
	v_rcp_iflag_f32_e32 v1, v1
	s_waitcnt_depctr 0xfff
	v_mul_f32_e32 v1, 0x4f7ffffe, v1
	v_cvt_u32_f32_e32 v1, v1
	s_delay_alu instid0(VALU_DEP_1) | instskip(NEXT) | instid1(VALU_DEP_1)
	v_readfirstlane_b32 s2, v1
	s_mul_i32 s3, s3, s2
	s_delay_alu instid0(SALU_CYCLE_1) | instskip(NEXT) | instid1(SALU_CYCLE_1)
	s_mul_hi_u32 s3, s2, s3
	s_add_i32 s2, s2, s3
	s_delay_alu instid0(SALU_CYCLE_1) | instskip(NEXT) | instid1(SALU_CYCLE_1)
	s_mul_hi_u32 s2, s11, s2
	s_mul_i32 s3, s2, s20
	s_delay_alu instid0(SALU_CYCLE_1)
	s_sub_i32 s3, s11, s3
	s_add_i32 s11, s2, 1
	s_sub_i32 s12, s3, s20
	s_cmp_ge_u32 s3, s20
	s_cselect_b32 s2, s11, s2
	s_cselect_b32 s3, s12, s3
	s_add_i32 s11, s2, 1
	s_cmp_ge_u32 s3, s20
	s_cselect_b32 s18, s11, s2
.LBB36_6:
	s_delay_alu instid0(SALU_CYCLE_1) | instskip(SKIP_3) | instid1(SALU_CYCLE_1)
	s_cmp_eq_u32 s16, s18
	s_mul_hi_u32 s2, s16, s8
	s_cselect_b32 s3, -1, 0
	s_add_i32 s2, s2, s16
	s_lshr_b32 s11, s2, s9
	s_delay_alu instid0(SALU_CYCLE_1) | instskip(NEXT) | instid1(SALU_CYCLE_1)
	s_mul_i32 s2, s11, s10
	s_cmp_eq_u32 s2, s16
	s_mul_hi_u32 s2, s18, s8
	s_cselect_b32 s12, -1, 0
	s_add_i32 s2, s2, s18
	s_delay_alu instid0(SALU_CYCLE_1) | instskip(NEXT) | instid1(SALU_CYCLE_1)
	s_lshr_b32 s2, s2, s9
	s_cmp_eq_u32 s11, s2
	s_mul_i32 s2, s2, s10
	s_cselect_b32 s17, -1, 0
	s_cmp_lg_u32 s2, s18
	s_cselect_b32 s2, -1, 0
	s_or_b32 s3, s3, s12
	s_and_b32 s2, s17, s2
	s_delay_alu instid0(SALU_CYCLE_1) | instskip(NEXT) | instid1(SALU_CYCLE_1)
	s_or_b32 s2, s3, s2
	s_and_b32 vcc_lo, exec_lo, s2
	s_cbranch_vccnz .LBB36_24
; %bb.7:
	s_load_b256 s[24:31], s[0:1], 0x20
	s_waitcnt lgkmcnt(0)
	s_mul_hi_u32 s2, s16, s24
	s_delay_alu instid0(SALU_CYCLE_1) | instskip(NEXT) | instid1(SALU_CYCLE_1)
	s_add_i32 s2, s2, s16
	s_lshr_b32 s17, s2, s25
	s_load_b32 s2, s[0:1], 0x40
	s_mul_i32 s3, s17, s26
	s_delay_alu instid0(SALU_CYCLE_1) | instskip(NEXT) | instid1(SALU_CYCLE_1)
	s_sub_i32 s3, s16, s3
	s_mul_hi_u32 s12, s3, s27
	s_delay_alu instid0(SALU_CYCLE_1) | instskip(NEXT) | instid1(SALU_CYCLE_1)
	s_add_i32 s12, s3, s12
	s_lshr_b32 s19, s12, s28
	s_delay_alu instid0(SALU_CYCLE_1) | instskip(NEXT) | instid1(SALU_CYCLE_1)
	s_mul_i32 s12, s19, s29
	s_sub_i32 s3, s3, s12
	s_delay_alu instid0(SALU_CYCLE_1) | instskip(NEXT) | instid1(SALU_CYCLE_1)
	s_mul_hi_u32 s12, s3, s30
	s_add_i32 s12, s3, s12
	s_delay_alu instid0(SALU_CYCLE_1)
	s_lshr_b32 s12, s12, s31
	s_waitcnt lgkmcnt(0)
	s_mul_i32 s2, s12, s2
	s_lshl_b32 s21, s12, 1
	s_sub_i32 s2, s3, s2
	s_mov_b32 s12, 0
	s_mul_hi_u32 s3, s2, s8
	s_delay_alu instid0(SALU_CYCLE_1) | instskip(NEXT) | instid1(SALU_CYCLE_1)
	s_add_i32 s2, s2, s3
	s_lshr_b32 s18, s2, s9
	s_delay_alu instid0(SALU_CYCLE_1) | instskip(NEXT) | instid1(SALU_CYCLE_1)
	s_lshl_b32 s2, s18, 5
	s_add_i32 s2, s2, s14
	s_delay_alu instid0(SALU_CYCLE_1) | instskip(SKIP_2) | instid1(SALU_CYCLE_1)
	s_cmp_lt_i32 s2, s4
	s_cselect_b32 s2, -1, 0
	s_add_i32 s21, s21, s15
	s_cmp_lt_i32 s21, s6
	s_cselect_b32 s3, -1, 0
	s_delay_alu instid0(SALU_CYCLE_1) | instskip(NEXT) | instid1(SALU_CYCLE_1)
	s_and_b32 s2, s2, s3
	s_and_not1_b32 vcc_lo, exec_lo, s2
	s_cbranch_vccnz .LBB36_24
; %bb.8:
	s_load_b128 s[0:3], s[0:1], 0x0
	s_lshl_b32 s22, s20, 8
	s_mov_b32 s23, s12
	s_lshl_b32 s24, s14, 1
	s_lshl_b64 s[22:23], s[22:23], 2
	s_mul_i32 s19, s19, s6
	s_mul_i32 s4, s17, s4
	s_add_i32 s6, s24, s15
	v_cvt_f32_ubyte0_e32 v3, 0
	v_cvt_f32_u32_e32 v4, s20
	s_waitcnt lgkmcnt(0)
	s_add_u32 s15, s2, s22
	s_addc_u32 s17, s3, s23
	s_add_i32 s4, s4, s14
	s_add_i32 s14, s21, s19
	s_mul_i32 s4, s4, s5
	s_mul_i32 s5, s5, s18
	s_add_i32 s4, s14, s4
	s_mulk_i32 s5, 0xa00
	s_mulk_i32 s4, 0x50
	s_delay_alu instid0(SALU_CYCLE_1) | instskip(NEXT) | instid1(VALU_DEP_1)
	v_add3_u32 v1, s5, s4, v0
	v_ashrrev_i32_e32 v2, 31, v1
	s_delay_alu instid0(VALU_DEP_1) | instskip(NEXT) | instid1(VALU_DEP_1)
	v_lshlrev_b64 v[1:2], 2, v[1:2]
	v_add_co_u32 v1, vcc_lo, s0, v1
	s_delay_alu instid0(VALU_DEP_2) | instskip(SKIP_1) | instid1(SALU_CYCLE_1)
	v_add_co_ci_u32_e32 v2, vcc_lo, s1, v2, vcc_lo
	s_lshl_b32 s0, s13, 6
	s_add_i32 s0, s6, s0
	global_load_b32 v5, v[1:2], off
	s_ashr_i32 s1, s0, 31
	s_delay_alu instid0(SALU_CYCLE_1) | instskip(NEXT) | instid1(SALU_CYCLE_1)
	s_lshl_b64 s[0:1], s[0:1], 3
	s_add_u32 s0, s2, s0
	s_addc_u32 s1, s3, s1
	s_add_i32 s18, s13, -1
	s_load_b64 s[0:1], s[0:1], 0x0
	v_fmac_f32_e32 v4, 0x4f800000, v3
	s_sub_i32 s14, 0, s20
	s_delay_alu instid0(VALU_DEP_1)
	v_rcp_f32_e32 v3, v4
	s_waitcnt_depctr 0xfff
	v_mul_f32_e32 v6, 0x5f7ffffc, v3
	v_cvt_f32_u32_e32 v3, s20
	s_waitcnt lgkmcnt(0)
	v_mov_b32_e32 v8, s0
	s_delay_alu instid0(VALU_DEP_3) | instskip(NEXT) | instid1(VALU_DEP_3)
	v_mul_f32_e32 v4, 0x2f800000, v6
	v_rcp_iflag_f32_e32 v7, v3
	s_delay_alu instid0(VALU_DEP_1) | instskip(SKIP_1) | instid1(VALU_DEP_2)
	v_trunc_f32_e32 v9, v4
	v_mad_u64_u32 v[3:4], null, 0x50, s6, v[0:1]
	v_fmac_f32_e32 v6, 0xcf800000, v9
	s_waitcnt_depctr 0xfff
	v_dual_mul_f32 v10, 0x4f7ffffe, v7 :: v_dual_mov_b32 v7, s1
	v_cvt_u32_f32_e32 v4, v9
	v_cvt_u32_f32_e32 v0, v6
	s_delay_alu instid0(VALU_DEP_3)
	v_cvt_u32_f32_e32 v6, v10
.LBB36_9:                               ; =>This Inner Loop Header: Depth=1
	s_mul_hi_i32 s13, s18, s7
	s_mul_i32 s4, s18, s7
	s_cmp_lg_u64 s[12:13], 0
	s_mov_b32 s5, -1
                                        ; implicit-def: $sgpr0_sgpr1
	s_cbranch_scc0 .LBB36_11
; %bb.10:                               ;   in Loop: Header=BB36_9 Depth=1
	v_readfirstlane_b32 s0, v0
	v_readfirstlane_b32 s1, v4
	s_sub_u32 s5, 0, s20
	s_subb_u32 s19, 0, 0
	s_delay_alu instid0(VALU_DEP_2) | instskip(NEXT) | instid1(VALU_DEP_1)
	s_mul_hi_u32 s21, s5, s0
	s_mul_i32 s22, s5, s1
	s_mul_i32 s23, s19, s0
	s_add_i32 s21, s21, s22
	s_mul_i32 s22, s5, s0
	s_add_i32 s21, s21, s23
	s_mul_hi_u32 s23, s0, s22
	s_mul_i32 s24, s0, s21
	s_mul_hi_u32 s0, s0, s21
	s_add_u32 s23, s23, s24
	s_mul_i32 s25, s1, s22
	s_addc_u32 s0, 0, s0
	s_mul_hi_u32 s22, s1, s22
	s_mul_hi_u32 s24, s1, s21
	s_add_u32 s23, s23, s25
	s_addc_u32 s0, s0, s22
	s_mul_i32 s21, s1, s21
	s_addc_u32 s22, s24, 0
	s_add_u32 s0, s0, s21
	s_addc_u32 s21, 0, s22
	v_add_co_u32 v9, s0, v0, s0
	s_delay_alu instid0(VALU_DEP_1) | instskip(SKIP_1) | instid1(VALU_DEP_1)
	s_cmp_lg_u32 s0, 0
	s_addc_u32 s1, s1, s21
	v_readfirstlane_b32 s0, v9
	s_mul_i32 s21, s5, s1
	s_delay_alu instid0(VALU_DEP_1)
	s_mul_hi_u32 s22, s5, s0
	s_mul_i32 s19, s19, s0
	s_add_i32 s21, s22, s21
	s_mul_i32 s5, s5, s0
	s_add_i32 s21, s21, s19
	s_mul_hi_u32 s19, s1, s5
	s_mul_i32 s23, s1, s5
	s_mul_i32 s24, s0, s21
	s_mul_hi_u32 s5, s0, s5
	s_mul_hi_u32 s0, s0, s21
	s_add_u32 s5, s5, s24
	s_addc_u32 s0, 0, s0
	s_mul_hi_u32 s22, s1, s21
	s_add_u32 s5, s5, s23
	s_addc_u32 s0, s0, s19
	s_mul_i32 s5, s1, s21
	s_addc_u32 s19, s22, 0
	s_add_u32 s0, s0, s5
	s_addc_u32 s5, 0, s19
	v_add_co_u32 v9, s0, v9, s0
	s_delay_alu instid0(VALU_DEP_1) | instskip(SKIP_2) | instid1(SALU_CYCLE_1)
	s_cmp_lg_u32 s0, 0
	s_addc_u32 s5, s1, s5
	s_ashr_i32 s0, s13, 31
	s_add_u32 s22, s4, s0
	s_addc_u32 s23, s13, s0
	v_readfirstlane_b32 s13, v9
	s_mov_b32 s1, s0
	s_delay_alu instid0(SALU_CYCLE_1) | instskip(NEXT) | instid1(SALU_CYCLE_1)
	s_xor_b64 s[22:23], s[22:23], s[0:1]
	s_mul_i32 s19, s22, s5
	s_delay_alu instid0(VALU_DEP_1)
	s_mul_hi_u32 s21, s22, s13
	s_mul_hi_u32 s24, s22, s5
	s_add_u32 s19, s21, s19
	s_mul_i32 s25, s23, s13
	s_addc_u32 s21, 0, s24
	s_mul_hi_u32 s13, s23, s13
	s_mul_hi_u32 s24, s23, s5
	s_add_u32 s19, s19, s25
	s_addc_u32 s13, s21, s13
	s_mul_i32 s5, s23, s5
	s_addc_u32 s19, s24, 0
	s_add_u32 s5, s13, s5
	s_addc_u32 s13, 0, s19
	s_mul_i32 s21, s20, s5
	s_add_u32 s19, s5, 1
	v_sub_co_u32 v9, s21, s22, s21
	s_addc_u32 s22, s13, 0
	s_mul_i32 s25, s20, s13
	s_mul_hi_u32 s27, s20, s5
	s_delay_alu instid0(VALU_DEP_1)
	v_sub_co_u32 v10, s26, v9, s20
	s_add_u32 s24, s5, 2
	s_addc_u32 s28, s13, 0
	s_add_i32 s27, s27, s25
	s_cmp_lg_u32 s21, 0
	v_readfirstlane_b32 s21, v10
	s_subb_u32 s23, s23, s27
	s_cmp_lg_u32 s26, 0
	s_subb_u32 s25, s23, 0
	s_delay_alu instid0(VALU_DEP_1) | instskip(SKIP_4) | instid1(SALU_CYCLE_1)
	s_cmp_ge_u32 s21, s20
	s_cselect_b32 s21, -1, 0
	s_cmp_eq_u32 s25, 0
	v_readfirstlane_b32 s25, v9
	s_cselect_b32 s21, s21, -1
	s_cmp_lg_u32 s21, 0
	s_cselect_b32 s19, s24, s19
	s_cselect_b32 s21, s28, s22
	s_cmp_ge_u32 s25, s20
	s_cselect_b32 s22, -1, 0
	s_cmp_eq_u32 s23, 0
	s_cselect_b32 s22, s22, -1
	s_delay_alu instid0(SALU_CYCLE_1) | instskip(SKIP_4) | instid1(SALU_CYCLE_1)
	s_cmp_lg_u32 s22, 0
	s_cselect_b32 s23, s21, s13
	s_cselect_b32 s22, s19, s5
	s_mov_b32 s5, 0
	s_xor_b64 s[22:23], s[22:23], s[0:1]
	s_sub_u32 s0, s22, s0
.LBB36_11:                              ;   in Loop: Header=BB36_9 Depth=1
	s_and_not1_b32 vcc_lo, exec_lo, s5
	s_cbranch_vccnz .LBB36_13
; %bb.12:                               ;   in Loop: Header=BB36_9 Depth=1
	v_readfirstlane_b32 s0, v6
	s_delay_alu instid0(VALU_DEP_1) | instskip(NEXT) | instid1(SALU_CYCLE_1)
	s_mul_i32 s1, s14, s0
	s_mul_hi_u32 s1, s0, s1
	s_delay_alu instid0(SALU_CYCLE_1) | instskip(NEXT) | instid1(SALU_CYCLE_1)
	s_add_i32 s0, s0, s1
	s_mul_hi_u32 s0, s4, s0
	s_delay_alu instid0(SALU_CYCLE_1) | instskip(NEXT) | instid1(SALU_CYCLE_1)
	s_mul_i32 s1, s0, s20
	s_sub_i32 s1, s4, s1
	s_add_i32 s4, s0, 1
	s_sub_i32 s5, s1, s20
	s_cmp_ge_u32 s1, s20
	s_cselect_b32 s0, s4, s0
	s_cselect_b32 s1, s5, s1
	s_add_i32 s4, s0, 1
	s_cmp_ge_u32 s1, s20
	s_cselect_b32 s0, s4, s0
.LBB36_13:                              ;   in Loop: Header=BB36_9 Depth=1
	s_delay_alu instid0(SALU_CYCLE_1)
	s_cmp_lg_u32 s16, s0
	s_cbranch_scc0 .LBB36_17
; %bb.14:                               ;   in Loop: Header=BB36_9 Depth=1
	s_add_i32 s1, s18, s20
	s_mov_b32 s5, s12
	s_lshl_b32 s1, s1, 6
	s_mov_b32 s19, s16
	s_add_i32 s4, s1, s6
	s_mul_hi_u32 s1, s0, s8
	s_lshl_b64 s[4:5], s[4:5], 3
	s_delay_alu instid0(SALU_CYCLE_1) | instskip(SKIP_2) | instid1(SALU_CYCLE_1)
	s_add_u32 s4, s2, s4
	s_addc_u32 s5, s3, s5
	s_add_i32 s1, s1, s0
	s_lshr_b32 s1, s1, s9
	s_delay_alu instid0(SALU_CYCLE_1) | instskip(NEXT) | instid1(SALU_CYCLE_1)
	s_mul_i32 s13, s1, s10
	s_cmp_eq_u32 s13, s0
	s_cselect_b32 s13, -1, 0
	s_cmp_lt_u32 s1, s11
	s_cselect_b32 s1, -1, 0
	s_delay_alu instid0(SALU_CYCLE_1)
	s_or_b32 s1, s1, s13
	s_mov_b32 s13, -1
	s_and_b32 vcc_lo, exec_lo, s1
	s_mov_b32 s1, s18
	s_cbranch_vccnz .LBB36_16
; %bb.15:                               ;   in Loop: Header=BB36_9 Depth=1
	s_add_i32 s1, s18, -1
	s_mov_b32 s13, 0
	s_mov_b32 s19, s0
.LBB36_16:                              ;   in Loop: Header=BB36_9 Depth=1
	v_mad_u64_u32 v[9:10], null, 0x1400, s18, v[3:4]
	s_load_b64 s[4:5], s[4:5], 0x0
	s_delay_alu instid0(VALU_DEP_1) | instskip(NEXT) | instid1(VALU_DEP_1)
	v_ashrrev_i32_e32 v10, 31, v9
	v_lshlrev_b64 v[9:10], 2, v[9:10]
	s_delay_alu instid0(VALU_DEP_1) | instskip(NEXT) | instid1(VALU_DEP_2)
	v_add_co_u32 v9, vcc_lo, s15, v9
	v_add_co_ci_u32_e32 v10, vcc_lo, s17, v10, vcc_lo
	s_waitcnt lgkmcnt(0)
	v_max_f32_e64 v11, s4, s4
	global_load_b32 v10, v[9:10], off
	v_max_f32_e32 v9, v8, v8
	s_delay_alu instid0(VALU_DEP_1) | instskip(NEXT) | instid1(VALU_DEP_1)
	v_max_f32_e32 v9, v9, v11
	v_sub_f32_e32 v12, v8, v9
	s_delay_alu instid0(VALU_DEP_1) | instskip(NEXT) | instid1(VALU_DEP_1)
	v_dual_mul_f32 v14, 0x3fb8aa3b, v12 :: v_dual_sub_f32 v11, s4, v9
	v_rndne_f32_e32 v18, v14
	s_delay_alu instid0(VALU_DEP_2) | instskip(SKIP_2) | instid1(VALU_DEP_4)
	v_mul_f32_e32 v13, 0x3fb8aa3b, v11
	v_fma_f32 v17, 0x3fb8aa3b, v12, -v14
	v_cmp_ngt_f32_e32 vcc_lo, 0xc2ce8ed0, v11
	v_sub_f32_e32 v14, v14, v18
	s_delay_alu instid0(VALU_DEP_4) | instskip(SKIP_2) | instid1(VALU_DEP_3)
	v_fma_f32 v15, 0x3fb8aa3b, v11, -v13
	v_rndne_f32_e32 v16, v13
	v_fmac_f32_e32 v17, 0x32a5705f, v12
	v_fmac_f32_e32 v15, 0x32a5705f, v11
	s_delay_alu instid0(VALU_DEP_2) | instskip(NEXT) | instid1(VALU_DEP_1)
	v_dual_sub_f32 v13, v13, v16 :: v_dual_add_f32 v14, v14, v17
	v_add_f32_e32 v13, v13, v15
	s_delay_alu instid0(VALU_DEP_2) | instskip(SKIP_2) | instid1(VALU_DEP_3)
	v_exp_f32_e32 v14, v14
	v_cvt_i32_f32_e32 v15, v16
	v_cvt_i32_f32_e32 v16, v18
	v_exp_f32_e32 v13, v13
	s_waitcnt_depctr 0xfff
	v_ldexp_f32 v14, v14, v16
	v_ldexp_f32 v13, v13, v15
	s_delay_alu instid0(VALU_DEP_1) | instskip(SKIP_1) | instid1(VALU_DEP_4)
	v_cndmask_b32_e32 v13, 0, v13, vcc_lo
	v_cmp_ngt_f32_e32 vcc_lo, 0xc2ce8ed0, v12
	v_cndmask_b32_e32 v14, 0, v14, vcc_lo
	v_cmp_nlt_f32_e32 vcc_lo, 0x42b17218, v11
	s_delay_alu instid0(VALU_DEP_4) | instskip(SKIP_1) | instid1(VALU_DEP_4)
	v_cndmask_b32_e32 v13, 0x7f800000, v13, vcc_lo
	v_cmp_nlt_f32_e32 vcc_lo, 0x42b17218, v12
	v_cndmask_b32_e32 v14, 0x7f800000, v14, vcc_lo
	v_cmp_le_f32_e32 vcc_lo, 0xc1a00000, v11
	s_delay_alu instid0(VALU_DEP_4) | instskip(SKIP_1) | instid1(VALU_DEP_4)
	v_cndmask_b32_e32 v11, 0, v13, vcc_lo
	v_cmp_le_f32_e32 vcc_lo, 0xc1a00000, v12
	v_cndmask_b32_e32 v12, 0, v14, vcc_lo
	s_waitcnt vmcnt(0)
	s_delay_alu instid0(VALU_DEP_3) | instskip(NEXT) | instid1(VALU_DEP_1)
	v_mul_f32_e32 v10, v10, v11
	v_dual_mul_f32 v11, s5, v11 :: v_dual_fmac_f32 v10, v5, v12
	s_delay_alu instid0(VALU_DEP_1)
	v_fmac_f32_e32 v11, v7, v12
	s_cbranch_execz .LBB36_18
	s_branch .LBB36_19
.LBB36_17:                              ;   in Loop: Header=BB36_9 Depth=1
                                        ; implicit-def: $sgpr13
                                        ; implicit-def: $vgpr10
                                        ; implicit-def: $vgpr9
                                        ; implicit-def: $vgpr11
                                        ; implicit-def: $sgpr1
                                        ; implicit-def: $sgpr19
.LBB36_18:                              ;   in Loop: Header=BB36_9 Depth=1
	s_waitcnt vmcnt(0)
	v_dual_mov_b32 v11, v7 :: v_dual_mov_b32 v10, v5
	v_mov_b32_e32 v9, v8
	s_add_i32 s1, s18, -1
	s_mov_b32 s13, 0
	s_mov_b32 s19, s16
.LBB36_19:                              ;   in Loop: Header=BB36_9 Depth=1
	s_and_not1_b32 vcc_lo, exec_lo, s13
	s_cbranch_vccz .LBB36_23
; %bb.20:                               ;   in Loop: Header=BB36_9 Depth=1
	v_dual_mov_b32 v7, v11 :: v_dual_mov_b32 v8, v9
	s_waitcnt vmcnt(0)
	v_mov_b32_e32 v5, v10
	s_mov_b32 s16, s19
	s_mov_b32 s18, s1
	s_branch .LBB36_9
.LBB36_21:
                                        ; implicit-def: $sgpr16_sgpr17
	s_load_b128 s[8:11], s[0:1], 0x44
	s_branch .LBB36_2
.LBB36_22:
                                        ; implicit-def: $sgpr18_sgpr19
	s_branch .LBB36_5
.LBB36_23:
	v_div_scale_f32 v0, null, v11, v11, v10
	s_delay_alu instid0(VALU_DEP_1) | instskip(SKIP_2) | instid1(VALU_DEP_1)
	v_rcp_f32_e32 v3, v0
	s_waitcnt_depctr 0xfff
	v_fma_f32 v4, -v0, v3, 1.0
	v_fmac_f32_e32 v3, v4, v3
	v_div_scale_f32 v4, vcc_lo, v10, v11, v10
	s_waitcnt vmcnt(0)
	s_delay_alu instid0(VALU_DEP_1) | instskip(NEXT) | instid1(VALU_DEP_1)
	v_mul_f32_e32 v5, v4, v3
	v_fma_f32 v6, -v0, v5, v4
	s_delay_alu instid0(VALU_DEP_1) | instskip(NEXT) | instid1(VALU_DEP_1)
	v_fmac_f32_e32 v5, v6, v3
	v_fma_f32 v0, -v0, v5, v4
	s_delay_alu instid0(VALU_DEP_1) | instskip(NEXT) | instid1(VALU_DEP_1)
	v_div_fmas_f32 v0, v0, v3, v5
	v_div_fixup_f32 v0, v0, v11, v10
	global_store_b32 v[1:2], v0, off
.LBB36_24:
	s_nop 0
	s_sendmsg sendmsg(MSG_DEALLOC_VGPRS)
	s_endpgm
	.section	.rodata,"a",@progbits
	.p2align	6, 0x0
	.amdhsa_kernel _ZL33flash_attn_stream_k_fixup_generalILi80ELi32ELi2EEvPfPK15HIP_vector_typeIfLj2EEiiiiS1_IjLj3EES5_S5_S5_
		.amdhsa_group_segment_fixed_size 0
		.amdhsa_private_segment_fixed_size 0
		.amdhsa_kernarg_size 336
		.amdhsa_user_sgpr_count 13
		.amdhsa_user_sgpr_dispatch_ptr 0
		.amdhsa_user_sgpr_queue_ptr 0
		.amdhsa_user_sgpr_kernarg_segment_ptr 1
		.amdhsa_user_sgpr_dispatch_id 0
		.amdhsa_user_sgpr_private_segment_size 0
		.amdhsa_wavefront_size32 1
		.amdhsa_uses_dynamic_stack 0
		.amdhsa_enable_private_segment 0
		.amdhsa_system_sgpr_workgroup_id_x 1
		.amdhsa_system_sgpr_workgroup_id_y 1
		.amdhsa_system_sgpr_workgroup_id_z 1
		.amdhsa_system_sgpr_workgroup_info 0
		.amdhsa_system_vgpr_workitem_id 0
		.amdhsa_next_free_vgpr 19
		.amdhsa_next_free_sgpr 32
		.amdhsa_reserve_vcc 1
		.amdhsa_float_round_mode_32 0
		.amdhsa_float_round_mode_16_64 0
		.amdhsa_float_denorm_mode_32 3
		.amdhsa_float_denorm_mode_16_64 3
		.amdhsa_dx10_clamp 1
		.amdhsa_ieee_mode 1
		.amdhsa_fp16_overflow 0
		.amdhsa_workgroup_processor_mode 1
		.amdhsa_memory_ordered 1
		.amdhsa_forward_progress 0
		.amdhsa_shared_vgpr_count 0
		.amdhsa_exception_fp_ieee_invalid_op 0
		.amdhsa_exception_fp_denorm_src 0
		.amdhsa_exception_fp_ieee_div_zero 0
		.amdhsa_exception_fp_ieee_overflow 0
		.amdhsa_exception_fp_ieee_underflow 0
		.amdhsa_exception_fp_ieee_inexact 0
		.amdhsa_exception_int_div_zero 0
	.end_amdhsa_kernel
	.section	.text._ZL33flash_attn_stream_k_fixup_generalILi80ELi32ELi2EEvPfPK15HIP_vector_typeIfLj2EEiiiiS1_IjLj3EES5_S5_S5_,"axG",@progbits,_ZL33flash_attn_stream_k_fixup_generalILi80ELi32ELi2EEvPfPK15HIP_vector_typeIfLj2EEiiiiS1_IjLj3EES5_S5_S5_,comdat
.Lfunc_end36:
	.size	_ZL33flash_attn_stream_k_fixup_generalILi80ELi32ELi2EEvPfPK15HIP_vector_typeIfLj2EEiiiiS1_IjLj3EES5_S5_S5_, .Lfunc_end36-_ZL33flash_attn_stream_k_fixup_generalILi80ELi32ELi2EEvPfPK15HIP_vector_typeIfLj2EEiiiiS1_IjLj3EES5_S5_S5_
                                        ; -- End function
	.section	.AMDGPU.csdata,"",@progbits
; Kernel info:
; codeLenInByte = 3224
; NumSgprs: 34
; NumVgprs: 19
; ScratchSize: 0
; MemoryBound: 0
; FloatMode: 240
; IeeeMode: 1
; LDSByteSize: 0 bytes/workgroup (compile time only)
; SGPRBlocks: 4
; VGPRBlocks: 2
; NumSGPRsForWavesPerEU: 34
; NumVGPRsForWavesPerEU: 19
; Occupancy: 16
; WaveLimiterHint : 0
; COMPUTE_PGM_RSRC2:SCRATCH_EN: 0
; COMPUTE_PGM_RSRC2:USER_SGPR: 13
; COMPUTE_PGM_RSRC2:TRAP_HANDLER: 0
; COMPUTE_PGM_RSRC2:TGID_X_EN: 1
; COMPUTE_PGM_RSRC2:TGID_Y_EN: 1
; COMPUTE_PGM_RSRC2:TGID_Z_EN: 1
; COMPUTE_PGM_RSRC2:TIDIG_COMP_CNT: 0
	.section	.text._ZL15flash_attn_tileILi80ELi80ELi16ELi2ELb0EEvPKcS1_S1_S1_S1_PKiPfP15HIP_vector_typeIfLj2EEffffjfiS5_IjLj3EEiiiiiiiiiiiliiliiiiil,"axG",@progbits,_ZL15flash_attn_tileILi80ELi80ELi16ELi2ELb0EEvPKcS1_S1_S1_S1_PKiPfP15HIP_vector_typeIfLj2EEffffjfiS5_IjLj3EEiiiiiiiiiiiliiliiiiil,comdat
	.globl	_ZL15flash_attn_tileILi80ELi80ELi16ELi2ELb0EEvPKcS1_S1_S1_S1_PKiPfP15HIP_vector_typeIfLj2EEffffjfiS5_IjLj3EEiiiiiiiiiiiliiliiiiil ; -- Begin function _ZL15flash_attn_tileILi80ELi80ELi16ELi2ELb0EEvPKcS1_S1_S1_S1_PKiPfP15HIP_vector_typeIfLj2EEffffjfiS5_IjLj3EEiiiiiiiiiiiliiliiiiil
	.p2align	8
	.type	_ZL15flash_attn_tileILi80ELi80ELi16ELi2ELb0EEvPKcS1_S1_S1_S1_PKiPfP15HIP_vector_typeIfLj2EEffffjfiS5_IjLj3EEiiiiiiiiiiiliiliiiiil,@function
_ZL15flash_attn_tileILi80ELi80ELi16ELi2ELb0EEvPKcS1_S1_S1_S1_PKiPfP15HIP_vector_typeIfLj2EEffffjfiS5_IjLj3EEiiiiiiiiiiiliiliiiiil: ; @_ZL15flash_attn_tileILi80ELi80ELi16ELi2ELb0EEvPKcS1_S1_S1_S1_PKiPfP15HIP_vector_typeIfLj2EEffffjfiS5_IjLj3EEiiiiiiiiiiiliiliiiiil
; %bb.0:
	s_clause 0x1
	s_load_b128 s[36:39], s[0:1], 0x5c
	s_load_b64 s[40:41], s[0:1], 0x80
	s_mov_b64 s[42:43], 0
	s_waitcnt lgkmcnt(0)
	s_lshr_b32 s2, s39, 31
	s_delay_alu instid0(SALU_CYCLE_1) | instskip(NEXT) | instid1(SALU_CYCLE_1)
	s_add_i32 s2, s39, s2
	s_ashr_i32 s2, s2, 1
	s_delay_alu instid0(SALU_CYCLE_1) | instskip(SKIP_1) | instid1(VALU_DEP_1)
	v_cvt_f32_u32_e32 v1, s2
	s_sub_i32 s4, 0, s2
	v_rcp_iflag_f32_e32 v1, v1
	s_waitcnt_depctr 0xfff
	v_mul_f32_e32 v1, 0x4f7ffffe, v1
	s_delay_alu instid0(VALU_DEP_1) | instskip(NEXT) | instid1(VALU_DEP_1)
	v_cvt_u32_f32_e32 v1, v1
	v_readfirstlane_b32 s3, v1
	s_delay_alu instid0(VALU_DEP_1) | instskip(NEXT) | instid1(SALU_CYCLE_1)
	s_mul_i32 s4, s4, s3
	s_mul_hi_u32 s4, s3, s4
	s_delay_alu instid0(SALU_CYCLE_1) | instskip(NEXT) | instid1(SALU_CYCLE_1)
	s_add_i32 s3, s3, s4
	s_mul_hi_u32 s3, s15, s3
	s_delay_alu instid0(SALU_CYCLE_1) | instskip(SKIP_2) | instid1(SALU_CYCLE_1)
	s_mul_i32 s4, s3, s2
	s_add_i32 s5, s3, 1
	s_sub_i32 s4, s15, s4
	s_sub_i32 s6, s4, s2
	s_cmp_ge_u32 s4, s2
	s_cselect_b32 s3, s5, s3
	s_cselect_b32 s4, s6, s4
	s_add_i32 s5, s3, 1
	s_cmp_ge_u32 s4, s2
	s_cselect_b32 s33, s5, s3
	s_abs_i32 s2, s41
	s_abs_i32 s7, s39
	v_cvt_f32_u32_e32 v1, s2
	s_sub_i32 s4, 0, s2
	s_lshl_b32 s5, s15, 1
	s_mul_i32 s6, s33, s39
	s_delay_alu instid0(VALU_DEP_1) | instskip(SKIP_3) | instid1(VALU_DEP_1)
	v_rcp_iflag_f32_e32 v1, v1
	s_sub_i32 s34, s5, s6
	s_waitcnt_depctr 0xfff
	v_mul_f32_e32 v1, 0x4f7ffffe, v1
	v_cvt_u32_f32_e32 v1, v1
	s_delay_alu instid0(VALU_DEP_1) | instskip(NEXT) | instid1(VALU_DEP_1)
	v_readfirstlane_b32 s3, v1
	s_mul_i32 s4, s4, s3
	s_delay_alu instid0(SALU_CYCLE_1) | instskip(NEXT) | instid1(SALU_CYCLE_1)
	s_mul_hi_u32 s4, s3, s4
	s_add_i32 s3, s3, s4
	s_xor_b32 s4, s39, s41
	s_mul_hi_u32 s3, s7, s3
	s_ashr_i32 s4, s4, 31
	s_mul_i32 s5, s3, s2
	s_add_i32 s6, s3, 1
	s_sub_i32 s5, s7, s5
	s_delay_alu instid0(SALU_CYCLE_1)
	s_sub_i32 s7, s5, s2
	s_cmp_ge_u32 s5, s2
	s_cselect_b32 s3, s6, s3
	s_cselect_b32 s5, s7, s5
	s_add_i32 s6, s3, 1
	s_cmp_ge_u32 s5, s2
	s_cselect_b32 s2, s6, s3
	s_delay_alu instid0(SALU_CYCLE_1) | instskip(NEXT) | instid1(SALU_CYCLE_1)
	s_xor_b32 s2, s2, s4
	s_sub_i32 s9, s2, s4
	s_clause 0x1
	s_load_b512 s[16:31], s[0:1], 0x0
	s_load_b64 s[2:3], s[0:1], 0xb8
	s_abs_i32 s8, s9
	s_delay_alu instid0(SALU_CYCLE_1) | instskip(NEXT) | instid1(VALU_DEP_1)
	v_cvt_f32_u32_e32 v1, s8
	v_rcp_iflag_f32_e32 v1, v1
	s_waitcnt_depctr 0xfff
	v_mul_f32_e32 v1, 0x4f7ffffe, v1
	s_waitcnt lgkmcnt(0)
	s_cmp_eq_u64 s[22:23], 0
	s_delay_alu instid0(VALU_DEP_1) | instskip(NEXT) | instid1(VALU_DEP_1)
	v_cvt_u32_f32_e32 v1, v1
	v_readfirstlane_b32 s10, v1
	s_cbranch_scc1 .LBB37_2
; %bb.1:
	s_abs_i32 s2, s2
	s_abs_i32 s6, s33
	v_cvt_f32_u32_e32 v1, s2
	s_sub_i32 s5, 0, s2
	s_delay_alu instid0(VALU_DEP_1) | instskip(SKIP_2) | instid1(VALU_DEP_1)
	v_rcp_iflag_f32_e32 v1, v1
	s_waitcnt_depctr 0xfff
	v_mul_f32_e32 v1, 0x4f7ffffe, v1
	v_cvt_u32_f32_e32 v1, v1
	s_delay_alu instid0(VALU_DEP_1) | instskip(NEXT) | instid1(VALU_DEP_1)
	v_readfirstlane_b32 s4, v1
	s_mul_i32 s5, s5, s4
	s_delay_alu instid0(SALU_CYCLE_1) | instskip(NEXT) | instid1(SALU_CYCLE_1)
	s_mul_hi_u32 s5, s4, s5
	s_add_i32 s7, s4, s5
	s_load_b64 s[4:5], s[0:1], 0xc8
	s_mul_hi_u32 s7, s6, s7
	s_delay_alu instid0(SALU_CYCLE_1) | instskip(NEXT) | instid1(SALU_CYCLE_1)
	s_mul_i32 s7, s7, s2
	s_sub_i32 s6, s6, s7
	s_ashr_i32 s7, s33, 31
	s_sub_i32 s11, s6, s2
	s_cmp_ge_u32 s6, s2
	s_cselect_b32 s6, s11, s6
	s_delay_alu instid0(SALU_CYCLE_1) | instskip(SKIP_2) | instid1(SALU_CYCLE_1)
	s_sub_i32 s11, s6, s2
	s_cmp_ge_u32 s6, s2
	s_cselect_b32 s2, s11, s6
	s_xor_b32 s2, s2, s7
	s_delay_alu instid0(SALU_CYCLE_1)
	s_sub_i32 s2, s2, s7
	s_waitcnt lgkmcnt(0)
	s_mul_i32 s5, s2, s5
	s_mul_hi_u32 s6, s2, s4
	s_ashr_i32 s7, s2, 31
	s_add_i32 s5, s6, s5
	s_mul_i32 s7, s7, s4
	s_mul_i32 s2, s2, s4
	s_add_i32 s5, s5, s7
	s_add_u32 s42, s22, s2
	s_addc_u32 s43, s23, s5
.LBB37_2:
	s_clause 0x1
	s_load_b128 s[44:47], s[0:1], 0x70
	s_load_b32 s11, s[0:1], 0x40
	v_and_b32_e32 v79, 0x3ff, v0
	v_bfe_u32 v80, v0, 10, 10
	s_lshl_b32 s22, s13, 4
	s_delay_alu instid0(VALU_DEP_2) | instskip(SKIP_3) | instid1(VALU_DEP_4)
	v_lshlrev_b32_e32 v68, 2, v79
	v_cmp_gt_u32_e64 s2, 20, v79
	v_lshlrev_b32_e32 v0, 1, v79
	v_lshl_add_u32 v4, v80, 1, s22
	v_lshlrev_b32_e32 v1, 2, v68
	s_waitcnt lgkmcnt(0)
	s_mul_i32 s5, s33, s46
	s_mul_i32 s6, s34, s45
	s_ashr_i32 s7, s5, 31
	s_add_u32 s5, s16, s5
	s_addc_u32 s7, s17, s7
	s_ashr_i32 s15, s6, 31
	s_add_u32 s12, s5, s6
	s_mov_b32 s4, s45
	s_addc_u32 s15, s7, s15
	s_ashr_i32 s5, s45, 31
	s_ashr_i32 s45, s44, 31
	s_lshr_b64 s[4:5], s[4:5], 2
	s_lshr_b64 s[6:7], s[44:45], 2
	s_and_saveexec_b32 s16, s2
	s_cbranch_execz .LBB37_4
; %bb.3:
	v_mul_hi_u32 v2, v4, s36
	s_lshl_b64 s[44:45], s[4:5], 2
	v_mul_u32_u24_e32 v15, 0xa0, v80
	s_add_u32 s17, s12, s44
	s_addc_u32 s23, s15, s45
	s_delay_alu instid0(VALU_DEP_2) | instskip(NEXT) | instid1(VALU_DEP_1)
	v_add_nc_u32_e32 v2, v4, v2
	v_lshrrev_b32_e32 v2, s37, v2
	s_delay_alu instid0(VALU_DEP_1) | instskip(NEXT) | instid1(VALU_DEP_1)
	v_mul_lo_u32 v2, v2, s38
	v_sub_nc_u32_e32 v7, v4, v2
	s_delay_alu instid0(VALU_DEP_1) | instskip(NEXT) | instid1(VALU_DEP_1)
	v_mad_u64_u32 v[2:3], null, s6, v7, 0
	v_mad_u64_u32 v[5:6], null, s7, v7, v[3:4]
	s_delay_alu instid0(VALU_DEP_1) | instskip(NEXT) | instid1(VALU_DEP_1)
	v_mov_b32_e32 v3, v5
	v_lshlrev_b64 v[2:3], 2, v[2:3]
	s_delay_alu instid0(VALU_DEP_1) | instskip(NEXT) | instid1(VALU_DEP_2)
	v_add_co_u32 v5, vcc_lo, s12, v2
	v_add_co_ci_u32_e32 v6, vcc_lo, s15, v3, vcc_lo
	v_add_co_u32 v7, vcc_lo, s17, v2
	v_add_co_ci_u32_e32 v8, vcc_lo, s23, v3, vcc_lo
	s_delay_alu instid0(VALU_DEP_4) | instskip(NEXT) | instid1(VALU_DEP_4)
	v_add_co_u32 v2, vcc_lo, v5, v1
	v_add_co_ci_u32_e32 v3, vcc_lo, 0, v6, vcc_lo
	s_delay_alu instid0(VALU_DEP_4) | instskip(NEXT) | instid1(VALU_DEP_4)
	v_add_co_u32 v9, vcc_lo, v7, v1
	v_add_co_ci_u32_e32 v10, vcc_lo, 0, v8, vcc_lo
	s_clause 0x1
	global_load_b128 v[5:8], v[2:3], off
	global_load_b128 v[9:12], v[9:10], off
	s_waitcnt vmcnt(1)
	v_fma_mixlo_f16 v3, v7, s11, 0
	v_fma_mixlo_f16 v2, v5, s11, 0
	s_waitcnt vmcnt(0)
	v_fma_mixlo_f16 v14, v11, s11, 0
	v_fma_mixlo_f16 v13, v9, s11, 0
	v_add_lshl_u32 v5, v15, v0, 2
	v_fma_mixhi_f16 v3, v8, s11, 0
	v_fma_mixhi_f16 v2, v6, s11, 0
	;; [unrolled: 1-line block ×4, first 2 shown]
	ds_store_2addr_b64 v5, v[2:3], v[13:14] offset1:20
.LBB37_4:
	s_or_b32 exec_lo, exec_lo, s16
	v_lshlrev_b32_e32 v5, 2, v80
	s_delay_alu instid0(VALU_DEP_1) | instskip(NEXT) | instid1(VALU_DEP_1)
	v_or_b32_e32 v2, 2, v5
	v_lshrrev_b32_e32 v78, 1, v2
	s_and_saveexec_b32 s16, s2
	s_cbranch_execz .LBB37_6
; %bb.5:
	s_delay_alu instid0(VALU_DEP_1) | instskip(SKIP_1) | instid1(VALU_DEP_2)
	v_add_nc_u32_e32 v3, s22, v78
	v_mul_u32_u24_e32 v10, 40, v2
	v_mul_hi_u32 v6, v3, s36
	s_delay_alu instid0(VALU_DEP_1) | instskip(NEXT) | instid1(VALU_DEP_1)
	v_add_nc_u32_e32 v6, v3, v6
	v_lshrrev_b32_e32 v6, s37, v6
	s_delay_alu instid0(VALU_DEP_1) | instskip(NEXT) | instid1(VALU_DEP_1)
	v_mul_lo_u32 v6, v6, s38
	v_sub_nc_u32_e32 v9, v3, v6
	s_delay_alu instid0(VALU_DEP_1) | instskip(NEXT) | instid1(VALU_DEP_1)
	v_mad_u64_u32 v[6:7], null, s6, v9, 0
	v_mov_b32_e32 v3, v7
	s_delay_alu instid0(VALU_DEP_1) | instskip(NEXT) | instid1(VALU_DEP_1)
	v_mad_u64_u32 v[7:8], null, s7, v9, v[3:4]
	v_lshlrev_b64 v[6:7], 2, v[6:7]
	s_delay_alu instid0(VALU_DEP_1) | instskip(NEXT) | instid1(VALU_DEP_2)
	v_add_co_u32 v3, vcc_lo, s12, v6
	v_add_co_ci_u32_e32 v7, vcc_lo, s15, v7, vcc_lo
	s_delay_alu instid0(VALU_DEP_2) | instskip(NEXT) | instid1(VALU_DEP_2)
	v_add_co_u32 v6, vcc_lo, v3, v1
	v_add_co_ci_u32_e32 v7, vcc_lo, 0, v7, vcc_lo
	global_load_b128 v[6:9], v[6:7], off
	s_waitcnt vmcnt(0)
	v_fma_mixlo_f16 v3, v8, s11, 0
	v_fma_mixlo_f16 v2, v6, s11, 0
	v_add_lshl_u32 v6, v10, v0, 2
	s_delay_alu instid0(VALU_DEP_3) | instskip(NEXT) | instid1(VALU_DEP_3)
	v_fma_mixhi_f16 v3, v9, s11, 0
	v_fma_mixhi_f16 v2, v7, s11, 0
	ds_store_b64 v6, v[2:3]
.LBB37_6:
	s_or_b32 exec_lo, exec_lo, s16
	v_or_b32_e32 v77, 3, v5
	s_and_saveexec_b32 s16, s2
	s_cbranch_execz .LBB37_8
; %bb.7:
	s_delay_alu instid0(VALU_DEP_1) | instskip(SKIP_1) | instid1(SALU_CYCLE_1)
	v_lshrrev_b32_e32 v2, 1, v77
	s_lshl_b64 s[4:5], s[4:5], 2
	s_add_u32 s4, s12, s4
	s_addc_u32 s5, s15, s5
	s_delay_alu instid0(VALU_DEP_1) | instskip(NEXT) | instid1(VALU_DEP_1)
	v_add_nc_u32_e32 v2, s22, v2
	v_mul_hi_u32 v3, v2, s36
	s_delay_alu instid0(VALU_DEP_1) | instskip(NEXT) | instid1(VALU_DEP_1)
	v_add_nc_u32_e32 v3, v2, v3
	v_lshrrev_b32_e32 v3, s37, v3
	s_delay_alu instid0(VALU_DEP_1) | instskip(NEXT) | instid1(VALU_DEP_1)
	v_mul_lo_u32 v3, v3, s38
	v_sub_nc_u32_e32 v8, v2, v3
	s_delay_alu instid0(VALU_DEP_1) | instskip(NEXT) | instid1(VALU_DEP_1)
	v_mad_u64_u32 v[2:3], null, s6, v8, 0
	v_mad_u64_u32 v[6:7], null, s7, v8, v[3:4]
	s_delay_alu instid0(VALU_DEP_1) | instskip(NEXT) | instid1(VALU_DEP_1)
	v_mov_b32_e32 v3, v6
	v_lshlrev_b64 v[2:3], 2, v[2:3]
	s_delay_alu instid0(VALU_DEP_1) | instskip(NEXT) | instid1(VALU_DEP_2)
	v_add_co_u32 v2, vcc_lo, s4, v2
	v_add_co_ci_u32_e32 v3, vcc_lo, s5, v3, vcc_lo
	s_delay_alu instid0(VALU_DEP_2) | instskip(NEXT) | instid1(VALU_DEP_2)
	v_add_co_u32 v1, vcc_lo, v2, v1
	v_add_co_ci_u32_e32 v2, vcc_lo, 0, v3, vcc_lo
	v_mul_u32_u24_e32 v3, 40, v77
	global_load_b128 v[6:9], v[1:2], off
	v_add_lshl_u32 v0, v3, v0, 2
	s_waitcnt vmcnt(0)
	v_fma_mixlo_f16 v2, v8, s11, 0
	v_fma_mixlo_f16 v1, v6, s11, 0
	s_delay_alu instid0(VALU_DEP_2) | instskip(NEXT) | instid1(VALU_DEP_2)
	v_fma_mixhi_f16 v2, v9, s11, 0
	v_fma_mixhi_f16 v1, v7, s11, 0
	ds_store_b64 v0, v[1:2]
.LBB37_8:
	s_or_b32 exec_lo, exec_lo, s16
	s_cmp_eq_u64 s[26:27], 0
	s_waitcnt lgkmcnt(0)
	s_barrier
	buffer_gl0_inv
	s_cbranch_scc1 .LBB37_10
; %bb.9:
	s_load_b32 s4, s[0:1], 0xd0
	s_mov_b32 s5, 0
	s_waitcnt lgkmcnt(0)
	s_mul_i32 s4, s4, s33
	s_delay_alu instid0(SALU_CYCLE_1) | instskip(NEXT) | instid1(SALU_CYCLE_1)
	s_add_i32 s4, s4, s13
	s_lshl_b64 s[4:5], s[4:5], 2
	s_delay_alu instid0(SALU_CYCLE_1)
	s_add_u32 s4, s26, s4
	s_addc_u32 s5, s27, s5
	s_load_b32 s40, s[4:5], 0x0
.LBB37_10:
	v_mbcnt_lo_u32_b32 v85, -1, 0
	s_lshl_b32 s23, s14, 5
	s_waitcnt lgkmcnt(0)
	s_cmp_lt_i32 s23, s40
	s_cbranch_scc1 .LBB37_12
; %bb.11:
	v_mbcnt_lo_u32_b32 v6, -1, 0
	v_mov_b32_e32 v88, 32
	s_mov_b32 s4, 0
	s_mov_b32 s5, 0xfeffffff
	s_delay_alu instid0(VALU_DEP_2)
	v_xor_b32_e32 v108, 16, v6
	v_xor_b32_e32 v109, 8, v6
	;; [unrolled: 1-line block ×5, first 2 shown]
	s_branch .LBB37_13
.LBB37_12:
	s_mov_b32 s4, -1
                                        ; implicit-def: $sgpr5
                                        ; implicit-def: $vgpr6
                                        ; implicit-def: $vgpr88
                                        ; implicit-def: $vgpr108
                                        ; implicit-def: $vgpr109
                                        ; implicit-def: $vgpr110
                                        ; implicit-def: $vgpr111
                                        ; implicit-def: $vgpr112
.LBB37_13:
	s_delay_alu instid0(SALU_CYCLE_1) | instskip(SKIP_3) | instid1(VALU_DEP_4)
	v_cndmask_b32_e64 v0, 0, 1, s4
	v_dual_mov_b32 v3, s5 :: v_dual_mov_b32 v2, s5
	v_mov_b32_e32 v113, s4
	v_dual_mov_b32 v89, s4 :: v_dual_mov_b32 v114, s4
	v_cmp_ne_u32_e32 vcc_lo, 1, v0
	v_dual_mov_b32 v1, s5 :: v_dual_mov_b32 v116, s4
	v_dual_mov_b32 v0, s5 :: v_dual_mov_b32 v115, s4
	v_mov_b32_e32 v90, s4
	v_dual_mov_b32 v86, s4 :: v_dual_mov_b32 v87, s4
	v_dual_mov_b32 v83, s4 :: v_dual_mov_b32 v84, s4
	;; [unrolled: 1-line block ×3, first 2 shown]
	s_cbranch_vccnz .LBB37_34
; %bb.14:
	s_clause 0x1
	s_load_b128 s[4:7], s[0:1], 0x98
	s_load_b64 s[12:13], s[0:1], 0x8c
	s_sub_i32 s11, 0, s8
	s_abs_i32 s15, s34
	s_mul_i32 s11, s11, s10
	s_ashr_i32 s35, s34, 31
	s_mul_hi_u32 s11, s10, s11
	s_ashr_i32 s9, s9, 31
	s_add_i32 s10, s10, s11
	s_ashr_i32 s11, s3, 1
	s_mul_hi_u32 s3, s15, s10
	s_ashr_i32 s10, s33, 31
	s_load_b64 s[16:17], s[0:1], 0xa8
	s_mul_i32 s41, s3, s8
	v_mul_hi_u32 v1, s36, v4
	v_add_nc_u32_e32 v3, 1, v4
	v_lshrrev_b32_e32 v0, 2, v79
	v_dual_mov_b32 v81, 0 :: v_dual_mov_b32 v88, 32
	v_lshl_add_u32 v2, v80, 5, v79
	s_waitcnt lgkmcnt(0)
	s_ashr_i32 s26, s6, 2
	s_mul_i32 s5, s33, s5
	s_mul_hi_u32 s6, s33, s4
	s_ashr_i32 s27, s12, 2
	s_mul_i32 s12, s10, s4
	s_add_i32 s5, s6, s5
	s_mul_i32 s4, s33, s4
	s_add_i32 s5, s5, s12
	s_add_u32 s4, s18, s4
	s_addc_u32 s5, s19, s5
	s_xor_b32 s6, s35, s9
	s_sub_i32 s9, s15, s41
	s_add_i32 s12, s3, 1
	s_sub_i32 s15, s9, s8
	s_cmp_ge_u32 s9, s8
	v_mul_hi_u32 v6, s36, v3
	s_cselect_b32 s3, s12, s3
	s_cselect_b32 s9, s15, s9
	s_add_i32 s12, s3, 1
	s_cmp_ge_u32 s9, s8
	v_lshl_add_u32 v7, v80, 3, v0
	v_add_nc_u32_e32 v0, v4, v1
	s_cselect_b32 s3, s12, s3
	v_add_nc_u32_e32 v1, v3, v6
	s_xor_b32 s3, s3, s6
	s_mul_i32 s8, s33, s17
	v_lshrrev_b32_e32 v6, s37, v0
	s_sub_i32 s3, s3, s6
	s_mul_hi_u32 s6, s33, s16
	s_mul_i32 s9, s3, s13
	v_lshrrev_b32_e32 v1, s37, v1
	s_ashr_i32 s12, s9, 31
	v_mul_lo_u32 v6, v6, s38
	s_add_u32 s18, s4, s9
	s_mul_i32 s10, s10, s16
	s_addc_u32 s19, s5, s12
	s_add_i32 s4, s6, s8
	s_mul_i32 s5, s33, s16
	v_dual_mov_b32 v82, 0 :: v_dual_and_b32 v9, 12, v68
	s_add_i32 s4, s4, s10
	s_add_u32 s5, s20, s5
	s_mul_i32 s3, s3, s7
	v_mul_lo_u32 v10, v1, s38
	s_addc_u32 s6, s21, s4
	s_movk_i32 s4, 0x1440
	s_ashr_i32 s7, s3, 31
	s_add_u32 s20, s5, s3
	v_cmp_gt_u32_e32 vcc_lo, 32, v2
	v_cmp_gt_u32_e64 s3, 32, v7
	v_mul_lo_u32 v0, s27, v2
	v_mad_u32_u24 v93, 0x60, v2, s4
	v_mul_u32_u24_e32 v8, 0x60, v7
	v_mul_lo_u32 v2, s27, v7
	v_dual_mov_b32 v84, 0 :: v_dual_lshlrev_b32 v7, 2, v9
	v_sub_nc_u32_e32 v4, v4, v6
	v_lshrrev_b32_e32 v6, 1, v79
	v_dual_mov_b32 v83, 0 :: v_dual_and_b32 v98, 4, v68
	s_delay_alu instid0(VALU_DEP_4)
	v_add3_u32 v94, v8, v7, 0x1400
	v_sub_nc_u32_e32 v7, v3, v10
	v_mul_lo_u32 v95, v4, s11
	v_lshl_add_u32 v4, v80, 4, v6
	v_lshrrev_b32_e32 v6, 3, v79
	v_mov_b32_e32 v87, 0
	v_mul_lo_u32 v96, v7, s11
	v_dual_mov_b32 v89, 0 :: v_dual_and_b32 v100, 28, v68
	v_mul_u32_u24_e32 v7, 0xa0, v4
	v_add_nc_u32_e32 v6, v5, v6
	v_mul_lo_u32 v5, s26, v4
	v_ashrrev_i32_e32 v1, 31, v0
	v_ashrrev_i32_e32 v3, 31, v2
	v_lshl_or_b32 v8, v98, 2, v7
	v_mul_lo_u32 v7, s26, v6
	v_mul_u32_u24_e32 v10, 0xa0, v6
	v_cmp_gt_u32_e64 s5, 16, v6
	v_dual_mov_b32 v90, 0 :: v_dual_lshlrev_b32 v11, 2, v100
	v_dual_mov_b32 v106, 0 :: v_dual_add_nc_u32 v101, 0x1480, v8
	v_ashrrev_i32_e32 v6, 31, v5
	v_ashrrev_i32_e32 v8, 31, v7
	v_lshlrev_b64 v[69:70], 2, v[0:1]
	v_lshlrev_b64 v[71:72], 2, v[2:3]
	v_mul_u32_u24_e32 v91, 0x60, v79
	v_lshlrev_b64 v[73:74], 2, v[5:6]
	v_lshlrev_b64 v[75:76], 2, v[7:8]
	v_mul_u32_u24_e32 v92, 0x280, v80
	v_lshl_add_u32 v97, v80, 8, 0x20c0
	v_dual_mov_b32 v86, 0 :: v_dual_lshlrev_b32 v99, 3, v79
	v_cmp_gt_u32_e64 s4, 16, v4
	v_add3_u32 v102, v10, v11, 0x1400
	v_dual_mov_b32 v4, 0xfeffffff :: v_dual_lshlrev_b32 v103, 2, v9
	v_dual_mov_b32 v6, 0xfeffffff :: v_dual_mov_b32 v7, 0xfeffffff
	v_dual_mov_b32 v104, 0 :: v_dual_mov_b32 v5, 0xfeffffff
	v_mov_b32_e32 v107, 0
	v_mov_b32_e32 v105, 0
	s_addc_u32 s21, s6, s7
	s_add_u32 s16, s0, 0xd0
	s_addc_u32 s17, s1, 0
.LBB37_15:                              ; =>This Inner Loop Header: Depth=1
	s_mul_hi_i32 s7, s23, s27
	s_mul_i32 s6, s23, s27
	s_delay_alu instid0(SALU_CYCLE_1) | instskip(NEXT) | instid1(SALU_CYCLE_1)
	s_lshl_b64 s[8:9], s[6:7], 2
	s_add_u32 s7, s18, s8
	s_addc_u32 s8, s19, s9
	s_and_saveexec_b32 s9, vcc_lo
	s_cbranch_execz .LBB37_17
; %bb.16:                               ;   in Loop: Header=BB37_15 Depth=1
	v_add_co_u32 v0, s6, s7, v69
	s_delay_alu instid0(VALU_DEP_1)
	v_add_co_ci_u32_e64 v1, s6, s8, v70, s6
	global_load_b128 v[0:3], v[0:1], off offset:64
	s_waitcnt vmcnt(0)
	ds_store_b128 v93, v[0:3]
.LBB37_17:                              ;   in Loop: Header=BB37_15 Depth=1
	s_or_b32 exec_lo, exec_lo, s9
	s_and_saveexec_b32 s9, s3
	s_cbranch_execz .LBB37_19
; %bb.18:                               ;   in Loop: Header=BB37_15 Depth=1
	v_add_co_u32 v0, s6, s7, v71
	s_delay_alu instid0(VALU_DEP_1) | instskip(NEXT) | instid1(VALU_DEP_2)
	v_add_co_ci_u32_e64 v1, s6, s8, v72, s6
	v_add_co_u32 v0, s6, v0, v103
	s_delay_alu instid0(VALU_DEP_1)
	v_add_co_ci_u32_e64 v1, s6, 0, v1, s6
	global_load_b128 v[0:3], v[0:1], off
	s_waitcnt vmcnt(0)
	ds_store_b128 v94, v[0:3]
.LBB37_19:                              ;   in Loop: Header=BB37_15 Depth=1
	s_or_b32 exec_lo, exec_lo, s9
	s_waitcnt lgkmcnt(0)
	s_barrier
	buffer_gl0_inv
	ds_load_b128 v[8:11], v91 offset:5120
	ds_load_b128 v[12:15], v92
	ds_load_b128 v[16:19], v92 offset:160
	ds_load_b128 v[20:23], v92 offset:320
	;; [unrolled: 1-line block ×3, first 2 shown]
	v_dual_mov_b32 v0, 0 :: v_dual_mov_b32 v1, 0
	v_dual_mov_b32 v2, 0 :: v_dual_mov_b32 v3, 0
	s_waitcnt lgkmcnt(3)
	;;#ASMSTART
	v_dot2_f32_f16 v0, v8, v12, v0
	;;#ASMEND
	;;#ASMSTART
	v_dot2_f32_f16 v0, v9, v13, v0
	;;#ASMEND
	;;#ASMSTART
	v_dot2_f32_f16 v0, v10, v14, v0
	;;#ASMEND
	;;#ASMSTART
	v_dot2_f32_f16 v0, v11, v15, v0
	;;#ASMEND
	s_waitcnt lgkmcnt(2)
	;;#ASMSTART
	v_dot2_f32_f16 v1, v8, v16, v1
	;;#ASMEND
	;;#ASMSTART
	v_dot2_f32_f16 v1, v9, v17, v1
	;;#ASMEND
	;;#ASMSTART
	v_dot2_f32_f16 v1, v10, v18, v1
	;;#ASMEND
	;;#ASMSTART
	v_dot2_f32_f16 v1, v11, v19, v1
	;;#ASMEND
	s_waitcnt lgkmcnt(1)
	;;#ASMSTART
	v_dot2_f32_f16 v2, v8, v20, v2
	;;#ASMEND
	;;#ASMSTART
	v_dot2_f32_f16 v2, v9, v21, v2
	;;#ASMEND
	;;#ASMSTART
	v_dot2_f32_f16 v2, v10, v22, v2
	;;#ASMEND
	;;#ASMSTART
	v_dot2_f32_f16 v2, v11, v23, v2
	;;#ASMEND
	s_waitcnt lgkmcnt(0)
	;;#ASMSTART
	v_dot2_f32_f16 v3, v8, v24, v3
	;;#ASMEND
	;;#ASMSTART
	v_dot2_f32_f16 v3, v9, v25, v3
	;;#ASMEND
	;;#ASMSTART
	v_dot2_f32_f16 v3, v10, v26, v3
	;;#ASMEND
	;;#ASMSTART
	v_dot2_f32_f16 v3, v11, v27, v3
	;;#ASMEND
	ds_load_b128 v[8:11], v91 offset:5136
	ds_load_b128 v[12:15], v92 offset:16
	ds_load_b128 v[16:19], v92 offset:176
	ds_load_b128 v[20:23], v92 offset:336
	ds_load_b128 v[24:27], v92 offset:496
	s_waitcnt lgkmcnt(3)
	;;#ASMSTART
	v_dot2_f32_f16 v0, v8, v12, v0
	;;#ASMEND
	;;#ASMSTART
	v_dot2_f32_f16 v0, v9, v13, v0
	;;#ASMEND
	;;#ASMSTART
	v_dot2_f32_f16 v0, v10, v14, v0
	;;#ASMEND
	;;#ASMSTART
	v_dot2_f32_f16 v0, v11, v15, v0
	;;#ASMEND
	s_waitcnt lgkmcnt(2)
	;;#ASMSTART
	v_dot2_f32_f16 v1, v8, v16, v1
	;;#ASMEND
	;;#ASMSTART
	v_dot2_f32_f16 v1, v9, v17, v1
	;;#ASMEND
	;;#ASMSTART
	v_dot2_f32_f16 v1, v10, v18, v1
	;;#ASMEND
	;;#ASMSTART
	v_dot2_f32_f16 v1, v11, v19, v1
	;;#ASMEND
	s_waitcnt lgkmcnt(1)
	;;#ASMSTART
	v_dot2_f32_f16 v2, v8, v20, v2
	;;#ASMEND
	;;#ASMSTART
	v_dot2_f32_f16 v2, v9, v21, v2
	;;#ASMEND
	;;#ASMSTART
	v_dot2_f32_f16 v2, v10, v22, v2
	;;#ASMEND
	;;#ASMSTART
	v_dot2_f32_f16 v2, v11, v23, v2
	;;#ASMEND
	s_waitcnt lgkmcnt(0)
	;;#ASMSTART
	v_dot2_f32_f16 v3, v8, v24, v3
	;;#ASMEND
	;;#ASMSTART
	v_dot2_f32_f16 v3, v9, v25, v3
	;;#ASMEND
	;;#ASMSTART
	v_dot2_f32_f16 v3, v10, v26, v3
	;;#ASMEND
	;;#ASMSTART
	v_dot2_f32_f16 v3, v11, v27, v3
	;;#ASMEND
	ds_load_b128 v[8:11], v91 offset:5152
	ds_load_b128 v[12:15], v92 offset:32
	ds_load_b128 v[16:19], v92 offset:192
	ds_load_b128 v[20:23], v92 offset:352
	ds_load_b128 v[24:27], v92 offset:512
	;; [unrolled: 57-line block ×4, first 2 shown]
	s_waitcnt lgkmcnt(3)
	;;#ASMSTART
	v_dot2_f32_f16 v0, v8, v12, v0
	;;#ASMEND
	;;#ASMSTART
	v_dot2_f32_f16 v0, v9, v13, v0
	;;#ASMEND
	;;#ASMSTART
	v_dot2_f32_f16 v0, v10, v14, v0
	;;#ASMEND
	;;#ASMSTART
	v_dot2_f32_f16 v0, v11, v15, v0
	;;#ASMEND
	s_waitcnt lgkmcnt(2)
	;;#ASMSTART
	v_dot2_f32_f16 v1, v8, v16, v1
	;;#ASMEND
	;;#ASMSTART
	v_dot2_f32_f16 v1, v9, v17, v1
	;;#ASMEND
	;;#ASMSTART
	v_dot2_f32_f16 v1, v10, v18, v1
	;;#ASMEND
	;;#ASMSTART
	v_dot2_f32_f16 v1, v11, v19, v1
	;;#ASMEND
	s_waitcnt lgkmcnt(1)
	;;#ASMSTART
	v_dot2_f32_f16 v2, v8, v20, v2
	;;#ASMEND
	;;#ASMSTART
	v_dot2_f32_f16 v2, v9, v21, v2
	;;#ASMEND
	;;#ASMSTART
	v_dot2_f32_f16 v2, v10, v22, v2
	;;#ASMEND
	;;#ASMSTART
	v_dot2_f32_f16 v2, v11, v23, v2
	;;#ASMEND
	s_waitcnt lgkmcnt(0)
	;;#ASMSTART
	v_dot2_f32_f16 v3, v8, v24, v3
	;;#ASMEND
	;;#ASMSTART
	v_dot2_f32_f16 v3, v9, v25, v3
	;;#ASMEND
	;;#ASMSTART
	v_dot2_f32_f16 v3, v10, v26, v3
	;;#ASMEND
	;;#ASMSTART
	v_dot2_f32_f16 v3, v11, v27, v3
	;;#ASMEND
	s_barrier
	buffer_gl0_inv
	s_and_saveexec_b32 s9, vcc_lo
	s_cbranch_execz .LBB37_21
; %bb.20:                               ;   in Loop: Header=BB37_15 Depth=1
	v_add_co_u32 v8, s6, s7, v69
	s_delay_alu instid0(VALU_DEP_1)
	v_add_co_ci_u32_e64 v9, s6, s8, v70, s6
	global_load_b128 v[8:11], v[8:9], off offset:144
	s_waitcnt vmcnt(0)
	ds_store_b128 v93, v[8:11]
.LBB37_21:                              ;   in Loop: Header=BB37_15 Depth=1
	s_or_b32 exec_lo, exec_lo, s9
	s_and_saveexec_b32 s9, s3
	s_cbranch_execz .LBB37_23
; %bb.22:                               ;   in Loop: Header=BB37_15 Depth=1
	v_add_co_u32 v8, s6, s7, v71
	s_delay_alu instid0(VALU_DEP_1) | instskip(NEXT) | instid1(VALU_DEP_2)
	v_add_co_ci_u32_e64 v9, s6, s8, v72, s6
	v_add_co_u32 v8, s6, v8, v103
	s_delay_alu instid0(VALU_DEP_1)
	v_add_co_ci_u32_e64 v9, s6, 0, v9, s6
	global_load_b128 v[8:11], v[8:9], off offset:80
	s_waitcnt vmcnt(0)
	ds_store_b128 v94, v[8:11]
.LBB37_23:                              ;   in Loop: Header=BB37_15 Depth=1
	s_or_b32 exec_lo, exec_lo, s9
	s_waitcnt lgkmcnt(0)
	s_barrier
	buffer_gl0_inv
	ds_load_b128 v[8:11], v91 offset:5120
	ds_load_b128 v[12:15], v92 offset:80
	ds_load_b128 v[16:19], v92 offset:240
	ds_load_b128 v[20:23], v92 offset:400
	ds_load_b128 v[24:27], v92 offset:560
	v_add_nc_u32_e32 v29, s23, v79
	v_xor_b32_e32 v108, 16, v85
	v_xor_b32_e32 v109, 8, v85
	v_xor_b32_e32 v110, 4, v85
	v_xor_b32_e32 v111, 2, v85
	v_xor_b32_e32 v112, 1, v85
	s_mul_hi_i32 s37, s23, s26
	s_mul_i32 s36, s23, s26
	v_lshlrev_b32_e32 v124, 2, v98
	s_lshl_b64 s[36:37], s[36:37], 2
	s_waitcnt lgkmcnt(3)
	;;#ASMSTART
	v_dot2_f32_f16 v0, v8, v12, v0
	;;#ASMEND
	;;#ASMSTART
	v_dot2_f32_f16 v0, v9, v13, v0
	;;#ASMEND
	;;#ASMSTART
	v_dot2_f32_f16 v0, v10, v14, v0
	;;#ASMEND
	;;#ASMSTART
	v_dot2_f32_f16 v0, v11, v15, v0
	;;#ASMEND
	s_waitcnt lgkmcnt(2)
	;;#ASMSTART
	v_dot2_f32_f16 v1, v8, v16, v1
	;;#ASMEND
	;;#ASMSTART
	v_dot2_f32_f16 v1, v9, v17, v1
	;;#ASMEND
	;;#ASMSTART
	v_dot2_f32_f16 v1, v10, v18, v1
	;;#ASMEND
	;;#ASMSTART
	v_dot2_f32_f16 v1, v11, v19, v1
	;;#ASMEND
	;; [unrolled: 13-line block ×4, first 2 shown]
	ds_load_b128 v[8:11], v91 offset:5136
	ds_load_b128 v[12:15], v92 offset:96
	;; [unrolled: 1-line block ×5, first 2 shown]
	s_add_u32 s35, s20, s36
	s_addc_u32 s36, s21, s37
	s_waitcnt lgkmcnt(3)
	;;#ASMSTART
	v_dot2_f32_f16 v0, v8, v12, v0
	;;#ASMEND
	;;#ASMSTART
	v_dot2_f32_f16 v0, v9, v13, v0
	;;#ASMEND
	;;#ASMSTART
	v_dot2_f32_f16 v0, v10, v14, v0
	;;#ASMEND
	;;#ASMSTART
	v_dot2_f32_f16 v0, v11, v15, v0
	;;#ASMEND
	s_waitcnt lgkmcnt(2)
	;;#ASMSTART
	v_dot2_f32_f16 v1, v8, v16, v1
	;;#ASMEND
	;;#ASMSTART
	v_dot2_f32_f16 v1, v9, v17, v1
	;;#ASMEND
	;;#ASMSTART
	v_dot2_f32_f16 v1, v10, v18, v1
	;;#ASMEND
	;;#ASMSTART
	v_dot2_f32_f16 v1, v11, v19, v1
	;;#ASMEND
	s_waitcnt lgkmcnt(1)
	;;#ASMSTART
	v_dot2_f32_f16 v2, v8, v20, v2
	;;#ASMEND
	;;#ASMSTART
	v_dot2_f32_f16 v2, v9, v21, v2
	;;#ASMEND
	;;#ASMSTART
	v_dot2_f32_f16 v2, v10, v22, v2
	;;#ASMEND
	;;#ASMSTART
	v_dot2_f32_f16 v2, v11, v23, v2
	;;#ASMEND
	s_waitcnt lgkmcnt(0)
	;;#ASMSTART
	v_dot2_f32_f16 v3, v8, v24, v3
	;;#ASMEND
	;;#ASMSTART
	v_dot2_f32_f16 v3, v9, v25, v3
	;;#ASMEND
	;;#ASMSTART
	v_dot2_f32_f16 v3, v10, v26, v3
	;;#ASMEND
	;;#ASMSTART
	v_dot2_f32_f16 v3, v11, v27, v3
	;;#ASMEND
	ds_load_b128 v[8:11], v91 offset:5152
	ds_load_b128 v[12:15], v92 offset:112
	ds_load_b128 v[16:19], v92 offset:272
	ds_load_b128 v[20:23], v92 offset:432
	ds_load_b128 v[24:27], v92 offset:592
	s_waitcnt lgkmcnt(3)
	;;#ASMSTART
	v_dot2_f32_f16 v0, v8, v12, v0
	;;#ASMEND
	;;#ASMSTART
	v_dot2_f32_f16 v0, v9, v13, v0
	;;#ASMEND
	;;#ASMSTART
	v_dot2_f32_f16 v0, v10, v14, v0
	;;#ASMEND
	;;#ASMSTART
	v_dot2_f32_f16 v0, v11, v15, v0
	;;#ASMEND
	s_waitcnt lgkmcnt(2)
	;;#ASMSTART
	v_dot2_f32_f16 v1, v8, v16, v1
	;;#ASMEND
	;;#ASMSTART
	v_dot2_f32_f16 v1, v9, v17, v1
	;;#ASMEND
	;;#ASMSTART
	v_dot2_f32_f16 v1, v10, v18, v1
	;;#ASMEND
	;;#ASMSTART
	v_dot2_f32_f16 v1, v11, v19, v1
	;;#ASMEND
	s_waitcnt lgkmcnt(1)
	;;#ASMSTART
	v_dot2_f32_f16 v2, v8, v20, v2
	;;#ASMEND
	;;#ASMSTART
	v_dot2_f32_f16 v2, v9, v21, v2
	;;#ASMEND
	;;#ASMSTART
	v_dot2_f32_f16 v2, v10, v22, v2
	;;#ASMEND
	;;#ASMSTART
	v_dot2_f32_f16 v2, v11, v23, v2
	;;#ASMEND
	s_waitcnt lgkmcnt(0)
	;;#ASMSTART
	v_dot2_f32_f16 v3, v8, v24, v3
	;;#ASMEND
	;;#ASMSTART
	v_dot2_f32_f16 v3, v9, v25, v3
	;;#ASMEND
	;;#ASMSTART
	v_dot2_f32_f16 v3, v10, v26, v3
	;;#ASMEND
	;;#ASMSTART
	v_dot2_f32_f16 v3, v11, v27, v3
	;;#ASMEND
	ds_load_b128 v[8:11], v91 offset:5168
	ds_load_b128 v[12:15], v92 offset:128
	ds_load_b128 v[16:19], v92 offset:288
	ds_load_b128 v[20:23], v92 offset:448
	ds_load_b128 v[24:27], v92 offset:608
	;; [unrolled: 57-line block ×3, first 2 shown]
	s_waitcnt lgkmcnt(3)
	;;#ASMSTART
	v_dot2_f32_f16 v0, v8, v12, v0
	;;#ASMEND
	;;#ASMSTART
	v_dot2_f32_f16 v0, v9, v13, v0
	;;#ASMEND
	;;#ASMSTART
	v_dot2_f32_f16 v0, v10, v14, v0
	;;#ASMEND
	;;#ASMSTART
	v_dot2_f32_f16 v0, v11, v15, v0
	;;#ASMEND
	s_waitcnt lgkmcnt(2)
	;;#ASMSTART
	v_dot2_f32_f16 v1, v8, v16, v1
	;;#ASMEND
	;;#ASMSTART
	v_dot2_f32_f16 v1, v9, v17, v1
	;;#ASMEND
	;;#ASMSTART
	v_dot2_f32_f16 v1, v10, v18, v1
	;;#ASMEND
	;;#ASMSTART
	v_dot2_f32_f16 v1, v11, v19, v1
	;;#ASMEND
	;; [unrolled: 13-line block ×3, first 2 shown]
	s_waitcnt lgkmcnt(0)
	;;#ASMSTART
	v_dot2_f32_f16 v3, v8, v24, v3
	;;#ASMEND
	;;#ASMSTART
	v_dot2_f32_f16 v3, v9, v25, v3
	;;#ASMEND
	;; [unrolled: 3-line block ×3, first 2 shown]
	v_max_f32_e32 v10, v6, v6
	v_add_nc_u32_e32 v28, v29, v95
	v_dual_max_f32 v13, v7, v7 :: v_dual_add_nc_u32 v30, v29, v96
	;;#ASMSTART
	v_dot2_f32_f16 v3, v11, v27, v3
	;;#ASMEND
	v_max_f32_e32 v11, v4, v4
	s_delay_alu instid0(VALU_DEP_3) | instskip(NEXT) | instid1(VALU_DEP_3)
	v_ashrrev_i32_e32 v29, 31, v28
	v_ashrrev_i32_e32 v31, 31, v30
	s_delay_alu instid0(VALU_DEP_2) | instskip(NEXT) | instid1(VALU_DEP_2)
	v_lshlrev_b64 v[28:29], 1, v[28:29]
	v_lshlrev_b64 v[30:31], 1, v[30:31]
	s_delay_alu instid0(VALU_DEP_2) | instskip(NEXT) | instid1(VALU_DEP_1)
	v_add_co_u32 v28, s6, s42, v28
	v_add_co_ci_u32_e64 v29, s6, s43, v29, s6
	s_delay_alu instid0(VALU_DEP_3) | instskip(NEXT) | instid1(VALU_DEP_1)
	v_add_co_u32 v30, s6, s42, v30
	v_add_co_ci_u32_e64 v31, s6, s43, v31, s6
	s_clause 0x1
	flat_load_u16 v8, v[28:29]
	flat_load_u16 v9, v[30:31]
	v_cmp_gt_i32_e64 s6, 32, v108
	s_waitcnt vmcnt(0) lgkmcnt(0)
	s_barrier
	buffer_gl0_inv
	v_cvt_f32_f16_e32 v8, v8
	v_cvt_f32_f16_e32 v9, v9
	s_delay_alu instid0(VALU_DEP_1) | instskip(SKIP_3) | instid1(VALU_DEP_4)
	v_dual_add_f32 v14, v0, v8 :: v_dual_add_f32 v15, v3, v9
	v_max_f32_e32 v12, v5, v5
	v_cndmask_b32_e64 v0, v85, v108, s6
	v_dual_add_f32 v8, v1, v8 :: v_dual_add_f32 v9, v2, v9
	v_add_f32_e32 v1, 0x40051340, v14
	s_delay_alu instid0(VALU_DEP_3) | instskip(NEXT) | instid1(VALU_DEP_3)
	v_dual_add_f32 v3, 0x40051340, v15 :: v_dual_lshlrev_b32 v0, 2, v0
	v_add_f32_e32 v2, 0x40051340, v8
	s_delay_alu instid0(VALU_DEP_4) | instskip(NEXT) | instid1(VALU_DEP_4)
	v_add_f32_e32 v16, 0x40051340, v9
	v_max_f32_e32 v1, v11, v1
	s_delay_alu instid0(VALU_DEP_4)
	v_max_f32_e32 v3, v12, v3
	v_cmp_gt_i32_e64 s6, 32, v109
	ds_bpermute_b32 v11, v0, v1
	v_max_f32_e32 v2, v10, v2
	v_max_f32_e32 v10, v13, v16
	ds_bpermute_b32 v13, v0, v3
	v_cndmask_b32_e64 v16, v85, v109, s6
	v_cmp_gt_i32_e64 s6, 32, v110
	s_waitcnt lgkmcnt(1)
	s_delay_alu instid0(VALU_DEP_2) | instskip(SKIP_4) | instid1(VALU_DEP_2)
	v_dual_max_f32 v11, v11, v11 :: v_dual_lshlrev_b32 v16, 2, v16
	ds_bpermute_b32 v12, v0, v2
	s_waitcnt lgkmcnt(1)
	v_max_f32_e32 v13, v13, v13
	v_max_f32_e32 v1, v1, v11
	v_max_f32_e32 v3, v3, v13
	ds_bpermute_b32 v0, v0, v10
	s_waitcnt lgkmcnt(1)
	v_max_f32_e32 v12, v12, v12
	s_delay_alu instid0(VALU_DEP_1)
	v_max_f32_e32 v2, v2, v12
	ds_bpermute_b32 v12, v16, v3
	ds_bpermute_b32 v11, v16, v2
	s_waitcnt lgkmcnt(2)
	v_max_f32_e32 v0, v0, v0
	s_waitcnt lgkmcnt(0)
	v_dual_max_f32 v12, v12, v12 :: v_dual_max_f32 v11, v11, v11
	s_delay_alu instid0(VALU_DEP_2) | instskip(SKIP_3) | instid1(VALU_DEP_1)
	v_max_f32_e32 v0, v10, v0
	ds_bpermute_b32 v10, v16, v1
	s_waitcnt lgkmcnt(0)
	v_dual_max_f32 v3, v3, v12 :: v_dual_max_f32 v10, v10, v10
	v_max_f32_e32 v1, v1, v10
	ds_bpermute_b32 v13, v16, v0
	v_cndmask_b32_e64 v16, v85, v110, s6
	v_cmp_gt_i32_e64 s6, 32, v111
	s_waitcnt lgkmcnt(0)
	s_delay_alu instid0(VALU_DEP_2)
	v_dual_max_f32 v13, v13, v13 :: v_dual_lshlrev_b32 v16, 2, v16
	v_max_f32_e32 v2, v2, v11
	ds_bpermute_b32 v11, v16, v2
	s_waitcnt lgkmcnt(0)
	v_max_f32_e32 v11, v11, v11
	ds_bpermute_b32 v10, v16, v1
	ds_bpermute_b32 v12, v16, v3
	s_waitcnt lgkmcnt(1)
	v_max_f32_e32 v10, v10, v10
	s_waitcnt lgkmcnt(0)
	s_delay_alu instid0(VALU_DEP_1) | instskip(NEXT) | instid1(VALU_DEP_1)
	v_dual_max_f32 v1, v1, v10 :: v_dual_max_f32 v12, v12, v12
	v_dual_max_f32 v0, v0, v13 :: v_dual_max_f32 v3, v3, v12
	ds_bpermute_b32 v13, v16, v0
	v_cndmask_b32_e64 v16, v85, v111, s6
	v_cmp_gt_i32_e64 s6, 32, v112
	s_waitcnt lgkmcnt(0)
	s_delay_alu instid0(VALU_DEP_2) | instskip(NEXT) | instid1(VALU_DEP_1)
	v_dual_max_f32 v13, v13, v13 :: v_dual_lshlrev_b32 v16, 2, v16
	v_max_f32_e32 v0, v0, v13
	ds_bpermute_b32 v13, v16, v0
	s_waitcnt lgkmcnt(0)
	v_max_f32_e32 v13, v13, v13
	ds_bpermute_b32 v12, v16, v3
	ds_bpermute_b32 v10, v16, v1
	s_waitcnt lgkmcnt(1)
	v_max_f32_e32 v12, v12, v12
	v_max_f32_e32 v2, v2, v11
	s_waitcnt lgkmcnt(0)
	s_delay_alu instid0(VALU_DEP_2)
	v_dual_max_f32 v10, v10, v10 :: v_dual_max_f32 v3, v3, v12
	ds_bpermute_b32 v11, v16, v2
	v_cndmask_b32_e64 v16, v85, v112, s6
	v_max_f32_e32 v1, v1, v10
	s_waitcnt lgkmcnt(0)
	v_max_f32_e32 v11, v11, v11
	s_delay_alu instid0(VALU_DEP_1)
	v_max_f32_e32 v2, v2, v11
	v_lshlrev_b32_e32 v16, 2, v16
	ds_bpermute_b32 v11, v16, v2
	s_waitcnt lgkmcnt(0)
	v_dual_max_f32 v11, v11, v11 :: v_dual_max_f32 v10, v0, v13
	ds_bpermute_b32 v0, v16, v1
	s_waitcnt lgkmcnt(0)
	v_max_f32_e32 v0, v0, v0
	s_delay_alu instid0(VALU_DEP_1) | instskip(SKIP_3) | instid1(VALU_DEP_1)
	v_dual_max_f32 v0, v1, v0 :: v_dual_max_f32 v1, v2, v11
	ds_bpermute_b32 v13, v16, v10
	ds_bpermute_b32 v12, v16, v3
	v_sub_f32_e32 v123, v6, v1
	v_cmp_ngt_f32_e64 s8, 0xc2ce8ed0, v123
	v_cmp_nlt_f32_e64 s9, 0x42b17218, v123
	s_waitcnt lgkmcnt(1)
	v_max_f32_e32 v13, v13, v13
	s_delay_alu instid0(VALU_DEP_1) | instskip(NEXT) | instid1(VALU_DEP_1)
	v_max_f32_e32 v2, v10, v13
	v_sub_f32_e32 v120, v7, v2
	s_waitcnt lgkmcnt(0)
	v_dual_sub_f32 v7, v9, v2 :: v_dual_max_f32 v12, v12, v12
	s_delay_alu instid0(VALU_DEP_1) | instskip(NEXT) | instid1(VALU_DEP_2)
	v_mul_f32_e32 v11, 0x3fb8aa3b, v7
	v_max_f32_e32 v3, v3, v12
	s_delay_alu instid0(VALU_DEP_2) | instskip(NEXT) | instid1(VALU_DEP_2)
	v_fma_f32 v19, 0x3fb8aa3b, v7, -v11
	v_sub_f32_e32 v6, v15, v3
	v_sub_f32_e32 v8, v8, v1
	v_rndne_f32_e32 v20, v11
	v_sub_f32_e32 v121, v5, v3
	v_fmac_f32_e32 v19, 0x32a5705f, v7
	v_mul_f32_e32 v10, 0x3fb8aa3b, v6
	v_dual_mul_f32 v9, 0x3fb8aa3b, v8 :: v_dual_add_nc_u32 v16, v97, v99
	v_sub_f32_e32 v11, v11, v20
	v_cmp_ngt_f32_e64 s10, 0xc2ce8ed0, v8
	s_delay_alu instid0(VALU_DEP_4)
	v_fma_f32 v17, 0x3fb8aa3b, v6, -v10
	v_rndne_f32_e32 v18, v10
	v_rndne_f32_e32 v13, v9
	v_fma_f32 v12, 0x3fb8aa3b, v8, -v9
	v_add_f32_e32 v11, v11, v19
	v_dual_fmac_f32 v17, 0x32a5705f, v6 :: v_dual_sub_f32 v122, v4, v0
	s_delay_alu instid0(VALU_DEP_4) | instskip(NEXT) | instid1(VALU_DEP_4)
	v_dual_sub_f32 v9, v9, v13 :: v_dual_sub_f32 v4, v14, v0
	v_fmac_f32_e32 v12, 0x32a5705f, v8
	v_sub_f32_e32 v10, v10, v18
	v_exp_f32_e32 v11, v11
	v_cmp_ngt_f32_e64 s6, 0xc2ce8ed0, v122
	v_mul_f32_e32 v5, 0x3fb8aa3b, v4
	s_delay_alu instid0(VALU_DEP_3) | instskip(SKIP_2) | instid1(VALU_DEP_4)
	v_dual_add_f32 v9, v9, v12 :: v_dual_add_f32 v10, v10, v17
	v_cvt_i32_f32_e32 v12, v13
	v_cmp_nlt_f32_e64 s7, 0x42b17218, v122
	v_fma_f32 v14, 0x3fb8aa3b, v4, -v5
	v_rndne_f32_e32 v15, v5
	v_exp_f32_e32 v9, v9
	v_exp_f32_e32 v10, v10
	v_cmp_nlt_f32_e64 s11, 0x42b17218, v120
	v_cmp_ngt_f32_e64 s13, 0xc2ce8ed0, v121
	v_dual_sub_f32 v5, v5, v15 :: v_dual_fmac_f32 v14, 0x32a5705f, v4
	v_cvt_i32_f32_e32 v13, v15
	v_cvt_i32_f32_e32 v15, v20
	v_cmp_nlt_f32_e64 s12, 0x42b17218, v121
	s_delay_alu instid0(VALU_DEP_4) | instskip(NEXT) | instid1(TRANS32_DEP_2)
	v_add_f32_e32 v5, v5, v14
	v_ldexp_f32 v9, v9, v12
	v_cvt_i32_f32_e32 v14, v18
	v_ldexp_f32 v11, v11, v15
	s_delay_alu instid0(VALU_DEP_4) | instskip(NEXT) | instid1(VALU_DEP_3)
	v_exp_f32_e32 v5, v5
	v_cndmask_b32_e64 v9, 0, v9, s10
	v_cmp_ngt_f32_e64 s10, 0xc2ce8ed0, v4
	v_ldexp_f32 v10, v10, v14
	s_waitcnt_depctr 0xfff
	v_ldexp_f32 v5, v5, v13
	s_delay_alu instid0(VALU_DEP_1) | instskip(SKIP_1) | instid1(VALU_DEP_1)
	v_cndmask_b32_e64 v5, 0, v5, s10
	v_cmp_ngt_f32_e64 s10, 0xc2ce8ed0, v6
	v_cndmask_b32_e64 v10, 0, v10, s10
	v_cmp_ngt_f32_e64 s10, 0xc2ce8ed0, v7
	s_delay_alu instid0(VALU_DEP_1) | instskip(SKIP_1) | instid1(VALU_DEP_1)
	v_cndmask_b32_e64 v11, 0, v11, s10
	v_cmp_nlt_f32_e64 s10, 0x42b17218, v8
	v_cndmask_b32_e64 v114, 0x7f800000, v9, s10
	v_cmp_nlt_f32_e64 s10, 0x42b17218, v6
	s_delay_alu instid0(VALU_DEP_1) | instskip(SKIP_1) | instid1(VALU_DEP_1)
	v_cndmask_b32_e64 v113, 0x7f800000, v10, s10
	v_cmp_nlt_f32_e64 s10, 0x42b17218, v7
	v_cndmask_b32_e64 v115, 0x7f800000, v11, s10
	v_cmp_nlt_f32_e64 s10, 0x42b17218, v4
	v_cvt_f16_f32_e32 v4, v114
	s_delay_alu instid0(VALU_DEP_3) | instskip(NEXT) | instid1(VALU_DEP_3)
	v_cvt_f16_f32_e32 v6, v115
	v_cndmask_b32_e64 v116, 0x7f800000, v5, s10
	v_cvt_f16_f32_e32 v5, v113
	v_cmp_ngt_f32_e64 s10, 0xc2ce8ed0, v120
	s_delay_alu instid0(VALU_DEP_3) | instskip(NEXT) | instid1(VALU_DEP_3)
	v_cvt_f16_f32_e32 v7, v116
	v_pack_b32_f16 v5, v6, v5
	s_delay_alu instid0(VALU_DEP_2)
	v_pack_b32_f16 v4, v7, v4
	ds_store_b64 v16, v[4:5]
	s_and_saveexec_b32 s37, s4
	s_cbranch_execz .LBB37_25
; %bb.24:                               ;   in Loop: Header=BB37_15 Depth=1
	v_add_co_u32 v4, s15, s35, v73
	s_delay_alu instid0(VALU_DEP_1) | instskip(NEXT) | instid1(VALU_DEP_2)
	v_add_co_ci_u32_e64 v5, s15, s36, v74, s15
	v_add_co_u32 v4, s15, v4, v124
	s_delay_alu instid0(VALU_DEP_1)
	v_add_co_ci_u32_e64 v5, s15, 0, v5, s15
	global_load_b128 v[4:7], v[4:5], off offset:128
	s_waitcnt vmcnt(0)
	ds_store_b128 v101, v[4:7]
.LBB37_25:                              ;   in Loop: Header=BB37_15 Depth=1
	s_or_b32 exec_lo, exec_lo, s37
	v_lshlrev_b32_e32 v125, 2, v100
	s_and_saveexec_b32 s37, s5
	s_cbranch_execz .LBB37_27
; %bb.26:                               ;   in Loop: Header=BB37_15 Depth=1
	v_add_co_u32 v4, s15, s35, v75
	s_delay_alu instid0(VALU_DEP_1) | instskip(NEXT) | instid1(VALU_DEP_2)
	v_add_co_ci_u32_e64 v5, s15, s36, v76, s15
	v_add_co_u32 v4, s15, v4, v125
	s_delay_alu instid0(VALU_DEP_1)
	v_add_co_ci_u32_e64 v5, s15, 0, v5, s15
	global_load_b128 v[4:7], v[4:5], off
	s_waitcnt vmcnt(0)
	ds_store_b128 v102, v[4:7]
.LBB37_27:                              ;   in Loop: Header=BB37_15 Depth=1
	s_or_b32 exec_lo, exec_lo, s37
	v_add_nc_u32_e32 v119, 0x1000, v99
	v_add_nc_u32_e32 v118, 0x1400, v99
	s_waitcnt lgkmcnt(0)
	s_barrier
	buffer_gl0_inv
	ds_load_2addr_b64 v[56:59], v119 offset0:128 offset1:148
	ds_load_b128 v[60:63], v97
	ds_load_b128 v[48:51], v97 offset:16
	v_add_nc_u32_e32 v117, 0x1800, v99
	ds_load_b128 v[44:47], v97 offset:32
	ds_load_b128 v[36:39], v97 offset:48
	ds_load_2addr_b64 v[64:67], v119 offset0:168 offset1:188
	ds_load_2addr_b64 v[52:55], v119 offset0:208 offset1:228
	;; [unrolled: 1-line block ×5, first 2 shown]
	ds_load_b128 v[32:35], v97 offset:64
	ds_load_b128 v[24:27], v97 offset:80
	ds_load_2addr_b64 v[12:15], v117 offset0:112 offset1:132
	ds_load_2addr_b64 v[4:7], v117 offset0:152 offset1:172
	ds_load_b128 v[16:19], v97 offset:96
	ds_load_b128 v[8:11], v97 offset:112
	s_or_b32 s15, s23, 16
	s_waitcnt lgkmcnt(0)
	s_mul_hi_i32 s37, s15, s26
	s_mul_i32 s36, s15, s26
	s_barrier
	s_lshl_b64 s[36:37], s[36:37], 2
	buffer_gl0_inv
	s_add_u32 s35, s20, s36
	s_addc_u32 s36, s21, s37
	s_and_saveexec_b32 s37, s4
	s_cbranch_execz .LBB37_29
; %bb.28:                               ;   in Loop: Header=BB37_15 Depth=1
	v_add_co_u32 v126, s15, s35, v73
	s_delay_alu instid0(VALU_DEP_1) | instskip(NEXT) | instid1(VALU_DEP_2)
	v_add_co_ci_u32_e64 v127, s15, s36, v74, s15
	v_add_co_u32 v126, s15, v126, v124
	s_delay_alu instid0(VALU_DEP_1)
	v_add_co_ci_u32_e64 v127, s15, 0, v127, s15
	global_load_b128 v[126:129], v[126:127], off offset:128
	s_waitcnt vmcnt(0)
	ds_store_b128 v101, v[126:129]
.LBB37_29:                              ;   in Loop: Header=BB37_15 Depth=1
	s_or_b32 exec_lo, exec_lo, s37
	s_and_saveexec_b32 s37, s5
	s_cbranch_execz .LBB37_31
; %bb.30:                               ;   in Loop: Header=BB37_15 Depth=1
	v_add_co_u32 v124, s15, s35, v75
	s_delay_alu instid0(VALU_DEP_1) | instskip(NEXT) | instid1(VALU_DEP_2)
	v_add_co_ci_u32_e64 v126, s15, s36, v76, s15
	v_add_co_u32 v124, s15, v124, v125
	s_delay_alu instid0(VALU_DEP_1)
	v_add_co_ci_u32_e64 v125, s15, 0, v126, s15
	global_load_b128 v[124:127], v[124:125], off
	s_waitcnt vmcnt(0)
	ds_store_b128 v102, v[124:127]
.LBB37_31:                              ;   in Loop: Header=BB37_15 Depth=1
	s_or_b32 exec_lo, exec_lo, s37
	v_dual_mul_f32 v124, 0x3fb8aa3b, v122 :: v_dual_mul_f32 v125, 0x3fb8aa3b, v123
	v_mul_f32_e32 v130, 0x3fb8aa3b, v121
	s_waitcnt lgkmcnt(0)
	s_barrier
	s_delay_alu instid0(VALU_DEP_2) | instskip(SKIP_4) | instid1(VALU_DEP_4)
	v_fma_f32 v127, 0x3fb8aa3b, v122, -v124
	v_rndne_f32_e32 v128, v124
	v_fma_f32 v129, 0x3fb8aa3b, v123, -v125
	v_rndne_f32_e32 v131, v125
	v_mul_f32_e32 v126, 0x3fb8aa3b, v120
	v_dual_fmac_f32 v127, 0x32a5705f, v122 :: v_dual_sub_f32 v122, v124, v128
	v_fma_f32 v132, 0x3fb8aa3b, v121, -v130
	v_rndne_f32_e32 v133, v130
	v_sub_f32_e32 v125, v125, v131
	v_rndne_f32_e32 v124, v126
	v_fmac_f32_e32 v129, 0x32a5705f, v123
	v_fma_f32 v123, 0x3fb8aa3b, v120, -v126
	v_fmac_f32_e32 v132, 0x32a5705f, v121
	buffer_gl0_inv
	v_fmac_f32_e32 v123, 0x32a5705f, v120
	v_sub_f32_e32 v120, v126, v124
	v_sub_f32_e32 v121, v130, v133
	v_dual_add_f32 v122, v122, v127 :: v_dual_add_f32 v125, v125, v129
	v_cvt_i32_f32_e32 v126, v131
	s_delay_alu instid0(VALU_DEP_3) | instskip(NEXT) | instid1(VALU_DEP_3)
	v_dual_add_f32 v120, v120, v123 :: v_dual_add_f32 v121, v121, v132
	v_exp_f32_e32 v122, v122
	s_delay_alu instid0(VALU_DEP_3) | instskip(SKIP_1) | instid1(VALU_DEP_2)
	v_exp_f32_e32 v123, v125
	v_cvt_i32_f32_e32 v125, v128
	v_exp_f32_e32 v120, v120
	v_exp_f32_e32 v121, v121
	v_cvt_i32_f32_e32 v124, v124
	v_cvt_i32_f32_e32 v127, v133
	v_ldexp_f32 v122, v122, v125
	s_delay_alu instid0(TRANS32_DEP_3)
	v_ldexp_f32 v123, v123, v126
	s_waitcnt_depctr 0xfff
	v_ldexp_f32 v120, v120, v124
	v_ldexp_f32 v121, v121, v127
	v_cndmask_b32_e64 v122, 0, v122, s6
	v_cndmask_b32_e64 v123, 0, v123, s8
	s_delay_alu instid0(VALU_DEP_4) | instskip(NEXT) | instid1(VALU_DEP_4)
	v_cndmask_b32_e64 v120, 0, v120, s10
	v_cndmask_b32_e64 v121, 0, v121, s13
	s_delay_alu instid0(VALU_DEP_4) | instskip(NEXT) | instid1(VALU_DEP_4)
	;; [unrolled: 3-line block ×4, first 2 shown]
	v_fmac_f32_e32 v116, v106, v122
	v_fmac_f32_e32 v114, v107, v123
	v_cvt_f16_f32_e32 v106, v122
	v_cvt_f16_f32_e32 v107, v123
	v_fmac_f32_e32 v113, v104, v121
	v_fmac_f32_e32 v115, v105, v120
	v_cvt_f16_f32_e32 v105, v120
	v_cvt_f16_f32_e32 v104, v121
	v_pk_mul_f16 v120, v56, v60 op_sel_hi:[1,0]
	v_pk_mul_f16 v90, v106, v90 op_sel_hi:[0,1]
	;; [unrolled: 1-line block ×4, first 2 shown]
	v_pk_mul_f16 v121, v56, v60 op_sel:[0,1]
	v_pk_mul_f16 v122, v56, v61 op_sel_hi:[1,0]
	v_pk_mul_f16 v82, v104, v82 op_sel_hi:[0,1]
	v_pk_mul_f16 v81, v104, v81 op_sel_hi:[0,1]
	v_pk_fma_f16 v89, v106, v89, v120 op_sel_hi:[0,1,1]
	v_pk_fma_f16 v86, v107, v86, v121 op_sel_hi:[0,1,1]
	;; [unrolled: 1-line block ×3, first 2 shown]
	v_pk_fma_f16 v56, v56, v61, v82 op_sel:[0,1,0]
	v_pk_fma_f16 v82, v57, v60, v90 op_sel_hi:[1,0,1]
	v_pk_fma_f16 v60, v57, v60, v87 op_sel:[0,1,0]
	v_pk_fma_f16 v84, v57, v61, v84 op_sel_hi:[1,0,1]
	;; [unrolled: 2-line block ×55, first 2 shown]
	ds_load_2addr_b64 v[12:15], v119 offset0:128 offset1:148
	ds_load_b128 v[16:19], v97 offset:128
	v_pk_fma_f16 v21, v4, v8, v21 op_sel:[0,1,0]
	v_pk_fma_f16 v23, v4, v9, v23 op_sel_hi:[1,0,1]
	v_pk_fma_f16 v4, v4, v9, v24 op_sel:[0,1,0]
	v_pk_fma_f16 v20, v5, v8, v20 op_sel_hi:[1,0,1]
	;; [unrolled: 2-line block ×7, first 2 shown]
	v_pk_fma_f16 v35, v7, v11, v5 op_sel:[0,1,0]
	ds_load_b128 v[4:7], v97 offset:144
	ds_load_2addr_b64 v[8:11], v119 offset0:168 offset1:188
	ds_load_b128 v[20:23], v97 offset:160
	ds_load_b128 v[24:27], v97 offset:176
	s_waitcnt lgkmcnt(4)
	v_pk_fma_f16 v28, v12, v16, v28 op_sel_hi:[1,0,1]
	v_pk_fma_f16 v29, v12, v16, v29 op_sel:[0,1,0]
	v_pk_fma_f16 v30, v12, v17, v30 op_sel_hi:[1,0,1]
	v_pk_fma_f16 v12, v12, v17, v31 op_sel:[0,1,0]
	v_pk_fma_f16 v31, v13, v16, v32 op_sel_hi:[1,0,1]
	v_pk_fma_f16 v16, v13, v16, v33 op_sel:[0,1,0]
	v_pk_fma_f16 v32, v13, v17, v34 op_sel_hi:[1,0,1]
	v_pk_fma_f16 v13, v13, v17, v35 op_sel:[0,1,0]
	v_pk_fma_f16 v17, v14, v18, v28 op_sel_hi:[1,0,1]
	v_pk_fma_f16 v33, v14, v18, v29 op_sel:[0,1,0]
	v_pk_fma_f16 v34, v14, v19, v30 op_sel_hi:[1,0,1]
	v_pk_fma_f16 v12, v14, v19, v12 op_sel:[0,1,0]
	v_pk_fma_f16 v14, v15, v18, v31 op_sel_hi:[1,0,1]
	v_pk_fma_f16 v16, v15, v18, v16 op_sel:[0,1,0]
	ds_load_2addr_b64 v[28:31], v119 offset0:208 offset1:228
	v_pk_fma_f16 v18, v15, v19, v32 op_sel_hi:[1,0,1]
	v_pk_fma_f16 v13, v15, v19, v13 op_sel:[0,1,0]
	s_waitcnt lgkmcnt(3)
	v_pk_fma_f16 v15, v8, v4, v17 op_sel_hi:[1,0,1]
	v_pk_fma_f16 v17, v8, v4, v33 op_sel:[0,1,0]
	v_pk_fma_f16 v19, v8, v5, v34 op_sel_hi:[1,0,1]
	v_pk_fma_f16 v8, v8, v5, v12 op_sel:[0,1,0]
	;; [unrolled: 2-line block ×7, first 2 shown]
	v_pk_fma_f16 v6, v11, v7, v14 op_sel_hi:[1,0,1]
	ds_load_2addr_b64 v[12:15], v118 offset0:120 offset1:140
	v_pk_fma_f16 v5, v11, v7, v5 op_sel:[0,1,0]
	s_waitcnt lgkmcnt(1)
	v_pk_fma_f16 v7, v28, v20, v9 op_sel_hi:[1,0,1]
	v_pk_fma_f16 v9, v28, v20, v16 op_sel:[0,1,0]
	v_pk_fma_f16 v11, v28, v21, v17 op_sel_hi:[1,0,1]
	v_pk_fma_f16 v8, v28, v21, v8 op_sel:[0,1,0]
	;; [unrolled: 2-line block ×7, first 2 shown]
	v_pk_fma_f16 v28, v31, v23, v6 op_sel_hi:[1,0,1]
	ds_load_2addr_b64 v[4:7], v117 offset0:32 offset1:52
	ds_load_b128 v[8:11], v97 offset:192
	v_pk_fma_f16 v16, v31, v23, v16 op_sel:[0,1,0]
	s_waitcnt lgkmcnt(2)
	v_pk_fma_f16 v17, v12, v24, v17 op_sel_hi:[1,0,1]
	v_pk_fma_f16 v18, v12, v24, v18 op_sel:[0,1,0]
	v_pk_fma_f16 v19, v12, v25, v19 op_sel_hi:[1,0,1]
	v_pk_fma_f16 v12, v12, v25, v20 op_sel:[0,1,0]
	;; [unrolled: 2-line block ×7, first 2 shown]
	v_pk_fma_f16 v29, v15, v27, v22 op_sel_hi:[1,0,1]
	ds_load_2addr_b64 v[16:19], v117 offset0:72 offset1:92
	ds_load_b128 v[20:23], v97 offset:208
	v_pk_fma_f16 v13, v15, v27, v13 op_sel:[0,1,0]
	s_waitcnt lgkmcnt(2)
	v_pk_fma_f16 v15, v4, v8, v24 op_sel_hi:[1,0,1]
	v_pk_fma_f16 v24, v4, v8, v25 op_sel:[0,1,0]
	v_pk_fma_f16 v25, v4, v9, v28 op_sel_hi:[1,0,1]
	v_pk_fma_f16 v4, v4, v9, v12 op_sel:[0,1,0]
	;; [unrolled: 2-line block ×7, first 2 shown]
	ds_load_2addr_b64 v[12:15], v117 offset0:112 offset1:132
	ds_load_b128 v[24:27], v97 offset:224
	v_pk_fma_f16 v10, v7, v11, v28 op_sel_hi:[1,0,1]
	v_pk_fma_f16 v5, v7, v11, v5 op_sel:[0,1,0]
	s_waitcnt lgkmcnt(2)
	v_pk_fma_f16 v7, v16, v20, v9 op_sel_hi:[1,0,1]
	v_pk_fma_f16 v9, v16, v20, v29 op_sel:[0,1,0]
	v_pk_fma_f16 v11, v16, v21, v30 op_sel_hi:[1,0,1]
	v_pk_fma_f16 v4, v16, v21, v4 op_sel:[0,1,0]
	;; [unrolled: 2-line block ×8, first 2 shown]
	ds_load_b128 v[4:7], v97 offset:240
	ds_load_2addr_b64 v[8:11], v117 offset0:152 offset1:172
	s_waitcnt lgkmcnt(0)
	s_barrier
	buffer_gl0_inv
	s_load_b32 s6, s[16:17], 0x4
	v_pk_fma_f16 v16, v12, v24, v16 op_sel_hi:[1,0,1]
	v_pk_fma_f16 v17, v12, v24, v17 op_sel:[0,1,0]
	v_pk_fma_f16 v20, v12, v25, v20 op_sel_hi:[1,0,1]
	v_pk_fma_f16 v12, v12, v25, v18 op_sel:[0,1,0]
	;; [unrolled: 2-line block ×12, first 2 shown]
	s_waitcnt lgkmcnt(0)
	s_lshl_b32 s6, s6, 5
	v_pk_fma_f16 v89, v10, v6, v15 op_sel_hi:[1,0,1]
	v_pk_fma_f16 v86, v10, v6, v16 op_sel:[0,1,0]
	v_pk_fma_f16 v83, v10, v7, v17 op_sel_hi:[1,0,1]
	v_pk_fma_f16 v82, v10, v7, v8 op_sel:[0,1,0]
	;; [unrolled: 2-line block ×4, first 2 shown]
	s_add_i32 s23, s6, s23
	s_delay_alu instid0(SALU_CYCLE_1)
	s_cmp_ge_i32 s23, s40
	s_cbranch_scc1 .LBB37_33
; %bb.32:                               ;   in Loop: Header=BB37_15 Depth=1
	v_dual_mov_b32 v4, v0 :: v_dual_mov_b32 v7, v2
	v_dual_mov_b32 v6, v1 :: v_dual_mov_b32 v5, v3
	v_dual_mov_b32 v106, v116 :: v_dual_mov_b32 v107, v114
	v_dual_mov_b32 v105, v115 :: v_dual_mov_b32 v104, v113
	s_branch .LBB37_15
.LBB37_33:
	v_mov_b32_e32 v6, v85
.LBB37_34:
	v_cmp_lt_i32_e32 vcc_lo, v108, v88
	s_cmp_lg_u64 s[24:25], 0
	s_cselect_b32 s3, -1, 0
	s_cmp_eq_u32 s14, 0
	v_cndmask_b32_e32 v4, v6, v108, vcc_lo
	v_cmp_lt_i32_e32 vcc_lo, v109, v88
	s_cselect_b32 s4, -1, 0
	s_delay_alu instid0(SALU_CYCLE_1) | instskip(SKIP_2) | instid1(VALU_DEP_2)
	s_and_b32 s3, s4, s3
	v_cndmask_b32_e32 v9, v6, v109, vcc_lo
	v_cmp_lt_i32_e32 vcc_lo, v110, v88
	v_lshlrev_b32_e32 v9, 2, v9
	v_lshlrev_b32_e32 v4, 2, v4
	ds_bpermute_b32 v5, v4, v116
	s_waitcnt lgkmcnt(0)
	v_add_f32_e32 v5, v116, v5
	ds_bpermute_b32 v8, v4, v115
	ds_bpermute_b32 v7, v4, v114
	;; [unrolled: 1-line block ×4, first 2 shown]
	s_waitcnt lgkmcnt(2)
	v_dual_add_f32 v8, v115, v8 :: v_dual_add_f32 v7, v114, v7
	s_waitcnt lgkmcnt(1)
	v_add_f32_e32 v4, v113, v4
	ds_bpermute_b32 v12, v9, v8
	ds_bpermute_b32 v11, v9, v7
	;; [unrolled: 1-line block ×3, first 2 shown]
	v_cndmask_b32_e32 v13, v6, v110, vcc_lo
	s_waitcnt lgkmcnt(3)
	v_add_f32_e32 v5, v5, v10
	v_cmp_lt_i32_e32 vcc_lo, v111, v88
	s_waitcnt lgkmcnt(2)
	v_dual_add_f32 v8, v8, v12 :: v_dual_lshlrev_b32 v13, 2, v13
	s_waitcnt lgkmcnt(0)
	v_dual_add_f32 v4, v4, v9 :: v_dual_add_f32 v7, v7, v11
	ds_bpermute_b32 v11, v13, v8
	s_waitcnt lgkmcnt(0)
	v_add_f32_e32 v8, v8, v11
	ds_bpermute_b32 v12, v13, v4
	ds_bpermute_b32 v9, v13, v5
	s_waitcnt lgkmcnt(1)
	v_add_f32_e32 v4, v4, v12
	ds_bpermute_b32 v10, v13, v7
	v_cndmask_b32_e32 v13, v6, v111, vcc_lo
	v_cmp_lt_i32_e32 vcc_lo, v112, v88
	s_waitcnt lgkmcnt(1)
	v_dual_add_f32 v5, v5, v9 :: v_dual_cndmask_b32 v6, v6, v112
	s_and_b32 vcc_lo, exec_lo, s3
	s_delay_alu instid0(VALU_DEP_1)
	v_lshlrev_b32_e32 v6, 2, v6
	v_lshlrev_b32_e32 v13, 2, v13
	ds_bpermute_b32 v11, v13, v8
	s_waitcnt lgkmcnt(0)
	v_add_f32_e32 v8, v8, v11
	ds_bpermute_b32 v9, v13, v5
	ds_bpermute_b32 v12, v13, v4
	ds_bpermute_b32 v11, v6, v8
	s_waitcnt lgkmcnt(2)
	v_add_f32_e32 v5, v5, v9
	s_waitcnt lgkmcnt(1)
	v_add_f32_e32 v9, v4, v12
	ds_bpermute_b32 v4, v6, v5
	v_add_f32_e32 v7, v7, v10
	ds_bpermute_b32 v12, v6, v9
	s_waitcnt lgkmcnt(1)
	v_add_f32_e32 v4, v5, v4
	ds_bpermute_b32 v10, v13, v7
	s_waitcnt lgkmcnt(0)
	;; [unrolled: 3-line block ×3, first 2 shown]
	v_dual_add_f32 v6, v8, v11 :: v_dual_add_f32 v5, v7, v10
	v_add_f32_e32 v7, v9, v12
	s_cbranch_vccz .LBB37_36
; %bb.35:
	s_ashr_i32 s35, s34, 31
	v_dual_mov_b32 v8, 0 :: v_dual_max_f32 v9, v1, v1
	s_lshl_b64 s[4:5], s[34:35], 2
	v_max_f32_e32 v15, v3, v3
	s_add_u32 s4, s24, s4
	s_addc_u32 s5, s25, s5
	global_load_b64 v[12:13], v8, s[4:5]
	s_waitcnt vmcnt(0)
	v_dual_max_f32 v8, v0, v0 :: v_dual_max_f32 v11, v13, v13
	v_max_f32_e32 v10, v12, v12
	s_delay_alu instid0(VALU_DEP_2) | instskip(NEXT) | instid1(VALU_DEP_2)
	v_dual_max_f32 v14, v2, v2 :: v_dual_max_f32 v9, v9, v11
	v_dual_max_f32 v8, v8, v10 :: v_dual_max_f32 v11, v15, v11
	s_delay_alu instid0(VALU_DEP_2) | instskip(NEXT) | instid1(VALU_DEP_3)
	v_max_f32_e32 v10, v14, v10
	v_sub_f32_e32 v16, v1, v9
	s_delay_alu instid0(VALU_DEP_3) | instskip(NEXT) | instid1(VALU_DEP_3)
	v_dual_sub_f32 v14, v0, v8 :: v_dual_sub_f32 v17, v13, v9
	v_dual_sub_f32 v15, v12, v8 :: v_dual_sub_f32 v18, v2, v10
	;; [unrolled: 1-line block ×3, first 2 shown]
	v_dual_sub_f32 v19, v3, v11 :: v_dual_mov_b32 v0, v8
	v_mov_b32_e32 v3, v11
	v_dual_mov_b32 v1, v9 :: v_dual_mov_b32 v2, v10
	v_dual_mul_f32 v9, 0x3fb8aa3b, v15 :: v_dual_mul_f32 v8, 0x3fb8aa3b, v14
	v_dual_mul_f32 v11, 0x3fb8aa3b, v17 :: v_dual_mul_f32 v10, 0x3fb8aa3b, v16
	;; [unrolled: 1-line block ×3, first 2 shown]
	v_mul_f32_e32 v21, 0x3fb8aa3b, v12
	s_delay_alu instid0(VALU_DEP_4)
	v_fma_f32 v24, 0x3fb8aa3b, v14, -v8
	v_rndne_f32_e32 v25, v8
	v_fma_f32 v28, 0x3fb8aa3b, v16, -v10
	v_fma_f32 v26, 0x3fb8aa3b, v15, -v9
	v_fma_f32 v34, 0x3fb8aa3b, v12, -v21
	v_rndne_f32_e32 v35, v21
	v_rndne_f32_e32 v27, v9
	v_fma_f32 v30, 0x3fb8aa3b, v17, -v11
	v_rndne_f32_e32 v31, v11
	v_fmac_f32_e32 v24, 0x32a5705f, v14
	v_sub_f32_e32 v8, v8, v25
	v_dual_fmac_f32 v28, 0x32a5705f, v16 :: v_dual_sub_f32 v21, v21, v35
	v_dual_fmac_f32 v34, 0x32a5705f, v12 :: v_dual_sub_f32 v9, v9, v27
	;; [unrolled: 1-line block ×3, first 2 shown]
	s_delay_alu instid0(VALU_DEP_2) | instskip(SKIP_2) | instid1(VALU_DEP_4)
	v_dual_add_f32 v8, v8, v24 :: v_dual_add_f32 v21, v21, v34
	v_fmac_f32_e32 v26, 0x32a5705f, v15
	v_rndne_f32_e32 v29, v10
	v_dual_add_f32 v11, v11, v30 :: v_dual_mul_f32 v22, 0x3fb8aa3b, v19
	s_delay_alu instid0(VALU_DEP_4) | instskip(NEXT) | instid1(VALU_DEP_3)
	v_exp_f32_e32 v8, v8
	v_add_f32_e32 v9, v9, v26
	v_rndne_f32_e32 v39, v23
	v_cvt_i32_f32_e32 v25, v25
	v_sub_f32_e32 v10, v10, v29
	v_fma_f32 v32, 0x3fb8aa3b, v18, -v20
	v_exp_f32_e32 v9, v9
	v_rndne_f32_e32 v33, v20
	v_fma_f32 v38, 0x3fb8aa3b, v13, -v23
	v_sub_f32_e32 v23, v23, v39
	v_cvt_i32_f32_e32 v27, v27
	v_add_f32_e32 v10, v10, v28
	v_ldexp_f32 v8, v8, v25
	v_cmp_ngt_f32_e32 vcc_lo, 0xc2ce8ed0, v14
	v_fmac_f32_e32 v38, 0x32a5705f, v13
	v_sub_f32_e32 v20, v20, v33
	v_exp_f32_e32 v10, v10
	v_ldexp_f32 v9, v9, v27
	v_cndmask_b32_e32 v8, 0, v8, vcc_lo
	v_cmp_ngt_f32_e32 vcc_lo, 0xc2ce8ed0, v15
	v_fmac_f32_e32 v32, 0x32a5705f, v18
	v_cvt_i32_f32_e32 v29, v29
	v_add_f32_e32 v23, v23, v38
	v_exp_f32_e32 v11, v11
	s_delay_alu instid0(VALU_DEP_3)
	v_dual_cndmask_b32 v9, 0, v9 :: v_dual_add_f32 v20, v20, v32
	v_cvt_i32_f32_e32 v31, v31
	v_ldexp_f32 v10, v10, v29
	v_cmp_ngt_f32_e32 vcc_lo, 0xc2ce8ed0, v16
	v_cvt_i32_f32_e32 v33, v33
	v_exp_f32_e32 v20, v20
	v_exp_f32_e32 v21, v21
	v_exp_f32_e32 v23, v23
	v_ldexp_f32 v11, v11, v31
	v_cndmask_b32_e32 v10, 0, v10, vcc_lo
	v_cmp_ngt_f32_e32 vcc_lo, 0xc2ce8ed0, v17
	v_fma_f32 v36, 0x3fb8aa3b, v19, -v22
	v_rndne_f32_e32 v37, v22
	v_cvt_i32_f32_e32 v35, v35
	v_cvt_i32_f32_e32 v26, v39
	v_ldexp_f32 v20, v20, v33
	v_cndmask_b32_e32 v11, 0, v11, vcc_lo
	v_cmp_ngt_f32_e32 vcc_lo, 0xc2ce8ed0, v18
	v_ldexp_f32 v21, v21, v35
	v_ldexp_f32 v23, v23, v26
	v_sub_f32_e32 v22, v22, v37
	v_cvt_i32_f32_e32 v24, v37
	v_cndmask_b32_e32 v20, 0, v20, vcc_lo
	v_cmp_ngt_f32_e32 vcc_lo, 0xc2ce8ed0, v12
	v_dual_fmac_f32 v36, 0x32a5705f, v19 :: v_dual_cndmask_b32 v21, 0, v21
	s_delay_alu instid0(VALU_DEP_1) | instskip(SKIP_1) | instid1(VALU_DEP_2)
	v_add_f32_e32 v22, v22, v36
	v_cmp_ngt_f32_e32 vcc_lo, 0xc2ce8ed0, v19
	v_exp_f32_e32 v22, v22
	s_waitcnt_depctr 0xfff
	v_ldexp_f32 v22, v22, v24
	s_delay_alu instid0(VALU_DEP_1)
	v_cndmask_b32_e32 v22, 0, v22, vcc_lo
	v_cmp_ngt_f32_e32 vcc_lo, 0xc2ce8ed0, v13
	v_cndmask_b32_e32 v23, 0, v23, vcc_lo
	v_cmp_nlt_f32_e32 vcc_lo, 0x42b17218, v14
	v_cndmask_b32_e32 v14, 0x7f800000, v8, vcc_lo
	v_cmp_nlt_f32_e32 vcc_lo, 0x42b17218, v15
	;; [unrolled: 2-line block ×3, first 2 shown]
	s_delay_alu instid0(VALU_DEP_2)
	v_fmac_f32_e32 v8, v4, v14
	v_cndmask_b32_e32 v15, 0x7f800000, v10, vcc_lo
	v_cmp_nlt_f32_e32 vcc_lo, 0x42b17218, v17
	v_cvt_f16_f32_e32 v4, v14
	v_cndmask_b32_e32 v9, 0x7f800000, v11, vcc_lo
	v_cmp_nlt_f32_e32 vcc_lo, 0x42b17218, v18
	s_delay_alu instid0(VALU_DEP_3) | instskip(SKIP_1) | instid1(VALU_DEP_4)
	v_pk_mul_f16 v89, v4, v89 op_sel_hi:[0,1]
	v_pk_mul_f16 v90, v4, v90 op_sel_hi:[0,1]
	v_dual_mov_b32 v4, v8 :: v_dual_fmac_f32 v9, v5, v15
	v_cndmask_b32_e32 v16, 0x7f800000, v20, vcc_lo
	v_cmp_nlt_f32_e32 vcc_lo, 0x42b17218, v12
	v_cvt_f16_f32_e32 v5, v15
	v_cndmask_b32_e32 v10, 0x7f800000, v21, vcc_lo
	v_cmp_nlt_f32_e32 vcc_lo, 0x42b17218, v19
	s_delay_alu instid0(VALU_DEP_3) | instskip(SKIP_1) | instid1(VALU_DEP_4)
	v_pk_mul_f16 v86, v5, v86 op_sel_hi:[0,1]
	v_pk_mul_f16 v87, v5, v87 op_sel_hi:[0,1]
	v_dual_mov_b32 v5, v9 :: v_dual_fmac_f32 v10, v6, v16
	v_cndmask_b32_e32 v12, 0x7f800000, v22, vcc_lo
	v_cmp_nlt_f32_e32 vcc_lo, 0x42b17218, v13
	v_cvt_f16_f32_e32 v6, v16
	v_cndmask_b32_e32 v11, 0x7f800000, v23, vcc_lo
	s_delay_alu instid0(VALU_DEP_2) | instskip(SKIP_1) | instid1(VALU_DEP_3)
	v_pk_mul_f16 v83, v6, v83 op_sel_hi:[0,1]
	v_pk_mul_f16 v84, v6, v84 op_sel_hi:[0,1]
	v_dual_mov_b32 v6, v10 :: v_dual_fmac_f32 v11, v7, v12
	v_cvt_f16_f32_e32 v7, v12
	s_delay_alu instid0(VALU_DEP_1) | instskip(SKIP_1) | instid1(VALU_DEP_4)
	v_pk_mul_f16 v82, v7, v82 op_sel_hi:[0,1]
	v_pk_mul_f16 v81, v7, v81 op_sel_hi:[0,1]
	v_mov_b32_e32 v7, v11
	s_branch .LBB37_37
.LBB37_36:
	s_delay_alu instid0(VALU_DEP_1) | instskip(NEXT) | instid1(VALU_DEP_3)
	v_dual_mov_b32 v11, v7 :: v_dual_mov_b32 v10, v6
	v_dual_mov_b32 v9, v5 :: v_dual_mov_b32 v8, v4
.LBB37_37:
	v_lshlrev_b32_e32 v12, 1, v80
	s_mov_b32 s3, exec_lo
	s_delay_alu instid0(VALU_DEP_1) | instskip(NEXT) | instid1(VALU_DEP_1)
	v_add_nc_u32_e32 v13, s22, v12
	v_cmpx_gt_i32_e64 s38, v13
	s_cbranch_execz .LBB37_64
; %bb.38:
	s_load_b32 s1, s[0:1], 0xd4
	v_mov_b32_e32 v14, 1.0
	s_waitcnt lgkmcnt(0)
	s_cmp_lg_u32 s1, 1
	s_cselect_b32 s4, -1, 0
	s_cmp_eq_u32 s1, 1
	s_cselect_b32 s0, -1, 0
	s_and_b32 vcc_lo, exec_lo, s4
	s_cbranch_vccnz .LBB37_40
; %bb.39:
	v_div_scale_f32 v13, null, v4, v4, 1.0
	s_delay_alu instid0(VALU_DEP_1) | instskip(SKIP_2) | instid1(VALU_DEP_1)
	v_rcp_f32_e32 v14, v13
	s_waitcnt_depctr 0xfff
	v_fma_f32 v15, -v13, v14, 1.0
	v_fmac_f32_e32 v14, v15, v14
	v_div_scale_f32 v15, vcc_lo, 1.0, v4, 1.0
	s_delay_alu instid0(VALU_DEP_1) | instskip(NEXT) | instid1(VALU_DEP_1)
	v_mul_f32_e32 v16, v15, v14
	v_fma_f32 v17, -v13, v16, v15
	s_delay_alu instid0(VALU_DEP_1) | instskip(NEXT) | instid1(VALU_DEP_1)
	v_fmac_f32_e32 v16, v17, v14
	v_fma_f32 v13, -v13, v16, v15
	s_delay_alu instid0(VALU_DEP_1) | instskip(NEXT) | instid1(VALU_DEP_1)
	v_div_fmas_f32 v13, v13, v14, v16
	v_div_fixup_f32 v14, v13, v4, 1.0
.LBB37_40:
	s_mul_i32 s3, s33, s38
	s_delay_alu instid0(SALU_CYCLE_1) | instskip(NEXT) | instid1(SALU_CYCLE_1)
	s_add_i32 s3, s3, s22
	v_add_nc_u32_e32 v4, s3, v12
	s_delay_alu instid0(VALU_DEP_1) | instskip(NEXT) | instid1(VALU_DEP_1)
	v_mul_lo_u32 v4, v4, s39
	v_add_nc_u32_e32 v15, s34, v4
	s_delay_alu instid0(VALU_DEP_1)
	v_mad_u64_u32 v[12:13], null, s1, v15, s[14:15]
	s_and_saveexec_b32 s5, s2
	s_cbranch_execz .LBB37_42
; %bb.41:
	v_lshrrev_b32_e32 v13, 16, v90
	s_delay_alu instid0(VALU_DEP_2) | instskip(SKIP_2) | instid1(VALU_DEP_4)
	v_mad_u64_u32 v[15:16], null, 0x50, v12, v[68:69]
	v_lshrrev_b32_e32 v17, 16, v89
	v_cvt_f32_f16_e32 v20, v90
	v_cvt_f32_f16_e32 v13, v13
	v_mov_b32_e32 v16, 0
	v_cvt_f32_f16_e32 v22, v89
	v_cvt_f32_f16_e32 v21, v17
	s_delay_alu instid0(VALU_DEP_4) | instskip(NEXT) | instid1(VALU_DEP_4)
	v_mul_f32_e32 v17, v14, v13
	v_lshlrev_b64 v[18:19], 2, v[15:16]
	v_mul_f32_e32 v16, v14, v20
	s_delay_alu instid0(VALU_DEP_4) | instskip(SKIP_1) | instid1(VALU_DEP_4)
	v_mul_f32_e32 v15, v14, v21
	v_mul_f32_e32 v14, v14, v22
	v_add_co_u32 v18, vcc_lo, s28, v18
	v_add_co_ci_u32_e32 v19, vcc_lo, s29, v19, vcc_lo
	global_store_b128 v[18:19], v[14:17], off
.LBB37_42:
	s_or_b32 exec_lo, exec_lo, s5
	v_cmp_eq_u32_e32 vcc_lo, 0, v79
	s_and_b32 s4, vcc_lo, s4
	s_delay_alu instid0(SALU_CYCLE_1)
	s_and_saveexec_b32 s5, s4
	s_cbranch_execz .LBB37_44
; %bb.43:
	v_ashrrev_i32_e32 v13, 31, v12
	v_mov_b32_e32 v14, v0
	v_mov_b32_e32 v15, v8
	s_delay_alu instid0(VALU_DEP_3) | instskip(NEXT) | instid1(VALU_DEP_1)
	v_lshlrev_b64 v[12:13], 3, v[12:13]
	v_add_co_u32 v12, vcc_lo, s30, v12
	s_delay_alu instid0(VALU_DEP_2)
	v_add_co_ci_u32_e32 v13, vcc_lo, s31, v13, vcc_lo
	global_store_b64 v[12:13], v[14:15], off
.LBB37_44:
	s_or_b32 exec_lo, exec_lo, s5
	v_cndmask_b32_e64 v12, 0, 1, s0
	v_mov_b32_e32 v0, 1.0
	s_and_not1_b32 vcc_lo, exec_lo, s0
	s_cbranch_vccnz .LBB37_46
; %bb.45:
	v_div_scale_f32 v0, null, v5, v5, 1.0
	s_delay_alu instid0(VALU_DEP_1) | instskip(SKIP_2) | instid1(VALU_DEP_1)
	v_rcp_f32_e32 v8, v0
	s_waitcnt_depctr 0xfff
	v_fma_f32 v13, -v0, v8, 1.0
	v_fmac_f32_e32 v8, v13, v8
	v_div_scale_f32 v13, vcc_lo, 1.0, v5, 1.0
	s_delay_alu instid0(VALU_DEP_1) | instskip(NEXT) | instid1(VALU_DEP_1)
	v_mul_f32_e32 v14, v13, v8
	v_fma_f32 v15, -v0, v14, v13
	s_delay_alu instid0(VALU_DEP_1) | instskip(NEXT) | instid1(VALU_DEP_1)
	v_fmac_f32_e32 v14, v15, v8
	v_fma_f32 v0, -v0, v14, v13
	s_delay_alu instid0(VALU_DEP_1) | instskip(NEXT) | instid1(VALU_DEP_1)
	v_div_fmas_f32 v0, v0, v8, v14
	v_div_fixup_f32 v0, v0, v5, 1.0
.LBB37_46:
	s_add_i32 s0, s34, 1
	s_delay_alu instid0(SALU_CYCLE_1) | instskip(NEXT) | instid1(VALU_DEP_1)
	v_add_nc_u32_e32 v8, s0, v4
	v_mad_u64_u32 v[4:5], null, s1, v8, s[14:15]
	s_and_saveexec_b32 s5, s2
	s_cbranch_execz .LBB37_48
; %bb.47:
	s_delay_alu instid0(VALU_DEP_1)
	v_mad_u64_u32 v[13:14], null, 0x50, v4, v[68:69]
	v_cvt_f32_f16_e32 v15, v87
	v_mov_b32_e32 v14, 0
	v_lshrrev_b32_e32 v5, 16, v87
	v_lshrrev_b32_e32 v8, 16, v86
	v_cvt_f32_f16_e32 v19, v86
	v_mul_f32_e32 v15, v0, v15
	v_lshlrev_b64 v[17:18], 2, v[13:14]
	v_cvt_f32_f16_e32 v5, v5
	v_cvt_f32_f16_e32 v8, v8
	v_mul_f32_e32 v13, v0, v19
	s_delay_alu instid0(VALU_DEP_3) | instskip(SKIP_1) | instid1(VALU_DEP_4)
	v_mul_f32_e32 v16, v0, v5
	v_add_co_u32 v17, vcc_lo, s28, v17
	v_mul_f32_e32 v14, v0, v8
	v_add_co_ci_u32_e32 v18, vcc_lo, s29, v18, vcc_lo
	global_store_b128 v[17:18], v[13:16], off
.LBB37_48:
	s_or_b32 exec_lo, exec_lo, s5
	s_and_saveexec_b32 s5, s4
	s_cbranch_execz .LBB37_50
; %bb.49:
	s_delay_alu instid0(VALU_DEP_1) | instskip(SKIP_1) | instid1(VALU_DEP_2)
	v_ashrrev_i32_e32 v5, 31, v4
	v_mov_b32_e32 v8, v1
	v_lshlrev_b64 v[4:5], 3, v[4:5]
	s_delay_alu instid0(VALU_DEP_1) | instskip(NEXT) | instid1(VALU_DEP_2)
	v_add_co_u32 v4, vcc_lo, s30, v4
	v_add_co_ci_u32_e32 v5, vcc_lo, s31, v5, vcc_lo
	global_store_b64 v[4:5], v[8:9], off
.LBB37_50:
	s_or_b32 exec_lo, exec_lo, s5
	v_add_nc_u32_e32 v0, s22, v78
	s_delay_alu instid0(VALU_DEP_1)
	v_cmp_gt_i32_e32 vcc_lo, s38, v0
	s_and_b32 exec_lo, exec_lo, vcc_lo
	s_cbranch_execz .LBB37_64
; %bb.51:
	v_cmp_ne_u32_e32 vcc_lo, 1, v12
	v_mov_b32_e32 v4, 1.0
	s_cbranch_vccnz .LBB37_53
; %bb.52:
	v_div_scale_f32 v0, null, v6, v6, 1.0
	s_delay_alu instid0(VALU_DEP_1) | instskip(SKIP_2) | instid1(VALU_DEP_1)
	v_rcp_f32_e32 v1, v0
	s_waitcnt_depctr 0xfff
	v_fma_f32 v4, -v0, v1, 1.0
	v_fmac_f32_e32 v1, v4, v1
	v_div_scale_f32 v4, vcc_lo, 1.0, v6, 1.0
	s_delay_alu instid0(VALU_DEP_1) | instskip(NEXT) | instid1(VALU_DEP_1)
	v_mul_f32_e32 v5, v4, v1
	v_fma_f32 v8, -v0, v5, v4
	s_delay_alu instid0(VALU_DEP_1) | instskip(NEXT) | instid1(VALU_DEP_1)
	v_fmac_f32_e32 v5, v8, v1
	v_fma_f32 v0, -v0, v5, v4
	s_delay_alu instid0(VALU_DEP_1) | instskip(NEXT) | instid1(VALU_DEP_1)
	v_div_fmas_f32 v0, v0, v1, v5
	v_div_fixup_f32 v4, v0, v6, 1.0
.LBB37_53:
	v_add_nc_u32_e32 v0, s3, v78
	s_delay_alu instid0(VALU_DEP_1) | instskip(NEXT) | instid1(VALU_DEP_1)
	v_mad_u64_u32 v[5:6], null, v0, s39, s[34:35]
	v_mad_u64_u32 v[0:1], null, s1, v5, s[14:15]
	s_and_saveexec_b32 s5, s2
	s_cbranch_execz .LBB37_55
; %bb.54:
	s_delay_alu instid0(VALU_DEP_1)
	v_mad_u64_u32 v[5:6], null, 0x50, v0, v[68:69]
	v_cvt_f32_f16_e32 v9, v84
	v_mov_b32_e32 v6, 0
	v_lshrrev_b32_e32 v1, 16, v84
	v_lshrrev_b32_e32 v8, 16, v83
	v_cvt_f32_f16_e32 v13, v83
	v_mul_f32_e32 v15, v4, v9
	v_lshlrev_b64 v[5:6], 2, v[5:6]
	v_cvt_f32_f16_e32 v1, v1
	v_cvt_f32_f16_e32 v8, v8
	v_mul_f32_e32 v13, v4, v13
	s_delay_alu instid0(VALU_DEP_3) | instskip(NEXT) | instid1(VALU_DEP_3)
	v_mul_f32_e32 v16, v4, v1
	v_mul_f32_e32 v14, v4, v8
	v_add_co_u32 v4, vcc_lo, s28, v5
	v_add_co_ci_u32_e32 v5, vcc_lo, s29, v6, vcc_lo
	global_store_b128 v[4:5], v[13:16], off
.LBB37_55:
	s_or_b32 exec_lo, exec_lo, s5
	s_and_saveexec_b32 s5, s4
	s_cbranch_execz .LBB37_57
; %bb.56:
	s_delay_alu instid0(VALU_DEP_1) | instskip(SKIP_1) | instid1(VALU_DEP_2)
	v_ashrrev_i32_e32 v1, 31, v0
	v_mov_b32_e32 v9, v2
	v_lshlrev_b64 v[0:1], 3, v[0:1]
	s_delay_alu instid0(VALU_DEP_1) | instskip(NEXT) | instid1(VALU_DEP_2)
	v_add_co_u32 v0, vcc_lo, s30, v0
	v_add_co_ci_u32_e32 v1, vcc_lo, s31, v1, vcc_lo
	global_store_b64 v[0:1], v[9:10], off
.LBB37_57:
	s_or_b32 exec_lo, exec_lo, s5
	v_lshrrev_b32_e32 v0, 1, v77
	s_delay_alu instid0(VALU_DEP_1) | instskip(NEXT) | instid1(VALU_DEP_1)
	v_add_nc_u32_e32 v1, s22, v0
	v_cmp_gt_i32_e32 vcc_lo, s38, v1
	s_and_b32 exec_lo, exec_lo, vcc_lo
	s_cbranch_execz .LBB37_64
; %bb.58:
	v_cmp_ne_u32_e32 vcc_lo, 1, v12
	v_mov_b32_e32 v2, 1.0
	s_cbranch_vccnz .LBB37_60
; %bb.59:
	v_div_scale_f32 v1, null, v7, v7, 1.0
	s_delay_alu instid0(VALU_DEP_1) | instskip(SKIP_2) | instid1(VALU_DEP_1)
	v_rcp_f32_e32 v2, v1
	s_waitcnt_depctr 0xfff
	v_fma_f32 v4, -v1, v2, 1.0
	v_fmac_f32_e32 v2, v4, v2
	v_div_scale_f32 v4, vcc_lo, 1.0, v7, 1.0
	s_delay_alu instid0(VALU_DEP_1) | instskip(NEXT) | instid1(VALU_DEP_1)
	v_mul_f32_e32 v5, v4, v2
	v_fma_f32 v6, -v1, v5, v4
	s_delay_alu instid0(VALU_DEP_1) | instskip(NEXT) | instid1(VALU_DEP_1)
	v_fmac_f32_e32 v5, v6, v2
	v_fma_f32 v1, -v1, v5, v4
	s_delay_alu instid0(VALU_DEP_1) | instskip(NEXT) | instid1(VALU_DEP_1)
	v_div_fmas_f32 v1, v1, v2, v5
	v_div_fixup_f32 v2, v1, v7, 1.0
.LBB37_60:
	v_add_nc_u32_e32 v0, s3, v0
	s_delay_alu instid0(VALU_DEP_1) | instskip(NEXT) | instid1(VALU_DEP_1)
	v_mad_u64_u32 v[4:5], null, v0, s39, s[0:1]
	v_mad_u64_u32 v[0:1], null, s1, v4, s[14:15]
	s_and_saveexec_b32 s0, s2
	s_cbranch_execz .LBB37_62
; %bb.61:
	s_delay_alu instid0(VALU_DEP_1)
	v_mad_u64_u32 v[4:5], null, 0x50, v0, v[68:69]
	v_lshrrev_b32_e32 v6, 16, v82
	v_cvt_f32_f16_e32 v10, v81
	v_mov_b32_e32 v5, 0
	v_lshrrev_b32_e32 v1, 16, v81
	v_cvt_f32_f16_e32 v13, v82
	v_cvt_f32_f16_e32 v12, v6
	v_mul_f32_e32 v6, v2, v10
	v_lshlrev_b64 v[8:9], 2, v[4:5]
	v_cvt_f32_f16_e32 v1, v1
	v_mul_f32_e32 v4, v2, v13
	v_mul_f32_e32 v5, v2, v12
	s_delay_alu instid0(VALU_DEP_3)
	v_mul_f32_e32 v7, v2, v1
	v_add_co_u32 v1, vcc_lo, s28, v8
	v_add_co_ci_u32_e32 v2, vcc_lo, s29, v9, vcc_lo
	global_store_b128 v[1:2], v[4:7], off
.LBB37_62:
	s_or_b32 exec_lo, exec_lo, s0
	s_delay_alu instid0(SALU_CYCLE_1)
	s_and_b32 exec_lo, exec_lo, s4
	s_cbranch_execz .LBB37_64
; %bb.63:
	s_delay_alu instid0(VALU_DEP_1) | instskip(SKIP_1) | instid1(VALU_DEP_2)
	v_ashrrev_i32_e32 v1, 31, v0
	v_mov_b32_e32 v10, v3
	v_lshlrev_b64 v[0:1], 3, v[0:1]
	s_delay_alu instid0(VALU_DEP_1) | instskip(NEXT) | instid1(VALU_DEP_2)
	v_add_co_u32 v0, vcc_lo, s30, v0
	v_add_co_ci_u32_e32 v1, vcc_lo, s31, v1, vcc_lo
	global_store_b64 v[0:1], v[10:11], off
.LBB37_64:
	s_nop 0
	s_sendmsg sendmsg(MSG_DEALLOC_VGPRS)
	s_endpgm
	.section	.rodata,"a",@progbits
	.p2align	6, 0x0
	.amdhsa_kernel _ZL15flash_attn_tileILi80ELi80ELi16ELi2ELb0EEvPKcS1_S1_S1_S1_PKiPfP15HIP_vector_typeIfLj2EEffffjfiS5_IjLj3EEiiiiiiiiiiiliiliiiiil
		.amdhsa_group_segment_fixed_size 10432
		.amdhsa_private_segment_fixed_size 0
		.amdhsa_kernarg_size 464
		.amdhsa_user_sgpr_count 13
		.amdhsa_user_sgpr_dispatch_ptr 0
		.amdhsa_user_sgpr_queue_ptr 0
		.amdhsa_user_sgpr_kernarg_segment_ptr 1
		.amdhsa_user_sgpr_dispatch_id 0
		.amdhsa_user_sgpr_private_segment_size 0
		.amdhsa_wavefront_size32 1
		.amdhsa_uses_dynamic_stack 0
		.amdhsa_enable_private_segment 0
		.amdhsa_system_sgpr_workgroup_id_x 1
		.amdhsa_system_sgpr_workgroup_id_y 1
		.amdhsa_system_sgpr_workgroup_id_z 1
		.amdhsa_system_sgpr_workgroup_info 0
		.amdhsa_system_vgpr_workitem_id 1
		.amdhsa_next_free_vgpr 134
		.amdhsa_next_free_sgpr 48
		.amdhsa_reserve_vcc 1
		.amdhsa_float_round_mode_32 0
		.amdhsa_float_round_mode_16_64 0
		.amdhsa_float_denorm_mode_32 3
		.amdhsa_float_denorm_mode_16_64 3
		.amdhsa_dx10_clamp 1
		.amdhsa_ieee_mode 1
		.amdhsa_fp16_overflow 0
		.amdhsa_workgroup_processor_mode 1
		.amdhsa_memory_ordered 1
		.amdhsa_forward_progress 0
		.amdhsa_shared_vgpr_count 0
		.amdhsa_exception_fp_ieee_invalid_op 0
		.amdhsa_exception_fp_denorm_src 0
		.amdhsa_exception_fp_ieee_div_zero 0
		.amdhsa_exception_fp_ieee_overflow 0
		.amdhsa_exception_fp_ieee_underflow 0
		.amdhsa_exception_fp_ieee_inexact 0
		.amdhsa_exception_int_div_zero 0
	.end_amdhsa_kernel
	.section	.text._ZL15flash_attn_tileILi80ELi80ELi16ELi2ELb0EEvPKcS1_S1_S1_S1_PKiPfP15HIP_vector_typeIfLj2EEffffjfiS5_IjLj3EEiiiiiiiiiiiliiliiiiil,"axG",@progbits,_ZL15flash_attn_tileILi80ELi80ELi16ELi2ELb0EEvPKcS1_S1_S1_S1_PKiPfP15HIP_vector_typeIfLj2EEffffjfiS5_IjLj3EEiiiiiiiiiiiliiliiiiil,comdat
.Lfunc_end37:
	.size	_ZL15flash_attn_tileILi80ELi80ELi16ELi2ELb0EEvPKcS1_S1_S1_S1_PKiPfP15HIP_vector_typeIfLj2EEffffjfiS5_IjLj3EEiiiiiiiiiiiliiliiiiil, .Lfunc_end37-_ZL15flash_attn_tileILi80ELi80ELi16ELi2ELb0EEvPKcS1_S1_S1_S1_PKiPfP15HIP_vector_typeIfLj2EEffffjfiS5_IjLj3EEiiiiiiiiiiiliiliiiiil
                                        ; -- End function
	.section	.AMDGPU.csdata,"",@progbits
; Kernel info:
; codeLenInByte = 13728
; NumSgprs: 50
; NumVgprs: 134
; ScratchSize: 0
; MemoryBound: 0
; FloatMode: 240
; IeeeMode: 1
; LDSByteSize: 10432 bytes/workgroup (compile time only)
; SGPRBlocks: 6
; VGPRBlocks: 16
; NumSGPRsForWavesPerEU: 50
; NumVGPRsForWavesPerEU: 134
; Occupancy: 10
; WaveLimiterHint : 1
; COMPUTE_PGM_RSRC2:SCRATCH_EN: 0
; COMPUTE_PGM_RSRC2:USER_SGPR: 13
; COMPUTE_PGM_RSRC2:TRAP_HANDLER: 0
; COMPUTE_PGM_RSRC2:TGID_X_EN: 1
; COMPUTE_PGM_RSRC2:TGID_Y_EN: 1
; COMPUTE_PGM_RSRC2:TGID_Z_EN: 1
; COMPUTE_PGM_RSRC2:TIDIG_COMP_CNT: 1
	.section	.text._ZL33flash_attn_stream_k_fixup_uniformILi80ELi16ELi2EEvPfPK15HIP_vector_typeIfLj2EEiiiiiiS1_IjLj3EES5_S5_,"axG",@progbits,_ZL33flash_attn_stream_k_fixup_uniformILi80ELi16ELi2EEvPfPK15HIP_vector_typeIfLj2EEiiiiiiS1_IjLj3EES5_S5_,comdat
	.globl	_ZL33flash_attn_stream_k_fixup_uniformILi80ELi16ELi2EEvPfPK15HIP_vector_typeIfLj2EEiiiiiiS1_IjLj3EES5_S5_ ; -- Begin function _ZL33flash_attn_stream_k_fixup_uniformILi80ELi16ELi2EEvPfPK15HIP_vector_typeIfLj2EEiiiiiiS1_IjLj3EES5_S5_
	.p2align	8
	.type	_ZL33flash_attn_stream_k_fixup_uniformILi80ELi16ELi2EEvPfPK15HIP_vector_typeIfLj2EEiiiiiiS1_IjLj3EES5_S5_,@function
_ZL33flash_attn_stream_k_fixup_uniformILi80ELi16ELi2EEvPfPK15HIP_vector_typeIfLj2EEiiiiiiS1_IjLj3EES5_S5_: ; @_ZL33flash_attn_stream_k_fixup_uniformILi80ELi16ELi2EEvPfPK15HIP_vector_typeIfLj2EEiiiiiiS1_IjLj3EES5_S5_
; %bb.0:
	s_clause 0x1
	s_load_b256 s[4:11], s[0:1], 0x1c
	s_load_b128 s[16:19], s[0:1], 0x3c
	s_waitcnt lgkmcnt(0)
	s_mul_hi_u32 s2, s7, s13
	s_delay_alu instid0(SALU_CYCLE_1) | instskip(NEXT) | instid1(SALU_CYCLE_1)
	s_add_i32 s2, s13, s2
	s_lshr_b32 s2, s2, s8
	s_delay_alu instid0(SALU_CYCLE_1) | instskip(SKIP_2) | instid1(SALU_CYCLE_1)
	s_mul_i32 s3, s2, s9
	s_load_b64 s[8:9], s[0:1], 0x10
	s_sub_i32 s3, s13, s3
	s_mul_hi_u32 s7, s3, s10
	s_delay_alu instid0(SALU_CYCLE_1) | instskip(NEXT) | instid1(SALU_CYCLE_1)
	s_add_i32 s7, s3, s7
	s_lshr_b32 s7, s7, s11
	s_delay_alu instid0(SALU_CYCLE_1) | instskip(NEXT) | instid1(SALU_CYCLE_1)
	s_mul_i32 s10, s7, s16
	s_sub_i32 s3, s3, s10
	s_delay_alu instid0(SALU_CYCLE_1) | instskip(NEXT) | instid1(SALU_CYCLE_1)
	s_mul_hi_u32 s10, s3, s17
	s_add_i32 s10, s3, s10
	s_delay_alu instid0(SALU_CYCLE_1) | instskip(NEXT) | instid1(SALU_CYCLE_1)
	s_lshr_b32 s11, s10, s18
	s_mul_i32 s10, s11, s19
	s_lshl_b32 s11, s11, 1
	s_sub_i32 s10, s3, s10
	s_delay_alu instid0(SALU_CYCLE_1) | instskip(NEXT) | instid1(SALU_CYCLE_1)
	s_lshl_b32 s3, s10, 4
	s_add_i32 s3, s3, s14
	s_waitcnt lgkmcnt(0)
	s_cmp_lt_i32 s3, s8
	s_cselect_b32 s3, -1, 0
	s_add_i32 s11, s11, s15
	s_delay_alu instid0(SALU_CYCLE_1) | instskip(SKIP_1) | instid1(SALU_CYCLE_1)
	s_cmp_lt_i32 s11, s5
	s_cselect_b32 s12, -1, 0
	s_and_b32 s3, s3, s12
	s_delay_alu instid0(SALU_CYCLE_1)
	s_and_not1_b32 vcc_lo, exec_lo, s3
	s_cbranch_vccnz .LBB38_6
; %bb.1:
	s_mul_i32 s8, s2, s8
	s_mul_i32 s7, s7, s5
	s_add_i32 s8, s8, s14
	s_add_i32 s5, s11, s7
	s_mul_i32 s8, s8, s9
	s_load_b128 s[0:3], s[0:1], 0x0
	s_mul_i32 s7, s9, s10
	s_add_i32 s5, s5, s8
	s_mulk_i32 s7, 0x500
	s_mulk_i32 s5, 0x50
	s_lshl_b32 s9, s14, 1
	v_add3_u32 v1, s5, s7, v0
	s_mul_i32 s5, s13, s6
	s_delay_alu instid0(SALU_CYCLE_1) | instskip(NEXT) | instid1(VALU_DEP_1)
	s_add_i32 s10, s5, s6
	v_ashrrev_i32_e32 v2, 31, v1
	s_delay_alu instid0(VALU_DEP_1) | instskip(SKIP_1) | instid1(VALU_DEP_1)
	v_lshlrev_b64 v[1:2], 2, v[1:2]
	s_waitcnt lgkmcnt(0)
	v_add_co_u32 v1, vcc_lo, s0, v1
	s_delay_alu instid0(VALU_DEP_2) | instskip(SKIP_4) | instid1(SALU_CYCLE_1)
	v_add_co_ci_u32_e32 v2, vcc_lo, s1, v2, vcc_lo
	s_add_i32 s0, s9, s15
	s_lshl_b32 s1, s10, 5
	global_load_b32 v5, v[1:2], off
	s_add_i32 s0, s0, s1
	s_sub_i32 s0, s0, 32
	s_delay_alu instid0(SALU_CYCLE_1) | instskip(NEXT) | instid1(SALU_CYCLE_1)
	s_ashr_i32 s1, s0, 31
	s_lshl_b64 s[0:1], s[0:1], 3
	s_delay_alu instid0(SALU_CYCLE_1)
	s_add_u32 s0, s2, s0
	s_addc_u32 s1, s3, s1
	s_add_i32 s7, s10, -2
	s_load_b32 s11, s[0:1], 0x4
	s_cmp_lt_i32 s7, s5
	s_cbranch_scc1 .LBB38_4
; %bb.2:
	s_load_b32 s12, s[0:1], 0x0
	s_lshl_b32 s16, s4, 7
	s_mulk_i32 s14, 0xa0
	s_ashr_i32 s17, s16, 31
	s_waitcnt lgkmcnt(0)
	v_mov_b32_e32 v6, s11
	s_lshl_b64 s[0:1], s[16:17], 2
	s_delay_alu instid0(SALU_CYCLE_1)
	s_add_u32 s7, s2, s0
	s_addc_u32 s8, s3, s1
	s_add_i32 s13, s13, 1
	s_lshl_b32 s4, s4, 5
	s_mul_i32 s0, s6, s13
	s_mul_i32 s6, s15, 0x50
	s_lshl_b32 s1, s0, 5
	s_mulk_i32 s0, 0xa00
	s_add_i32 s6, s6, s14
	s_add_i32 s1, s15, s1
	;; [unrolled: 1-line block ×4, first 2 shown]
	v_add3_u32 v3, s6, v0, 0xffffec00
	v_mov_b32_e32 v0, s12
	s_add_i32 s0, s0, s9
	s_add_i32 s4, s10, -1
	s_sub_i32 s0, s0, 64
.LBB38_3:                               ; =>This Inner Loop Header: Depth=1
	s_delay_alu instid0(VALU_DEP_2) | instskip(SKIP_1) | instid1(SALU_CYCLE_1)
	v_ashrrev_i32_e32 v4, 31, v3
	s_ashr_i32 s1, s0, 31
	s_lshl_b64 s[10:11], s[0:1], 3
	s_delay_alu instid0(SALU_CYCLE_1) | instskip(NEXT) | instid1(VALU_DEP_1)
	s_add_u32 s10, s2, s10
	v_lshlrev_b64 v[7:8], 2, v[3:4]
	s_addc_u32 s11, s3, s11
	s_add_i32 s4, s4, -1
	s_sub_i32 s0, s0, 32
	s_cmp_le_i32 s4, s5
	s_load_b64 s[10:11], s[10:11], 0x0
	v_add_co_u32 v7, vcc_lo, s7, v7
	v_add_co_ci_u32_e32 v8, vcc_lo, s8, v8, vcc_lo
	global_load_b32 v4, v[7:8], off
	v_max_f32_e32 v7, v0, v0
	s_waitcnt lgkmcnt(0)
	v_max_f32_e64 v8, s10, s10
	s_delay_alu instid0(VALU_DEP_1) | instskip(NEXT) | instid1(VALU_DEP_1)
	v_max_f32_e32 v7, v7, v8
	v_sub_f32_e32 v8, s10, v7
	s_delay_alu instid0(VALU_DEP_1) | instskip(NEXT) | instid1(VALU_DEP_1)
	v_dual_sub_f32 v0, v0, v7 :: v_dual_mul_f32 v9, 0x3fb8aa3b, v8
	v_fma_f32 v10, 0x3fb8aa3b, v8, -v9
	v_rndne_f32_e32 v11, v9
	s_delay_alu instid0(VALU_DEP_3) | instskip(NEXT) | instid1(VALU_DEP_2)
	v_mul_f32_e32 v12, 0x3fb8aa3b, v0
	v_dual_fmac_f32 v10, 0x32a5705f, v8 :: v_dual_sub_f32 v9, v9, v11
	v_cvt_i32_f32_e32 v11, v11
	s_delay_alu instid0(VALU_DEP_3) | instskip(SKIP_1) | instid1(VALU_DEP_4)
	v_fma_f32 v13, 0x3fb8aa3b, v0, -v12
	v_rndne_f32_e32 v14, v12
	v_add_f32_e32 v9, v9, v10
	v_cmp_ngt_f32_e32 vcc_lo, 0xc2ce8ed0, v8
	s_delay_alu instid0(VALU_DEP_3) | instskip(NEXT) | instid1(VALU_DEP_3)
	v_sub_f32_e32 v10, v12, v14
	v_exp_f32_e32 v9, v9
	s_waitcnt_depctr 0xfff
	v_ldexp_f32 v9, v9, v11
	v_cvt_i32_f32_e32 v11, v14
	s_delay_alu instid0(VALU_DEP_2) | instskip(SKIP_1) | instid1(VALU_DEP_2)
	v_cndmask_b32_e32 v9, 0, v9, vcc_lo
	v_cmp_nlt_f32_e32 vcc_lo, 0x42b17218, v8
	v_cndmask_b32_e32 v9, 0x7f800000, v9, vcc_lo
	v_cmp_ngt_f32_e32 vcc_lo, 0xc2ce8ed0, v0
	v_fmac_f32_e32 v13, 0x32a5705f, v0
	s_delay_alu instid0(VALU_DEP_1) | instskip(NEXT) | instid1(VALU_DEP_1)
	v_add_f32_e32 v10, v10, v13
	v_exp_f32_e32 v10, v10
	s_waitcnt_depctr 0xfff
	v_ldexp_f32 v10, v10, v11
	s_delay_alu instid0(VALU_DEP_1)
	v_dual_mov_b32 v11, v6 :: v_dual_cndmask_b32 v10, 0, v10
	v_cmp_le_f32_e32 vcc_lo, 0xc1a00000, v8
	s_waitcnt vmcnt(1)
	v_dual_cndmask_b32 v8, 0, v9 :: v_dual_mov_b32 v9, v5
	v_cmp_nlt_f32_e32 vcc_lo, 0x42b17218, v0
	v_cndmask_b32_e32 v5, 0x7f800000, v10, vcc_lo
	s_delay_alu instid0(VALU_DEP_3) | instskip(SKIP_2) | instid1(VALU_DEP_3)
	v_mul_f32_e32 v10, s11, v8
	v_cmp_le_f32_e32 vcc_lo, 0xc1a00000, v0
	v_mov_b32_e32 v0, v7
	v_mov_b32_e32 v6, v10
	s_waitcnt vmcnt(0)
	v_dual_cndmask_b32 v12, 0, v5 :: v_dual_mul_f32 v5, v4, v8
	s_delay_alu instid0(VALU_DEP_1) | instskip(NEXT) | instid1(VALU_DEP_2)
	v_dual_fmac_f32 v6, v11, v12 :: v_dual_add_nc_u32 v3, 0xfffff600, v3
	v_fmac_f32_e32 v5, v9, v12
	s_cbranch_scc0 .LBB38_3
	s_branch .LBB38_5
.LBB38_4:
	s_waitcnt lgkmcnt(0)
	v_mov_b32_e32 v6, s11
.LBB38_5:
	s_waitcnt vmcnt(0)
	s_delay_alu instid0(VALU_DEP_1) | instskip(NEXT) | instid1(VALU_DEP_1)
	v_div_scale_f32 v0, null, v6, v6, v5
	v_rcp_f32_e32 v3, v0
	s_waitcnt_depctr 0xfff
	v_fma_f32 v4, -v0, v3, 1.0
	s_delay_alu instid0(VALU_DEP_1) | instskip(SKIP_1) | instid1(VALU_DEP_1)
	v_fmac_f32_e32 v3, v4, v3
	v_div_scale_f32 v4, vcc_lo, v5, v6, v5
	v_mul_f32_e32 v7, v4, v3
	s_delay_alu instid0(VALU_DEP_1) | instskip(NEXT) | instid1(VALU_DEP_1)
	v_fma_f32 v8, -v0, v7, v4
	v_fmac_f32_e32 v7, v8, v3
	s_delay_alu instid0(VALU_DEP_1) | instskip(NEXT) | instid1(VALU_DEP_1)
	v_fma_f32 v0, -v0, v7, v4
	v_div_fmas_f32 v0, v0, v3, v7
	s_delay_alu instid0(VALU_DEP_1)
	v_div_fixup_f32 v0, v0, v6, v5
	global_store_b32 v[1:2], v0, off
.LBB38_6:
	s_nop 0
	s_sendmsg sendmsg(MSG_DEALLOC_VGPRS)
	s_endpgm
	.section	.rodata,"a",@progbits
	.p2align	6, 0x0
	.amdhsa_kernel _ZL33flash_attn_stream_k_fixup_uniformILi80ELi16ELi2EEvPfPK15HIP_vector_typeIfLj2EEiiiiiiS1_IjLj3EES5_S5_
		.amdhsa_group_segment_fixed_size 0
		.amdhsa_private_segment_fixed_size 0
		.amdhsa_kernarg_size 76
		.amdhsa_user_sgpr_count 13
		.amdhsa_user_sgpr_dispatch_ptr 0
		.amdhsa_user_sgpr_queue_ptr 0
		.amdhsa_user_sgpr_kernarg_segment_ptr 1
		.amdhsa_user_sgpr_dispatch_id 0
		.amdhsa_user_sgpr_private_segment_size 0
		.amdhsa_wavefront_size32 1
		.amdhsa_uses_dynamic_stack 0
		.amdhsa_enable_private_segment 0
		.amdhsa_system_sgpr_workgroup_id_x 1
		.amdhsa_system_sgpr_workgroup_id_y 1
		.amdhsa_system_sgpr_workgroup_id_z 1
		.amdhsa_system_sgpr_workgroup_info 0
		.amdhsa_system_vgpr_workitem_id 0
		.amdhsa_next_free_vgpr 15
		.amdhsa_next_free_sgpr 20
		.amdhsa_reserve_vcc 1
		.amdhsa_float_round_mode_32 0
		.amdhsa_float_round_mode_16_64 0
		.amdhsa_float_denorm_mode_32 3
		.amdhsa_float_denorm_mode_16_64 3
		.amdhsa_dx10_clamp 1
		.amdhsa_ieee_mode 1
		.amdhsa_fp16_overflow 0
		.amdhsa_workgroup_processor_mode 1
		.amdhsa_memory_ordered 1
		.amdhsa_forward_progress 0
		.amdhsa_shared_vgpr_count 0
		.amdhsa_exception_fp_ieee_invalid_op 0
		.amdhsa_exception_fp_denorm_src 0
		.amdhsa_exception_fp_ieee_div_zero 0
		.amdhsa_exception_fp_ieee_overflow 0
		.amdhsa_exception_fp_ieee_underflow 0
		.amdhsa_exception_fp_ieee_inexact 0
		.amdhsa_exception_int_div_zero 0
	.end_amdhsa_kernel
	.section	.text._ZL33flash_attn_stream_k_fixup_uniformILi80ELi16ELi2EEvPfPK15HIP_vector_typeIfLj2EEiiiiiiS1_IjLj3EES5_S5_,"axG",@progbits,_ZL33flash_attn_stream_k_fixup_uniformILi80ELi16ELi2EEvPfPK15HIP_vector_typeIfLj2EEiiiiiiS1_IjLj3EES5_S5_,comdat
.Lfunc_end38:
	.size	_ZL33flash_attn_stream_k_fixup_uniformILi80ELi16ELi2EEvPfPK15HIP_vector_typeIfLj2EEiiiiiiS1_IjLj3EES5_S5_, .Lfunc_end38-_ZL33flash_attn_stream_k_fixup_uniformILi80ELi16ELi2EEvPfPK15HIP_vector_typeIfLj2EEiiiiiiS1_IjLj3EES5_S5_
                                        ; -- End function
	.section	.AMDGPU.csdata,"",@progbits
; Kernel info:
; codeLenInByte = 992
; NumSgprs: 22
; NumVgprs: 15
; ScratchSize: 0
; MemoryBound: 0
; FloatMode: 240
; IeeeMode: 1
; LDSByteSize: 0 bytes/workgroup (compile time only)
; SGPRBlocks: 2
; VGPRBlocks: 1
; NumSGPRsForWavesPerEU: 22
; NumVGPRsForWavesPerEU: 15
; Occupancy: 16
; WaveLimiterHint : 0
; COMPUTE_PGM_RSRC2:SCRATCH_EN: 0
; COMPUTE_PGM_RSRC2:USER_SGPR: 13
; COMPUTE_PGM_RSRC2:TRAP_HANDLER: 0
; COMPUTE_PGM_RSRC2:TGID_X_EN: 1
; COMPUTE_PGM_RSRC2:TGID_Y_EN: 1
; COMPUTE_PGM_RSRC2:TGID_Z_EN: 1
; COMPUTE_PGM_RSRC2:TIDIG_COMP_CNT: 0
	.section	.text._ZL33flash_attn_stream_k_fixup_generalILi80ELi16ELi2EEvPfPK15HIP_vector_typeIfLj2EEiiiiS1_IjLj3EES5_S5_S5_,"axG",@progbits,_ZL33flash_attn_stream_k_fixup_generalILi80ELi16ELi2EEvPfPK15HIP_vector_typeIfLj2EEiiiiS1_IjLj3EES5_S5_S5_,comdat
	.globl	_ZL33flash_attn_stream_k_fixup_generalILi80ELi16ELi2EEvPfPK15HIP_vector_typeIfLj2EEiiiiS1_IjLj3EES5_S5_S5_ ; -- Begin function _ZL33flash_attn_stream_k_fixup_generalILi80ELi16ELi2EEvPfPK15HIP_vector_typeIfLj2EEiiiiS1_IjLj3EES5_S5_S5_
	.p2align	8
	.type	_ZL33flash_attn_stream_k_fixup_generalILi80ELi16ELi2EEvPfPK15HIP_vector_typeIfLj2EEiiiiS1_IjLj3EES5_S5_S5_,@function
_ZL33flash_attn_stream_k_fixup_generalILi80ELi16ELi2EEvPfPK15HIP_vector_typeIfLj2EEiiiiS1_IjLj3EES5_S5_S5_: ; @_ZL33flash_attn_stream_k_fixup_generalILi80ELi16ELi2EEvPfPK15HIP_vector_typeIfLj2EEiiiiS1_IjLj3EES5_S5_S5_
; %bb.0:
	s_clause 0x1
	s_load_b128 s[4:7], s[0:1], 0x10
	s_load_b32 s20, s[0:1], 0x50
	s_mov_b32 s2, 0
	s_waitcnt lgkmcnt(0)
	s_mul_hi_i32 s3, s7, s13
	s_mul_i32 s12, s7, s13
	s_cmp_lg_u64 s[2:3], 0
	s_cbranch_scc0 .LBB39_21
; %bb.1:
	v_cvt_f32_ubyte0_e32 v1, 0
	v_cvt_f32_u32_e32 v2, s20
	s_sub_u32 s10, 0, s20
	s_subb_u32 s11, 0, 0
	s_delay_alu instid0(VALU_DEP_1) | instskip(NEXT) | instid1(VALU_DEP_1)
	v_fmamk_f32 v1, v1, 0x4f800000, v2
	v_rcp_f32_e32 v1, v1
	s_waitcnt_depctr 0xfff
	v_mul_f32_e32 v1, 0x5f7ffffc, v1
	s_delay_alu instid0(VALU_DEP_1) | instskip(NEXT) | instid1(VALU_DEP_1)
	v_mul_f32_e32 v2, 0x2f800000, v1
	v_trunc_f32_e32 v2, v2
	s_delay_alu instid0(VALU_DEP_1) | instskip(SKIP_1) | instid1(VALU_DEP_2)
	v_fmamk_f32 v1, v2, 0xcf800000, v1
	v_cvt_u32_f32_e32 v2, v2
	v_cvt_u32_f32_e32 v1, v1
	s_delay_alu instid0(VALU_DEP_2) | instskip(NEXT) | instid1(VALU_DEP_2)
	v_readfirstlane_b32 s8, v2
	v_readfirstlane_b32 s9, v1
	s_delay_alu instid0(VALU_DEP_2) | instskip(NEXT) | instid1(VALU_DEP_1)
	s_mul_i32 s16, s10, s8
	s_mul_hi_u32 s18, s10, s9
	s_mul_i32 s17, s11, s9
	s_add_i32 s16, s18, s16
	s_mul_i32 s19, s10, s9
	s_add_i32 s16, s16, s17
	s_mul_hi_u32 s18, s9, s19
	s_mul_hi_u32 s21, s8, s19
	s_mul_i32 s17, s8, s19
	s_mul_hi_u32 s19, s9, s16
	s_mul_i32 s9, s9, s16
	s_mul_hi_u32 s22, s8, s16
	s_add_u32 s9, s18, s9
	s_addc_u32 s18, 0, s19
	s_add_u32 s9, s9, s17
	s_mul_i32 s16, s8, s16
	s_addc_u32 s9, s18, s21
	s_addc_u32 s17, s22, 0
	s_add_u32 s9, s9, s16
	s_addc_u32 s16, 0, s17
	v_add_co_u32 v1, s9, v1, s9
	s_delay_alu instid0(VALU_DEP_1) | instskip(SKIP_1) | instid1(VALU_DEP_1)
	s_cmp_lg_u32 s9, 0
	s_addc_u32 s8, s8, s16
	v_readfirstlane_b32 s9, v1
	s_mul_i32 s16, s10, s8
	s_delay_alu instid0(VALU_DEP_1)
	s_mul_hi_u32 s17, s10, s9
	s_mul_i32 s11, s11, s9
	s_add_i32 s16, s17, s16
	s_mul_i32 s10, s10, s9
	s_add_i32 s16, s16, s11
	s_mul_hi_u32 s17, s8, s10
	s_mul_i32 s18, s8, s10
	s_mul_hi_u32 s10, s9, s10
	s_mul_hi_u32 s19, s9, s16
	s_mul_i32 s9, s9, s16
	s_mul_hi_u32 s11, s8, s16
	s_add_u32 s9, s10, s9
	s_addc_u32 s10, 0, s19
	s_add_u32 s9, s9, s18
	s_mul_i32 s16, s8, s16
	s_addc_u32 s9, s10, s17
	s_addc_u32 s10, s11, 0
	s_add_u32 s9, s9, s16
	s_addc_u32 s10, 0, s10
	v_add_co_u32 v1, s9, v1, s9
	s_delay_alu instid0(VALU_DEP_1) | instskip(SKIP_2) | instid1(SALU_CYCLE_1)
	s_cmp_lg_u32 s9, 0
	s_addc_u32 s16, s8, s10
	s_ashr_i32 s8, s3, 31
	s_add_u32 s10, s12, s8
	s_addc_u32 s11, s3, s8
	v_readfirstlane_b32 s3, v1
	s_mov_b32 s9, s8
	s_delay_alu instid0(SALU_CYCLE_1) | instskip(NEXT) | instid1(SALU_CYCLE_1)
	s_xor_b64 s[10:11], s[10:11], s[8:9]
	s_mul_i32 s18, s10, s16
	s_delay_alu instid0(VALU_DEP_1)
	s_mul_hi_u32 s19, s10, s3
	s_mul_hi_u32 s17, s10, s16
	;; [unrolled: 1-line block ×3, first 2 shown]
	s_mul_i32 s3, s11, s3
	s_add_u32 s18, s19, s18
	s_addc_u32 s17, 0, s17
	s_mul_hi_u32 s21, s11, s16
	s_add_u32 s3, s18, s3
	s_mul_i32 s16, s11, s16
	s_addc_u32 s3, s17, s22
	s_addc_u32 s17, s21, 0
	s_add_u32 s3, s3, s16
	s_addc_u32 s16, 0, s17
	s_mul_i32 s18, s20, s3
	s_add_u32 s17, s3, 1
	v_sub_co_u32 v1, s10, s10, s18
	s_mul_hi_u32 s18, s20, s3
	s_addc_u32 s19, s16, 0
	s_mul_i32 s21, s20, s16
	s_delay_alu instid0(VALU_DEP_1)
	v_sub_co_u32 v2, s22, v1, s20
	s_add_u32 s23, s3, 2
	s_addc_u32 s24, s16, 0
	s_add_i32 s18, s18, s21
	s_cmp_lg_u32 s10, 0
	v_readfirstlane_b32 s10, v2
	s_subb_u32 s11, s11, s18
	s_cmp_lg_u32 s22, 0
	s_subb_u32 s18, s11, 0
	s_delay_alu instid0(VALU_DEP_1) | instskip(SKIP_4) | instid1(SALU_CYCLE_1)
	s_cmp_ge_u32 s10, s20
	s_cselect_b32 s10, -1, 0
	s_cmp_eq_u32 s18, 0
	v_readfirstlane_b32 s18, v1
	s_cselect_b32 s10, s10, -1
	s_cmp_lg_u32 s10, 0
	s_cselect_b32 s10, s23, s17
	s_cselect_b32 s17, s24, s19
	s_cmp_ge_u32 s18, s20
	s_cselect_b32 s18, -1, 0
	s_cmp_eq_u32 s11, 0
	s_cselect_b32 s11, s18, -1
	s_delay_alu instid0(SALU_CYCLE_1) | instskip(SKIP_2) | instid1(SALU_CYCLE_1)
	s_cmp_lg_u32 s11, 0
	s_cselect_b32 s11, s17, s16
	s_cselect_b32 s10, s10, s3
	s_xor_b64 s[10:11], s[10:11], s[8:9]
	s_delay_alu instid0(SALU_CYCLE_1)
	s_sub_u32 s16, s10, s8
	s_load_b128 s[8:11], s[0:1], 0x44
	s_and_not1_b32 vcc_lo, exec_lo, s2
	s_cbranch_vccnz .LBB39_3
.LBB39_2:
	v_cvt_f32_u32_e32 v1, s20
	s_sub_i32 s3, 0, s20
	s_delay_alu instid0(VALU_DEP_1) | instskip(SKIP_2) | instid1(VALU_DEP_1)
	v_rcp_iflag_f32_e32 v1, v1
	s_waitcnt_depctr 0xfff
	v_mul_f32_e32 v1, 0x4f7ffffe, v1
	v_cvt_u32_f32_e32 v1, v1
	s_delay_alu instid0(VALU_DEP_1) | instskip(NEXT) | instid1(VALU_DEP_1)
	v_readfirstlane_b32 s2, v1
	s_mul_i32 s3, s3, s2
	s_delay_alu instid0(SALU_CYCLE_1) | instskip(NEXT) | instid1(SALU_CYCLE_1)
	s_mul_hi_u32 s3, s2, s3
	s_add_i32 s2, s2, s3
	s_delay_alu instid0(SALU_CYCLE_1) | instskip(NEXT) | instid1(SALU_CYCLE_1)
	s_mul_hi_u32 s2, s12, s2
	s_mul_i32 s3, s2, s20
	s_waitcnt lgkmcnt(0)
	s_add_i32 s11, s2, 1
	s_sub_i32 s3, s12, s3
	s_delay_alu instid0(SALU_CYCLE_1)
	s_sub_i32 s12, s3, s20
	s_cmp_ge_u32 s3, s20
	s_cselect_b32 s2, s11, s2
	s_cselect_b32 s3, s12, s3
	s_add_i32 s11, s2, 1
	s_cmp_ge_u32 s3, s20
	s_cselect_b32 s16, s11, s2
.LBB39_3:
	s_waitcnt lgkmcnt(0)
	s_add_i32 s11, s13, 1
	s_mov_b32 s2, 0
	s_mul_hi_i32 s3, s7, s11
	s_mul_i32 s11, s7, s11
	s_cmp_lg_u64 s[2:3], 0
	s_cbranch_scc0 .LBB39_22
; %bb.4:
	v_cvt_f32_ubyte0_e32 v1, 0
	v_cvt_f32_u32_e32 v2, s20
	s_sub_u32 s18, 0, s20
	s_subb_u32 s19, 0, 0
	s_delay_alu instid0(VALU_DEP_1) | instskip(NEXT) | instid1(VALU_DEP_1)
	v_fmamk_f32 v1, v1, 0x4f800000, v2
	v_rcp_f32_e32 v1, v1
	s_waitcnt_depctr 0xfff
	v_mul_f32_e32 v1, 0x5f7ffffc, v1
	s_delay_alu instid0(VALU_DEP_1) | instskip(NEXT) | instid1(VALU_DEP_1)
	v_mul_f32_e32 v2, 0x2f800000, v1
	v_trunc_f32_e32 v2, v2
	s_delay_alu instid0(VALU_DEP_1) | instskip(SKIP_1) | instid1(VALU_DEP_2)
	v_fmamk_f32 v1, v2, 0xcf800000, v1
	v_cvt_u32_f32_e32 v2, v2
	v_cvt_u32_f32_e32 v1, v1
	s_delay_alu instid0(VALU_DEP_2) | instskip(NEXT) | instid1(VALU_DEP_2)
	v_readfirstlane_b32 s12, v2
	v_readfirstlane_b32 s17, v1
	s_delay_alu instid0(VALU_DEP_2) | instskip(NEXT) | instid1(VALU_DEP_1)
	s_mul_i32 s21, s18, s12
	s_mul_hi_u32 s23, s18, s17
	s_mul_i32 s22, s19, s17
	s_add_i32 s21, s23, s21
	s_mul_i32 s24, s18, s17
	s_add_i32 s21, s21, s22
	s_mul_hi_u32 s23, s17, s24
	s_mul_hi_u32 s25, s12, s24
	s_mul_i32 s22, s12, s24
	s_mul_hi_u32 s24, s17, s21
	s_mul_i32 s17, s17, s21
	s_mul_hi_u32 s26, s12, s21
	s_add_u32 s17, s23, s17
	s_addc_u32 s23, 0, s24
	s_add_u32 s17, s17, s22
	s_mul_i32 s21, s12, s21
	s_addc_u32 s17, s23, s25
	s_addc_u32 s22, s26, 0
	s_add_u32 s17, s17, s21
	s_addc_u32 s21, 0, s22
	v_add_co_u32 v1, s17, v1, s17
	s_delay_alu instid0(VALU_DEP_1) | instskip(SKIP_1) | instid1(VALU_DEP_1)
	s_cmp_lg_u32 s17, 0
	s_addc_u32 s12, s12, s21
	v_readfirstlane_b32 s17, v1
	s_mul_i32 s21, s18, s12
	s_delay_alu instid0(VALU_DEP_1)
	s_mul_hi_u32 s22, s18, s17
	s_mul_i32 s19, s19, s17
	s_add_i32 s21, s22, s21
	s_mul_i32 s18, s18, s17
	s_add_i32 s21, s21, s19
	s_mul_hi_u32 s22, s12, s18
	s_mul_i32 s23, s12, s18
	s_mul_hi_u32 s18, s17, s18
	s_mul_hi_u32 s24, s17, s21
	s_mul_i32 s17, s17, s21
	s_mul_hi_u32 s19, s12, s21
	s_add_u32 s17, s18, s17
	s_addc_u32 s18, 0, s24
	s_add_u32 s17, s17, s23
	s_mul_i32 s21, s12, s21
	s_addc_u32 s17, s18, s22
	s_addc_u32 s18, s19, 0
	s_add_u32 s17, s17, s21
	s_addc_u32 s18, 0, s18
	v_add_co_u32 v1, s17, v1, s17
	s_delay_alu instid0(VALU_DEP_1) | instskip(SKIP_2) | instid1(SALU_CYCLE_1)
	s_cmp_lg_u32 s17, 0
	s_addc_u32 s12, s12, s18
	s_ashr_i32 s18, s3, 31
	s_add_u32 s22, s11, s18
	s_addc_u32 s23, s3, s18
	v_readfirstlane_b32 s3, v1
	s_mov_b32 s19, s18
	s_delay_alu instid0(SALU_CYCLE_1) | instskip(NEXT) | instid1(SALU_CYCLE_1)
	s_xor_b64 s[22:23], s[22:23], s[18:19]
	s_mul_i32 s21, s22, s12
	s_delay_alu instid0(VALU_DEP_1)
	s_mul_hi_u32 s24, s22, s3
	s_mul_hi_u32 s17, s22, s12
	;; [unrolled: 1-line block ×3, first 2 shown]
	s_mul_i32 s3, s23, s3
	s_add_u32 s21, s24, s21
	s_addc_u32 s17, 0, s17
	s_mul_hi_u32 s25, s23, s12
	s_add_u32 s3, s21, s3
	s_mul_i32 s12, s23, s12
	s_addc_u32 s3, s17, s26
	s_addc_u32 s17, s25, 0
	s_add_u32 s3, s3, s12
	s_addc_u32 s12, 0, s17
	s_mul_i32 s21, s20, s3
	s_add_u32 s17, s3, 1
	v_sub_co_u32 v1, s21, s22, s21
	s_mul_hi_u32 s22, s20, s3
	s_addc_u32 s24, s12, 0
	s_mul_i32 s25, s20, s12
	s_delay_alu instid0(VALU_DEP_1)
	v_sub_co_u32 v2, s26, v1, s20
	s_add_u32 s27, s3, 2
	s_addc_u32 s28, s12, 0
	s_add_i32 s22, s22, s25
	s_cmp_lg_u32 s21, 0
	v_readfirstlane_b32 s21, v2
	s_subb_u32 s22, s23, s22
	s_cmp_lg_u32 s26, 0
	s_subb_u32 s23, s22, 0
	s_delay_alu instid0(VALU_DEP_1) | instskip(SKIP_4) | instid1(SALU_CYCLE_1)
	s_cmp_ge_u32 s21, s20
	s_cselect_b32 s21, -1, 0
	s_cmp_eq_u32 s23, 0
	v_readfirstlane_b32 s23, v1
	s_cselect_b32 s21, s21, -1
	s_cmp_lg_u32 s21, 0
	s_cselect_b32 s17, s27, s17
	s_cselect_b32 s21, s28, s24
	s_cmp_ge_u32 s23, s20
	s_cselect_b32 s23, -1, 0
	s_cmp_eq_u32 s22, 0
	s_cselect_b32 s22, s23, -1
	s_delay_alu instid0(SALU_CYCLE_1) | instskip(SKIP_2) | instid1(SALU_CYCLE_1)
	s_cmp_lg_u32 s22, 0
	s_cselect_b32 s23, s21, s12
	s_cselect_b32 s22, s17, s3
	s_xor_b64 s[22:23], s[22:23], s[18:19]
	s_delay_alu instid0(SALU_CYCLE_1)
	s_sub_u32 s18, s22, s18
	s_and_not1_b32 vcc_lo, exec_lo, s2
	s_cbranch_vccnz .LBB39_6
.LBB39_5:
	v_cvt_f32_u32_e32 v1, s20
	s_sub_i32 s3, 0, s20
	s_delay_alu instid0(VALU_DEP_1) | instskip(SKIP_2) | instid1(VALU_DEP_1)
	v_rcp_iflag_f32_e32 v1, v1
	s_waitcnt_depctr 0xfff
	v_mul_f32_e32 v1, 0x4f7ffffe, v1
	v_cvt_u32_f32_e32 v1, v1
	s_delay_alu instid0(VALU_DEP_1) | instskip(NEXT) | instid1(VALU_DEP_1)
	v_readfirstlane_b32 s2, v1
	s_mul_i32 s3, s3, s2
	s_delay_alu instid0(SALU_CYCLE_1) | instskip(NEXT) | instid1(SALU_CYCLE_1)
	s_mul_hi_u32 s3, s2, s3
	s_add_i32 s2, s2, s3
	s_delay_alu instid0(SALU_CYCLE_1) | instskip(NEXT) | instid1(SALU_CYCLE_1)
	s_mul_hi_u32 s2, s11, s2
	s_mul_i32 s3, s2, s20
	s_delay_alu instid0(SALU_CYCLE_1)
	s_sub_i32 s3, s11, s3
	s_add_i32 s11, s2, 1
	s_sub_i32 s12, s3, s20
	s_cmp_ge_u32 s3, s20
	s_cselect_b32 s2, s11, s2
	s_cselect_b32 s3, s12, s3
	s_add_i32 s11, s2, 1
	s_cmp_ge_u32 s3, s20
	s_cselect_b32 s18, s11, s2
.LBB39_6:
	s_delay_alu instid0(SALU_CYCLE_1) | instskip(SKIP_3) | instid1(SALU_CYCLE_1)
	s_cmp_eq_u32 s16, s18
	s_mul_hi_u32 s2, s16, s8
	s_cselect_b32 s3, -1, 0
	s_add_i32 s2, s2, s16
	s_lshr_b32 s11, s2, s9
	s_delay_alu instid0(SALU_CYCLE_1) | instskip(NEXT) | instid1(SALU_CYCLE_1)
	s_mul_i32 s2, s11, s10
	s_cmp_eq_u32 s2, s16
	s_mul_hi_u32 s2, s18, s8
	s_cselect_b32 s12, -1, 0
	s_add_i32 s2, s2, s18
	s_delay_alu instid0(SALU_CYCLE_1) | instskip(NEXT) | instid1(SALU_CYCLE_1)
	s_lshr_b32 s2, s2, s9
	s_cmp_eq_u32 s11, s2
	s_mul_i32 s2, s2, s10
	s_cselect_b32 s17, -1, 0
	s_cmp_lg_u32 s2, s18
	s_cselect_b32 s2, -1, 0
	s_or_b32 s3, s3, s12
	s_and_b32 s2, s17, s2
	s_delay_alu instid0(SALU_CYCLE_1) | instskip(NEXT) | instid1(SALU_CYCLE_1)
	s_or_b32 s2, s3, s2
	s_and_b32 vcc_lo, exec_lo, s2
	s_cbranch_vccnz .LBB39_24
; %bb.7:
	s_load_b256 s[24:31], s[0:1], 0x20
	s_waitcnt lgkmcnt(0)
	s_mul_hi_u32 s2, s16, s24
	s_delay_alu instid0(SALU_CYCLE_1) | instskip(NEXT) | instid1(SALU_CYCLE_1)
	s_add_i32 s2, s2, s16
	s_lshr_b32 s17, s2, s25
	s_load_b32 s2, s[0:1], 0x40
	s_mul_i32 s3, s17, s26
	s_delay_alu instid0(SALU_CYCLE_1) | instskip(NEXT) | instid1(SALU_CYCLE_1)
	s_sub_i32 s3, s16, s3
	s_mul_hi_u32 s12, s3, s27
	s_delay_alu instid0(SALU_CYCLE_1) | instskip(NEXT) | instid1(SALU_CYCLE_1)
	s_add_i32 s12, s3, s12
	s_lshr_b32 s19, s12, s28
	s_delay_alu instid0(SALU_CYCLE_1) | instskip(NEXT) | instid1(SALU_CYCLE_1)
	s_mul_i32 s12, s19, s29
	s_sub_i32 s3, s3, s12
	s_delay_alu instid0(SALU_CYCLE_1) | instskip(NEXT) | instid1(SALU_CYCLE_1)
	s_mul_hi_u32 s12, s3, s30
	s_add_i32 s12, s3, s12
	s_delay_alu instid0(SALU_CYCLE_1)
	s_lshr_b32 s12, s12, s31
	s_waitcnt lgkmcnt(0)
	s_mul_i32 s2, s12, s2
	s_lshl_b32 s21, s12, 1
	s_sub_i32 s2, s3, s2
	s_mov_b32 s12, 0
	s_mul_hi_u32 s3, s2, s8
	s_delay_alu instid0(SALU_CYCLE_1) | instskip(NEXT) | instid1(SALU_CYCLE_1)
	s_add_i32 s2, s2, s3
	s_lshr_b32 s18, s2, s9
	s_delay_alu instid0(SALU_CYCLE_1) | instskip(NEXT) | instid1(SALU_CYCLE_1)
	s_lshl_b32 s2, s18, 4
	s_add_i32 s2, s2, s14
	s_delay_alu instid0(SALU_CYCLE_1) | instskip(SKIP_2) | instid1(SALU_CYCLE_1)
	s_cmp_lt_i32 s2, s4
	s_cselect_b32 s2, -1, 0
	s_add_i32 s21, s21, s15
	s_cmp_lt_i32 s21, s6
	s_cselect_b32 s3, -1, 0
	s_delay_alu instid0(SALU_CYCLE_1) | instskip(NEXT) | instid1(SALU_CYCLE_1)
	s_and_b32 s2, s2, s3
	s_and_not1_b32 vcc_lo, exec_lo, s2
	s_cbranch_vccnz .LBB39_24
; %bb.8:
	s_load_b128 s[0:3], s[0:1], 0x0
	s_lshl_b32 s22, s20, 7
	s_mov_b32 s23, s12
	s_lshl_b32 s24, s14, 1
	s_lshl_b64 s[22:23], s[22:23], 2
	s_mul_i32 s19, s19, s6
	s_mul_i32 s4, s17, s4
	s_add_i32 s6, s24, s15
	v_cvt_f32_ubyte0_e32 v3, 0
	v_cvt_f32_u32_e32 v4, s20
	s_waitcnt lgkmcnt(0)
	s_add_u32 s15, s2, s22
	s_addc_u32 s17, s3, s23
	s_add_i32 s4, s4, s14
	s_add_i32 s14, s21, s19
	s_mul_i32 s4, s4, s5
	s_mul_i32 s5, s5, s18
	s_add_i32 s4, s14, s4
	s_mulk_i32 s5, 0x500
	s_mulk_i32 s4, 0x50
	s_delay_alu instid0(SALU_CYCLE_1) | instskip(NEXT) | instid1(VALU_DEP_1)
	v_add3_u32 v1, s5, s4, v0
	v_ashrrev_i32_e32 v2, 31, v1
	s_delay_alu instid0(VALU_DEP_1) | instskip(NEXT) | instid1(VALU_DEP_1)
	v_lshlrev_b64 v[1:2], 2, v[1:2]
	v_add_co_u32 v1, vcc_lo, s0, v1
	s_delay_alu instid0(VALU_DEP_2) | instskip(SKIP_1) | instid1(SALU_CYCLE_1)
	v_add_co_ci_u32_e32 v2, vcc_lo, s1, v2, vcc_lo
	s_lshl_b32 s0, s13, 5
	s_add_i32 s0, s6, s0
	global_load_b32 v5, v[1:2], off
	s_ashr_i32 s1, s0, 31
	s_delay_alu instid0(SALU_CYCLE_1) | instskip(NEXT) | instid1(SALU_CYCLE_1)
	s_lshl_b64 s[0:1], s[0:1], 3
	s_add_u32 s0, s2, s0
	s_addc_u32 s1, s3, s1
	s_add_i32 s18, s13, -1
	s_load_b64 s[0:1], s[0:1], 0x0
	v_fmac_f32_e32 v4, 0x4f800000, v3
	s_sub_i32 s14, 0, s20
	s_delay_alu instid0(VALU_DEP_1)
	v_rcp_f32_e32 v3, v4
	s_waitcnt_depctr 0xfff
	v_mul_f32_e32 v6, 0x5f7ffffc, v3
	v_cvt_f32_u32_e32 v3, s20
	s_waitcnt lgkmcnt(0)
	v_mov_b32_e32 v8, s0
	s_delay_alu instid0(VALU_DEP_3) | instskip(NEXT) | instid1(VALU_DEP_3)
	v_mul_f32_e32 v4, 0x2f800000, v6
	v_rcp_iflag_f32_e32 v7, v3
	s_delay_alu instid0(VALU_DEP_1) | instskip(SKIP_1) | instid1(VALU_DEP_2)
	v_trunc_f32_e32 v9, v4
	v_mad_u64_u32 v[3:4], null, 0x50, s6, v[0:1]
	v_fmac_f32_e32 v6, 0xcf800000, v9
	s_waitcnt_depctr 0xfff
	v_dual_mul_f32 v10, 0x4f7ffffe, v7 :: v_dual_mov_b32 v7, s1
	v_cvt_u32_f32_e32 v4, v9
	v_cvt_u32_f32_e32 v0, v6
	s_delay_alu instid0(VALU_DEP_3)
	v_cvt_u32_f32_e32 v6, v10
.LBB39_9:                               ; =>This Inner Loop Header: Depth=1
	s_mul_hi_i32 s13, s18, s7
	s_mul_i32 s4, s18, s7
	s_cmp_lg_u64 s[12:13], 0
	s_mov_b32 s5, -1
                                        ; implicit-def: $sgpr0_sgpr1
	s_cbranch_scc0 .LBB39_11
; %bb.10:                               ;   in Loop: Header=BB39_9 Depth=1
	v_readfirstlane_b32 s0, v0
	v_readfirstlane_b32 s1, v4
	s_sub_u32 s5, 0, s20
	s_subb_u32 s19, 0, 0
	s_delay_alu instid0(VALU_DEP_2) | instskip(NEXT) | instid1(VALU_DEP_1)
	s_mul_hi_u32 s21, s5, s0
	s_mul_i32 s22, s5, s1
	s_mul_i32 s23, s19, s0
	s_add_i32 s21, s21, s22
	s_mul_i32 s22, s5, s0
	s_add_i32 s21, s21, s23
	s_mul_hi_u32 s23, s0, s22
	s_mul_i32 s24, s0, s21
	s_mul_hi_u32 s0, s0, s21
	s_add_u32 s23, s23, s24
	s_mul_i32 s25, s1, s22
	s_addc_u32 s0, 0, s0
	s_mul_hi_u32 s22, s1, s22
	s_mul_hi_u32 s24, s1, s21
	s_add_u32 s23, s23, s25
	s_addc_u32 s0, s0, s22
	s_mul_i32 s21, s1, s21
	s_addc_u32 s22, s24, 0
	s_add_u32 s0, s0, s21
	s_addc_u32 s21, 0, s22
	v_add_co_u32 v9, s0, v0, s0
	s_delay_alu instid0(VALU_DEP_1) | instskip(SKIP_1) | instid1(VALU_DEP_1)
	s_cmp_lg_u32 s0, 0
	s_addc_u32 s1, s1, s21
	v_readfirstlane_b32 s0, v9
	s_mul_i32 s21, s5, s1
	s_delay_alu instid0(VALU_DEP_1)
	s_mul_hi_u32 s22, s5, s0
	s_mul_i32 s19, s19, s0
	s_add_i32 s21, s22, s21
	s_mul_i32 s5, s5, s0
	s_add_i32 s21, s21, s19
	s_mul_hi_u32 s19, s1, s5
	s_mul_i32 s23, s1, s5
	s_mul_i32 s24, s0, s21
	s_mul_hi_u32 s5, s0, s5
	s_mul_hi_u32 s0, s0, s21
	s_add_u32 s5, s5, s24
	s_addc_u32 s0, 0, s0
	s_mul_hi_u32 s22, s1, s21
	s_add_u32 s5, s5, s23
	s_addc_u32 s0, s0, s19
	s_mul_i32 s5, s1, s21
	s_addc_u32 s19, s22, 0
	s_add_u32 s0, s0, s5
	s_addc_u32 s5, 0, s19
	v_add_co_u32 v9, s0, v9, s0
	s_delay_alu instid0(VALU_DEP_1) | instskip(SKIP_2) | instid1(SALU_CYCLE_1)
	s_cmp_lg_u32 s0, 0
	s_addc_u32 s5, s1, s5
	s_ashr_i32 s0, s13, 31
	s_add_u32 s22, s4, s0
	s_addc_u32 s23, s13, s0
	v_readfirstlane_b32 s13, v9
	s_mov_b32 s1, s0
	s_delay_alu instid0(SALU_CYCLE_1) | instskip(NEXT) | instid1(SALU_CYCLE_1)
	s_xor_b64 s[22:23], s[22:23], s[0:1]
	s_mul_i32 s19, s22, s5
	s_delay_alu instid0(VALU_DEP_1)
	s_mul_hi_u32 s21, s22, s13
	s_mul_hi_u32 s24, s22, s5
	s_add_u32 s19, s21, s19
	s_mul_i32 s25, s23, s13
	s_addc_u32 s21, 0, s24
	s_mul_hi_u32 s13, s23, s13
	s_mul_hi_u32 s24, s23, s5
	s_add_u32 s19, s19, s25
	s_addc_u32 s13, s21, s13
	s_mul_i32 s5, s23, s5
	s_addc_u32 s19, s24, 0
	s_add_u32 s5, s13, s5
	s_addc_u32 s13, 0, s19
	s_mul_i32 s21, s20, s5
	s_add_u32 s19, s5, 1
	v_sub_co_u32 v9, s21, s22, s21
	s_addc_u32 s22, s13, 0
	s_mul_i32 s25, s20, s13
	s_mul_hi_u32 s27, s20, s5
	s_delay_alu instid0(VALU_DEP_1)
	v_sub_co_u32 v10, s26, v9, s20
	s_add_u32 s24, s5, 2
	s_addc_u32 s28, s13, 0
	s_add_i32 s27, s27, s25
	s_cmp_lg_u32 s21, 0
	v_readfirstlane_b32 s21, v10
	s_subb_u32 s23, s23, s27
	s_cmp_lg_u32 s26, 0
	s_subb_u32 s25, s23, 0
	s_delay_alu instid0(VALU_DEP_1) | instskip(SKIP_4) | instid1(SALU_CYCLE_1)
	s_cmp_ge_u32 s21, s20
	s_cselect_b32 s21, -1, 0
	s_cmp_eq_u32 s25, 0
	v_readfirstlane_b32 s25, v9
	s_cselect_b32 s21, s21, -1
	s_cmp_lg_u32 s21, 0
	s_cselect_b32 s19, s24, s19
	s_cselect_b32 s21, s28, s22
	s_cmp_ge_u32 s25, s20
	s_cselect_b32 s22, -1, 0
	s_cmp_eq_u32 s23, 0
	s_cselect_b32 s22, s22, -1
	s_delay_alu instid0(SALU_CYCLE_1) | instskip(SKIP_4) | instid1(SALU_CYCLE_1)
	s_cmp_lg_u32 s22, 0
	s_cselect_b32 s23, s21, s13
	s_cselect_b32 s22, s19, s5
	s_mov_b32 s5, 0
	s_xor_b64 s[22:23], s[22:23], s[0:1]
	s_sub_u32 s0, s22, s0
.LBB39_11:                              ;   in Loop: Header=BB39_9 Depth=1
	s_and_not1_b32 vcc_lo, exec_lo, s5
	s_cbranch_vccnz .LBB39_13
; %bb.12:                               ;   in Loop: Header=BB39_9 Depth=1
	v_readfirstlane_b32 s0, v6
	s_delay_alu instid0(VALU_DEP_1) | instskip(NEXT) | instid1(SALU_CYCLE_1)
	s_mul_i32 s1, s14, s0
	s_mul_hi_u32 s1, s0, s1
	s_delay_alu instid0(SALU_CYCLE_1) | instskip(NEXT) | instid1(SALU_CYCLE_1)
	s_add_i32 s0, s0, s1
	s_mul_hi_u32 s0, s4, s0
	s_delay_alu instid0(SALU_CYCLE_1) | instskip(NEXT) | instid1(SALU_CYCLE_1)
	s_mul_i32 s1, s0, s20
	s_sub_i32 s1, s4, s1
	s_add_i32 s4, s0, 1
	s_sub_i32 s5, s1, s20
	s_cmp_ge_u32 s1, s20
	s_cselect_b32 s0, s4, s0
	s_cselect_b32 s1, s5, s1
	s_add_i32 s4, s0, 1
	s_cmp_ge_u32 s1, s20
	s_cselect_b32 s0, s4, s0
.LBB39_13:                              ;   in Loop: Header=BB39_9 Depth=1
	s_delay_alu instid0(SALU_CYCLE_1)
	s_cmp_lg_u32 s16, s0
	s_cbranch_scc0 .LBB39_17
; %bb.14:                               ;   in Loop: Header=BB39_9 Depth=1
	s_add_i32 s1, s18, s20
	s_mov_b32 s5, s12
	s_lshl_b32 s1, s1, 5
	s_mov_b32 s19, s16
	s_add_i32 s4, s1, s6
	s_mul_hi_u32 s1, s0, s8
	s_lshl_b64 s[4:5], s[4:5], 3
	s_delay_alu instid0(SALU_CYCLE_1) | instskip(SKIP_2) | instid1(SALU_CYCLE_1)
	s_add_u32 s4, s2, s4
	s_addc_u32 s5, s3, s5
	s_add_i32 s1, s1, s0
	s_lshr_b32 s1, s1, s9
	s_delay_alu instid0(SALU_CYCLE_1) | instskip(NEXT) | instid1(SALU_CYCLE_1)
	s_mul_i32 s13, s1, s10
	s_cmp_eq_u32 s13, s0
	s_cselect_b32 s13, -1, 0
	s_cmp_lt_u32 s1, s11
	s_cselect_b32 s1, -1, 0
	s_delay_alu instid0(SALU_CYCLE_1)
	s_or_b32 s1, s1, s13
	s_mov_b32 s13, -1
	s_and_b32 vcc_lo, exec_lo, s1
	s_mov_b32 s1, s18
	s_cbranch_vccnz .LBB39_16
; %bb.15:                               ;   in Loop: Header=BB39_9 Depth=1
	s_add_i32 s1, s18, -1
	s_mov_b32 s13, 0
	s_mov_b32 s19, s0
.LBB39_16:                              ;   in Loop: Header=BB39_9 Depth=1
	v_mad_u64_u32 v[9:10], null, 0xa00, s18, v[3:4]
	s_load_b64 s[4:5], s[4:5], 0x0
	s_delay_alu instid0(VALU_DEP_1) | instskip(NEXT) | instid1(VALU_DEP_1)
	v_ashrrev_i32_e32 v10, 31, v9
	v_lshlrev_b64 v[9:10], 2, v[9:10]
	s_delay_alu instid0(VALU_DEP_1) | instskip(NEXT) | instid1(VALU_DEP_2)
	v_add_co_u32 v9, vcc_lo, s15, v9
	v_add_co_ci_u32_e32 v10, vcc_lo, s17, v10, vcc_lo
	s_waitcnt lgkmcnt(0)
	v_max_f32_e64 v11, s4, s4
	global_load_b32 v10, v[9:10], off
	v_max_f32_e32 v9, v8, v8
	s_delay_alu instid0(VALU_DEP_1) | instskip(NEXT) | instid1(VALU_DEP_1)
	v_max_f32_e32 v9, v9, v11
	v_sub_f32_e32 v12, v8, v9
	s_delay_alu instid0(VALU_DEP_1) | instskip(NEXT) | instid1(VALU_DEP_1)
	v_dual_mul_f32 v14, 0x3fb8aa3b, v12 :: v_dual_sub_f32 v11, s4, v9
	v_rndne_f32_e32 v18, v14
	s_delay_alu instid0(VALU_DEP_2) | instskip(SKIP_2) | instid1(VALU_DEP_4)
	v_mul_f32_e32 v13, 0x3fb8aa3b, v11
	v_fma_f32 v17, 0x3fb8aa3b, v12, -v14
	v_cmp_ngt_f32_e32 vcc_lo, 0xc2ce8ed0, v11
	v_sub_f32_e32 v14, v14, v18
	s_delay_alu instid0(VALU_DEP_4) | instskip(SKIP_2) | instid1(VALU_DEP_3)
	v_fma_f32 v15, 0x3fb8aa3b, v11, -v13
	v_rndne_f32_e32 v16, v13
	v_fmac_f32_e32 v17, 0x32a5705f, v12
	v_fmac_f32_e32 v15, 0x32a5705f, v11
	s_delay_alu instid0(VALU_DEP_2) | instskip(NEXT) | instid1(VALU_DEP_1)
	v_dual_sub_f32 v13, v13, v16 :: v_dual_add_f32 v14, v14, v17
	v_add_f32_e32 v13, v13, v15
	s_delay_alu instid0(VALU_DEP_2) | instskip(SKIP_2) | instid1(VALU_DEP_3)
	v_exp_f32_e32 v14, v14
	v_cvt_i32_f32_e32 v15, v16
	v_cvt_i32_f32_e32 v16, v18
	v_exp_f32_e32 v13, v13
	s_waitcnt_depctr 0xfff
	v_ldexp_f32 v14, v14, v16
	v_ldexp_f32 v13, v13, v15
	s_delay_alu instid0(VALU_DEP_1) | instskip(SKIP_1) | instid1(VALU_DEP_4)
	v_cndmask_b32_e32 v13, 0, v13, vcc_lo
	v_cmp_ngt_f32_e32 vcc_lo, 0xc2ce8ed0, v12
	v_cndmask_b32_e32 v14, 0, v14, vcc_lo
	v_cmp_nlt_f32_e32 vcc_lo, 0x42b17218, v11
	s_delay_alu instid0(VALU_DEP_4) | instskip(SKIP_1) | instid1(VALU_DEP_4)
	v_cndmask_b32_e32 v13, 0x7f800000, v13, vcc_lo
	v_cmp_nlt_f32_e32 vcc_lo, 0x42b17218, v12
	v_cndmask_b32_e32 v14, 0x7f800000, v14, vcc_lo
	v_cmp_le_f32_e32 vcc_lo, 0xc1a00000, v11
	s_delay_alu instid0(VALU_DEP_4) | instskip(SKIP_1) | instid1(VALU_DEP_4)
	v_cndmask_b32_e32 v11, 0, v13, vcc_lo
	v_cmp_le_f32_e32 vcc_lo, 0xc1a00000, v12
	v_cndmask_b32_e32 v12, 0, v14, vcc_lo
	s_waitcnt vmcnt(0)
	s_delay_alu instid0(VALU_DEP_3) | instskip(NEXT) | instid1(VALU_DEP_1)
	v_mul_f32_e32 v10, v10, v11
	v_dual_mul_f32 v11, s5, v11 :: v_dual_fmac_f32 v10, v5, v12
	s_delay_alu instid0(VALU_DEP_1)
	v_fmac_f32_e32 v11, v7, v12
	s_cbranch_execz .LBB39_18
	s_branch .LBB39_19
.LBB39_17:                              ;   in Loop: Header=BB39_9 Depth=1
                                        ; implicit-def: $sgpr13
                                        ; implicit-def: $vgpr10
                                        ; implicit-def: $vgpr9
                                        ; implicit-def: $vgpr11
                                        ; implicit-def: $sgpr1
                                        ; implicit-def: $sgpr19
.LBB39_18:                              ;   in Loop: Header=BB39_9 Depth=1
	s_waitcnt vmcnt(0)
	v_dual_mov_b32 v11, v7 :: v_dual_mov_b32 v10, v5
	v_mov_b32_e32 v9, v8
	s_add_i32 s1, s18, -1
	s_mov_b32 s13, 0
	s_mov_b32 s19, s16
.LBB39_19:                              ;   in Loop: Header=BB39_9 Depth=1
	s_and_not1_b32 vcc_lo, exec_lo, s13
	s_cbranch_vccz .LBB39_23
; %bb.20:                               ;   in Loop: Header=BB39_9 Depth=1
	v_dual_mov_b32 v7, v11 :: v_dual_mov_b32 v8, v9
	s_waitcnt vmcnt(0)
	v_mov_b32_e32 v5, v10
	s_mov_b32 s16, s19
	s_mov_b32 s18, s1
	s_branch .LBB39_9
.LBB39_21:
                                        ; implicit-def: $sgpr16_sgpr17
	s_load_b128 s[8:11], s[0:1], 0x44
	s_branch .LBB39_2
.LBB39_22:
                                        ; implicit-def: $sgpr18_sgpr19
	s_branch .LBB39_5
.LBB39_23:
	v_div_scale_f32 v0, null, v11, v11, v10
	s_delay_alu instid0(VALU_DEP_1) | instskip(SKIP_2) | instid1(VALU_DEP_1)
	v_rcp_f32_e32 v3, v0
	s_waitcnt_depctr 0xfff
	v_fma_f32 v4, -v0, v3, 1.0
	v_fmac_f32_e32 v3, v4, v3
	v_div_scale_f32 v4, vcc_lo, v10, v11, v10
	s_waitcnt vmcnt(0)
	s_delay_alu instid0(VALU_DEP_1) | instskip(NEXT) | instid1(VALU_DEP_1)
	v_mul_f32_e32 v5, v4, v3
	v_fma_f32 v6, -v0, v5, v4
	s_delay_alu instid0(VALU_DEP_1) | instskip(NEXT) | instid1(VALU_DEP_1)
	v_fmac_f32_e32 v5, v6, v3
	v_fma_f32 v0, -v0, v5, v4
	s_delay_alu instid0(VALU_DEP_1) | instskip(NEXT) | instid1(VALU_DEP_1)
	v_div_fmas_f32 v0, v0, v3, v5
	v_div_fixup_f32 v0, v0, v11, v10
	global_store_b32 v[1:2], v0, off
.LBB39_24:
	s_nop 0
	s_sendmsg sendmsg(MSG_DEALLOC_VGPRS)
	s_endpgm
	.section	.rodata,"a",@progbits
	.p2align	6, 0x0
	.amdhsa_kernel _ZL33flash_attn_stream_k_fixup_generalILi80ELi16ELi2EEvPfPK15HIP_vector_typeIfLj2EEiiiiS1_IjLj3EES5_S5_S5_
		.amdhsa_group_segment_fixed_size 0
		.amdhsa_private_segment_fixed_size 0
		.amdhsa_kernarg_size 336
		.amdhsa_user_sgpr_count 13
		.amdhsa_user_sgpr_dispatch_ptr 0
		.amdhsa_user_sgpr_queue_ptr 0
		.amdhsa_user_sgpr_kernarg_segment_ptr 1
		.amdhsa_user_sgpr_dispatch_id 0
		.amdhsa_user_sgpr_private_segment_size 0
		.amdhsa_wavefront_size32 1
		.amdhsa_uses_dynamic_stack 0
		.amdhsa_enable_private_segment 0
		.amdhsa_system_sgpr_workgroup_id_x 1
		.amdhsa_system_sgpr_workgroup_id_y 1
		.amdhsa_system_sgpr_workgroup_id_z 1
		.amdhsa_system_sgpr_workgroup_info 0
		.amdhsa_system_vgpr_workitem_id 0
		.amdhsa_next_free_vgpr 19
		.amdhsa_next_free_sgpr 32
		.amdhsa_reserve_vcc 1
		.amdhsa_float_round_mode_32 0
		.amdhsa_float_round_mode_16_64 0
		.amdhsa_float_denorm_mode_32 3
		.amdhsa_float_denorm_mode_16_64 3
		.amdhsa_dx10_clamp 1
		.amdhsa_ieee_mode 1
		.amdhsa_fp16_overflow 0
		.amdhsa_workgroup_processor_mode 1
		.amdhsa_memory_ordered 1
		.amdhsa_forward_progress 0
		.amdhsa_shared_vgpr_count 0
		.amdhsa_exception_fp_ieee_invalid_op 0
		.amdhsa_exception_fp_denorm_src 0
		.amdhsa_exception_fp_ieee_div_zero 0
		.amdhsa_exception_fp_ieee_overflow 0
		.amdhsa_exception_fp_ieee_underflow 0
		.amdhsa_exception_fp_ieee_inexact 0
		.amdhsa_exception_int_div_zero 0
	.end_amdhsa_kernel
	.section	.text._ZL33flash_attn_stream_k_fixup_generalILi80ELi16ELi2EEvPfPK15HIP_vector_typeIfLj2EEiiiiS1_IjLj3EES5_S5_S5_,"axG",@progbits,_ZL33flash_attn_stream_k_fixup_generalILi80ELi16ELi2EEvPfPK15HIP_vector_typeIfLj2EEiiiiS1_IjLj3EES5_S5_S5_,comdat
.Lfunc_end39:
	.size	_ZL33flash_attn_stream_k_fixup_generalILi80ELi16ELi2EEvPfPK15HIP_vector_typeIfLj2EEiiiiS1_IjLj3EES5_S5_S5_, .Lfunc_end39-_ZL33flash_attn_stream_k_fixup_generalILi80ELi16ELi2EEvPfPK15HIP_vector_typeIfLj2EEiiiiS1_IjLj3EES5_S5_S5_
                                        ; -- End function
	.section	.AMDGPU.csdata,"",@progbits
; Kernel info:
; codeLenInByte = 3224
; NumSgprs: 34
; NumVgprs: 19
; ScratchSize: 0
; MemoryBound: 0
; FloatMode: 240
; IeeeMode: 1
; LDSByteSize: 0 bytes/workgroup (compile time only)
; SGPRBlocks: 4
; VGPRBlocks: 2
; NumSGPRsForWavesPerEU: 34
; NumVGPRsForWavesPerEU: 19
; Occupancy: 16
; WaveLimiterHint : 0
; COMPUTE_PGM_RSRC2:SCRATCH_EN: 0
; COMPUTE_PGM_RSRC2:USER_SGPR: 13
; COMPUTE_PGM_RSRC2:TRAP_HANDLER: 0
; COMPUTE_PGM_RSRC2:TGID_X_EN: 1
; COMPUTE_PGM_RSRC2:TGID_Y_EN: 1
; COMPUTE_PGM_RSRC2:TGID_Z_EN: 1
; COMPUTE_PGM_RSRC2:TIDIG_COMP_CNT: 0
	.section	.text._ZL15flash_attn_tileILi80ELi80ELi8ELi2ELb0EEvPKcS1_S1_S1_S1_PKiPfP15HIP_vector_typeIfLj2EEffffjfiS5_IjLj3EEiiiiiiiiiiiliiliiiiil,"axG",@progbits,_ZL15flash_attn_tileILi80ELi80ELi8ELi2ELb0EEvPKcS1_S1_S1_S1_PKiPfP15HIP_vector_typeIfLj2EEffffjfiS5_IjLj3EEiiiiiiiiiiiliiliiiiil,comdat
	.globl	_ZL15flash_attn_tileILi80ELi80ELi8ELi2ELb0EEvPKcS1_S1_S1_S1_PKiPfP15HIP_vector_typeIfLj2EEffffjfiS5_IjLj3EEiiiiiiiiiiiliiliiiiil ; -- Begin function _ZL15flash_attn_tileILi80ELi80ELi8ELi2ELb0EEvPKcS1_S1_S1_S1_PKiPfP15HIP_vector_typeIfLj2EEffffjfiS5_IjLj3EEiiiiiiiiiiiliiliiiiil
	.p2align	8
	.type	_ZL15flash_attn_tileILi80ELi80ELi8ELi2ELb0EEvPKcS1_S1_S1_S1_PKiPfP15HIP_vector_typeIfLj2EEffffjfiS5_IjLj3EEiiiiiiiiiiiliiliiiiil,@function
_ZL15flash_attn_tileILi80ELi80ELi8ELi2ELb0EEvPKcS1_S1_S1_S1_PKiPfP15HIP_vector_typeIfLj2EEffffjfiS5_IjLj3EEiiiiiiiiiiiliiliiiiil: ; @_ZL15flash_attn_tileILi80ELi80ELi8ELi2ELb0EEvPKcS1_S1_S1_S1_PKiPfP15HIP_vector_typeIfLj2EEffffjfiS5_IjLj3EEiiiiiiiiiiiliiliiiiil
; %bb.0:
	s_clause 0x1
	s_load_b128 s[36:39], s[0:1], 0x5c
	s_load_b64 s[34:35], s[0:1], 0x80
	s_mov_b64 s[40:41], 0
	s_waitcnt lgkmcnt(0)
	s_lshr_b32 s2, s39, 31
	s_delay_alu instid0(SALU_CYCLE_1) | instskip(NEXT) | instid1(SALU_CYCLE_1)
	s_add_i32 s2, s39, s2
	s_ashr_i32 s2, s2, 1
	s_delay_alu instid0(SALU_CYCLE_1) | instskip(SKIP_1) | instid1(VALU_DEP_1)
	v_cvt_f32_u32_e32 v1, s2
	s_sub_i32 s4, 0, s2
	v_rcp_iflag_f32_e32 v1, v1
	s_waitcnt_depctr 0xfff
	v_mul_f32_e32 v1, 0x4f7ffffe, v1
	s_delay_alu instid0(VALU_DEP_1) | instskip(NEXT) | instid1(VALU_DEP_1)
	v_cvt_u32_f32_e32 v1, v1
	v_readfirstlane_b32 s3, v1
	s_delay_alu instid0(VALU_DEP_1) | instskip(NEXT) | instid1(SALU_CYCLE_1)
	s_mul_i32 s4, s4, s3
	s_mul_hi_u32 s4, s3, s4
	s_delay_alu instid0(SALU_CYCLE_1) | instskip(NEXT) | instid1(SALU_CYCLE_1)
	s_add_i32 s3, s3, s4
	s_mul_hi_u32 s3, s15, s3
	s_delay_alu instid0(SALU_CYCLE_1) | instskip(SKIP_2) | instid1(SALU_CYCLE_1)
	s_mul_i32 s4, s3, s2
	s_add_i32 s5, s3, 1
	s_sub_i32 s4, s15, s4
	s_sub_i32 s6, s4, s2
	s_cmp_ge_u32 s4, s2
	s_cselect_b32 s3, s5, s3
	s_cselect_b32 s4, s6, s4
	s_add_i32 s5, s3, 1
	s_cmp_ge_u32 s4, s2
	s_cselect_b32 s11, s5, s3
	s_abs_i32 s2, s35
	s_abs_i32 s5, s39
	v_cvt_f32_u32_e32 v1, s2
	s_sub_i32 s4, 0, s2
	s_xor_b32 s6, s39, s35
	s_delay_alu instid0(SALU_CYCLE_1) | instskip(NEXT) | instid1(VALU_DEP_1)
	s_ashr_i32 s6, s6, 31
	v_rcp_iflag_f32_e32 v1, v1
	s_waitcnt_depctr 0xfff
	v_mul_f32_e32 v1, 0x4f7ffffe, v1
	s_delay_alu instid0(VALU_DEP_1) | instskip(NEXT) | instid1(VALU_DEP_1)
	v_cvt_u32_f32_e32 v1, v1
	v_readfirstlane_b32 s3, v1
	s_delay_alu instid0(VALU_DEP_1) | instskip(NEXT) | instid1(SALU_CYCLE_1)
	s_mul_i32 s4, s4, s3
	s_mul_hi_u32 s4, s3, s4
	s_delay_alu instid0(SALU_CYCLE_1) | instskip(SKIP_2) | instid1(SALU_CYCLE_1)
	s_add_i32 s3, s3, s4
	s_lshl_b32 s4, s15, 1
	s_mul_hi_u32 s3, s5, s3
	s_mul_i32 s7, s3, s2
	s_delay_alu instid0(SALU_CYCLE_1)
	s_sub_i32 s5, s5, s7
	s_add_i32 s7, s3, 1
	s_sub_i32 s8, s5, s2
	s_cmp_ge_u32 s5, s2
	s_cselect_b32 s3, s7, s3
	s_cselect_b32 s5, s8, s5
	s_add_i32 s7, s3, 1
	s_cmp_ge_u32 s5, s2
	s_mul_i32 s5, s11, s39
	s_cselect_b32 s2, s7, s3
	s_delay_alu instid0(SALU_CYCLE_1) | instskip(NEXT) | instid1(SALU_CYCLE_1)
	s_xor_b32 s2, s2, s6
	s_sub_i32 s9, s2, s6
	s_clause 0x1
	s_load_b512 s[16:31], s[0:1], 0x0
	s_load_b64 s[2:3], s[0:1], 0xb8
	s_abs_i32 s8, s9
	s_delay_alu instid0(SALU_CYCLE_1) | instskip(NEXT) | instid1(VALU_DEP_1)
	v_cvt_f32_u32_e32 v1, s8
	v_rcp_iflag_f32_e32 v1, v1
	s_waitcnt_depctr 0xfff
	v_mul_f32_e32 v1, 0x4f7ffffe, v1
	s_waitcnt lgkmcnt(0)
	s_cmp_eq_u64 s[22:23], 0
	s_delay_alu instid0(VALU_DEP_1) | instskip(NEXT) | instid1(VALU_DEP_1)
	v_cvt_u32_f32_e32 v1, v1
	v_readfirstlane_b32 s10, v1
	s_cbranch_scc1 .LBB40_2
; %bb.1:
	s_abs_i32 s2, s2
	s_abs_i32 s12, s11
	v_cvt_f32_u32_e32 v1, s2
	s_sub_i32 s7, 0, s2
	s_delay_alu instid0(VALU_DEP_1) | instskip(SKIP_2) | instid1(VALU_DEP_1)
	v_rcp_iflag_f32_e32 v1, v1
	s_waitcnt_depctr 0xfff
	v_mul_f32_e32 v1, 0x4f7ffffe, v1
	v_cvt_u32_f32_e32 v1, v1
	s_delay_alu instid0(VALU_DEP_1) | instskip(NEXT) | instid1(VALU_DEP_1)
	v_readfirstlane_b32 s6, v1
	s_mul_i32 s7, s7, s6
	s_delay_alu instid0(SALU_CYCLE_1) | instskip(NEXT) | instid1(SALU_CYCLE_1)
	s_mul_hi_u32 s7, s6, s7
	s_add_i32 s15, s6, s7
	s_load_b64 s[6:7], s[0:1], 0xc8
	s_mul_hi_u32 s15, s12, s15
	s_delay_alu instid0(SALU_CYCLE_1) | instskip(NEXT) | instid1(SALU_CYCLE_1)
	s_mul_i32 s15, s15, s2
	s_sub_i32 s12, s12, s15
	s_ashr_i32 s15, s11, 31
	s_sub_i32 s33, s12, s2
	s_cmp_ge_u32 s12, s2
	s_cselect_b32 s12, s33, s12
	s_delay_alu instid0(SALU_CYCLE_1) | instskip(SKIP_2) | instid1(SALU_CYCLE_1)
	s_sub_i32 s33, s12, s2
	s_cmp_ge_u32 s12, s2
	s_cselect_b32 s2, s33, s12
	s_xor_b32 s2, s2, s15
	s_delay_alu instid0(SALU_CYCLE_1)
	s_sub_i32 s2, s2, s15
	s_waitcnt lgkmcnt(0)
	s_mul_i32 s7, s2, s7
	s_mul_hi_u32 s12, s2, s6
	s_ashr_i32 s15, s2, 31
	s_add_i32 s7, s12, s7
	s_mul_i32 s15, s15, s6
	s_mul_i32 s2, s2, s6
	s_add_i32 s7, s7, s15
	s_add_u32 s40, s22, s2
	s_addc_u32 s41, s23, s7
.LBB40_2:
	v_bfe_u32 v1, v0, 10, 10
	v_and_b32_e32 v49, 0x3ff, v0
	s_sub_i32 s12, s4, s5
	s_delay_alu instid0(VALU_DEP_2) | instskip(NEXT) | instid1(VALU_DEP_2)
	v_lshl_add_u32 v50, s13, 3, v1
	v_cmp_gt_u32_e64 s2, 20, v49
	v_lshlrev_b32_e32 v48, 2, v49
	v_lshlrev_b32_e32 v0, 1, v49
	s_delay_alu instid0(VALU_DEP_4) | instskip(NEXT) | instid1(VALU_DEP_1)
	v_mul_hi_u32 v2, s36, v50
	v_add_nc_u32_e32 v2, v50, v2
	s_delay_alu instid0(VALU_DEP_1) | instskip(NEXT) | instid1(VALU_DEP_1)
	v_lshrrev_b32_e32 v2, s37, v2
	v_mul_lo_u32 v2, v2, s38
	s_delay_alu instid0(VALU_DEP_1)
	v_sub_nc_u32_e32 v2, v50, v2
	s_and_saveexec_b32 s4, s2
	s_cbranch_execz .LBB40_4
; %bb.3:
	s_load_b128 s[44:47], s[0:1], 0x70
	v_mul_u32_u24_e32 v15, 0x50, v1
	s_waitcnt lgkmcnt(0)
	s_mul_i32 s5, s11, s46
	s_mul_i32 s6, s12, s45
	s_ashr_i32 s7, s5, 31
	s_add_u32 s5, s16, s5
	s_addc_u32 s7, s17, s7
	s_ashr_i32 s15, s6, 31
	s_add_u32 s5, s5, s6
	s_addc_u32 s6, s7, s15
	s_ashr_i32 s7, s44, 31
	s_delay_alu instid0(SALU_CYCLE_1) | instskip(SKIP_1) | instid1(VALU_DEP_1)
	v_alignbit_b32 v5, s7, s44, 2
	s_lshr_b32 s7, s7, 2
	v_mad_u64_u32 v[3:4], null, v5, v2, 0
	s_delay_alu instid0(VALU_DEP_1) | instskip(NEXT) | instid1(VALU_DEP_1)
	v_mad_u64_u32 v[5:6], null, s7, v2, v[4:5]
	v_dual_mov_b32 v4, v5 :: v_dual_lshlrev_b32 v5, 2, v48
	s_delay_alu instid0(VALU_DEP_1) | instskip(NEXT) | instid1(VALU_DEP_1)
	v_lshlrev_b64 v[3:4], 2, v[3:4]
	v_add_co_u32 v3, vcc_lo, s5, v3
	s_delay_alu instid0(VALU_DEP_2) | instskip(SKIP_1) | instid1(VALU_DEP_2)
	v_add_co_ci_u32_e32 v4, vcc_lo, s6, v4, vcc_lo
	s_and_b32 s6, s45, -4
	v_add_co_u32 v3, vcc_lo, v3, v5
	s_delay_alu instid0(VALU_DEP_2) | instskip(SKIP_1) | instid1(VALU_DEP_2)
	v_add_co_ci_u32_e32 v4, vcc_lo, 0, v4, vcc_lo
	s_ashr_i32 s5, s45, 31
	v_add_co_u32 v7, vcc_lo, v3, s6
	s_delay_alu instid0(VALU_DEP_2)
	v_add_co_ci_u32_e32 v8, vcc_lo, s5, v4, vcc_lo
	s_clause 0x1
	global_load_b128 v[3:6], v[3:4], off
	global_load_b128 v[7:10], v[7:8], off
	s_load_b32 s5, s[0:1], 0x40
	s_waitcnt vmcnt(1) lgkmcnt(0)
	v_fma_mixlo_f16 v12, v5, s5, 0
	v_fma_mixlo_f16 v11, v3, s5, 0
	s_waitcnt vmcnt(0)
	v_fma_mixlo_f16 v14, v9, s5, 0
	v_fma_mixlo_f16 v13, v7, s5, 0
	v_add_lshl_u32 v3, v15, v0, 2
	v_fma_mixhi_f16 v12, v6, s5, 0
	v_fma_mixhi_f16 v11, v4, s5, 0
	v_fma_mixhi_f16 v14, v10, s5, 0
	v_fma_mixhi_f16 v13, v8, s5, 0
	v_add_nc_u32_e32 v3, 0x800, v3
	ds_store_2addr_b64 v3, v[11:12], v[13:14] offset0:152 offset1:172
.LBB40_4:
	s_or_b32 exec_lo, exec_lo, s4
	s_cmp_eq_u64 s[26:27], 0
	s_waitcnt lgkmcnt(0)
	s_barrier
	buffer_gl0_inv
	s_cbranch_scc1 .LBB40_6
; %bb.5:
	s_load_b32 s4, s[0:1], 0xd0
	s_mov_b32 s5, 0
	s_waitcnt lgkmcnt(0)
	s_mul_i32 s4, s4, s11
	s_delay_alu instid0(SALU_CYCLE_1) | instskip(NEXT) | instid1(SALU_CYCLE_1)
	s_add_i32 s4, s4, s13
	s_lshl_b64 s[4:5], s[4:5], 2
	s_delay_alu instid0(SALU_CYCLE_1)
	s_add_u32 s4, s26, s4
	s_addc_u32 s5, s27, s5
	s_load_b32 s34, s[4:5], 0x0
.LBB40_6:
	v_mbcnt_lo_u32_b32 v62, -1, 0
	s_lshl_b32 s13, s14, 5
	s_waitcnt lgkmcnt(0)
	s_cmp_lt_i32 s13, s34
	s_cbranch_scc1 .LBB40_8
; %bb.7:
	v_mbcnt_lo_u32_b32 v3, -1, 0
	v_mov_b32_e32 v65, 32
	s_mov_b32 s4, 0
	s_mov_b32 s5, 0xfeffffff
	s_delay_alu instid0(VALU_DEP_2)
	v_xor_b32_e32 v82, 16, v3
	v_xor_b32_e32 v83, 8, v3
	;; [unrolled: 1-line block ×5, first 2 shown]
	s_branch .LBB40_9
.LBB40_8:
	s_mov_b32 s4, -1
                                        ; implicit-def: $sgpr5
                                        ; implicit-def: $vgpr3
                                        ; implicit-def: $vgpr65
                                        ; implicit-def: $vgpr82
                                        ; implicit-def: $vgpr83
                                        ; implicit-def: $vgpr84
                                        ; implicit-def: $vgpr85
                                        ; implicit-def: $vgpr86
.LBB40_9:
	s_delay_alu instid0(SALU_CYCLE_1) | instskip(SKIP_2) | instid1(VALU_DEP_3)
	v_cndmask_b32_e64 v4, 0, 1, s4
	v_dual_mov_b32 v61, s5 :: v_dual_mov_b32 v66, s4
	v_dual_mov_b32 v87, s4 :: v_dual_mov_b32 v60, s5
	v_cmp_ne_u32_e32 vcc_lo, 1, v4
	v_dual_mov_b32 v88, s4 :: v_dual_mov_b32 v67, s4
	v_dual_mov_b32 v64, s4 :: v_dual_mov_b32 v63, s4
	s_cbranch_vccnz .LBB40_30
; %bb.10:
	s_clause 0x1
	s_load_b128 s[4:7], s[0:1], 0x98
	s_load_b64 s[16:17], s[0:1], 0x8c
	s_sub_i32 s15, 0, s8
	s_abs_i32 s23, s12
	s_mul_i32 s15, s15, s10
	s_ashr_i32 s35, s3, 1
	s_mul_hi_u32 s15, s10, s15
	s_ashr_i32 s33, s12, 31
	s_add_i32 s10, s10, s15
	s_ashr_i32 s9, s9, 31
	s_mul_hi_u32 s3, s23, s10
	s_ashr_i32 s10, s11, 31
	s_load_b64 s[26:27], s[0:1], 0xa8
	s_mul_i32 s36, s3, s8
	v_lshrrev_b32_e32 v3, 2, v49
	v_and_b32_e32 v9, 12, v48
	v_lshl_add_u32 v72, v1, 7, 0x16c0
	v_dual_mov_b32 v65, 32 :: v_dual_lshlrev_b32 v76, 2, v0
	s_delay_alu instid0(VALU_DEP_4)
	v_lshl_add_u32 v6, v1, 3, v3
	s_waitcnt lgkmcnt(0)
	s_ashr_i32 s15, s6, 2
	s_mul_i32 s5, s11, s5
	s_mul_hi_u32 s6, s11, s4
	s_ashr_i32 s22, s16, 2
	s_mul_i32 s16, s10, s4
	s_add_i32 s5, s6, s5
	s_mul_i32 s4, s11, s4
	s_add_i32 s5, s5, s16
	s_add_u32 s4, s18, s4
	s_addc_u32 s5, s19, s5
	s_xor_b32 s6, s33, s9
	s_sub_i32 s9, s23, s36
	s_add_i32 s16, s3, 1
	s_sub_i32 s18, s9, s8
	s_cmp_ge_u32 s9, s8
	v_lshl_add_u32 v74, v0, 1, v72
	s_cselect_b32 s3, s16, s3
	s_cselect_b32 s9, s18, s9
	v_dual_mov_b32 v0, 0xfeffffff :: v_dual_lshlrev_b32 v7, 2, v9
	v_mov_b32_e32 v64, 0
	s_add_i32 s16, s3, 1
	s_cmp_ge_u32 s9, s8
	v_lshrrev_b32_e32 v8, 1, v49
	s_cselect_b32 s3, s16, s3
	v_mad_u32_u24 v71, 0x60, v6, v7
	v_lshrrev_b32_e32 v7, 3, v49
	s_xor_b32 s3, s3, s6
	v_lshl_add_u32 v8, v1, 4, v8
	s_sub_i32 s3, s3, s6
	v_lshl_add_u32 v4, v1, 5, v49
	s_mul_i32 s6, s3, s17
	v_lshl_add_u32 v10, v1, 2, v7
	s_mul_i32 s8, s11, s27
	s_mul_hi_u32 s9, s11, s26
	s_ashr_i32 s17, s6, 31
	s_add_u32 s18, s4, s6
	v_mad_u64_u32 v[51:52], null, v2, s35, v[49:50]
	v_dual_mov_b32 v66, 0 :: v_dual_and_b32 v73, 4, v48
	v_mul_u32_u24_e32 v2, 0xa0, v8
	v_dual_mov_b32 v80, 0 :: v_dual_and_b32 v75, 28, v48
	s_mul_i32 s10, s10, s26
	s_addc_u32 s19, s5, s17
	s_add_i32 s4, s9, s8
	s_mul_i32 s16, s11, s26
	v_mul_lo_u32 v3, s22, v4
	v_mul_lo_u32 v5, s22, v6
	v_mul_u32_u24_e32 v69, 0x140, v1
	v_mul_lo_u32 v1, s15, v8
	v_mul_lo_u32 v7, s15, v10
	s_add_i32 s4, s4, s10
	s_add_u32 s5, s20, s16
	s_addc_u32 s6, s21, s4
	v_mov_b32_e32 v63, 0
	v_lshl_or_b32 v2, v73, 2, v2
	v_cmp_gt_u32_e64 s4, 16, v8
	v_lshlrev_b32_e32 v8, 2, v75
	s_mul_i32 s3, s3, s7
	v_cmp_gt_u32_e32 vcc_lo, 32, v4
	s_ashr_i32 s7, s3, 31
	s_add_u32 s20, s5, s3
	v_cmp_gt_u32_e64 s3, 32, v6
	v_mad_u32_u24 v70, 0x60, v4, 64
	v_ashrrev_i32_e32 v4, 31, v3
	v_ashrrev_i32_e32 v6, 31, v5
	v_add_nc_u32_e32 v77, 0x80, v2
	v_ashrrev_i32_e32 v2, 31, v1
	v_mad_u32_u24 v78, 0xa0, v10, v8
	v_ashrrev_i32_e32 v8, 31, v7
	v_lshlrev_b64 v[52:53], 2, v[3:4]
	v_lshlrev_b64 v[54:55], 2, v[5:6]
	v_lshlrev_b64 v[56:57], 2, v[1:2]
	v_mul_u32_u24_e32 v68, 0x60, v49
	v_lshlrev_b64 v[58:59], 2, v[7:8]
	v_cmp_gt_u32_e64 s5, 16, v10
	v_lshlrev_b32_e32 v79, 2, v9
	v_mov_b32_e32 v67, 0
	v_mov_b32_e32 v1, 0xfeffffff
	;; [unrolled: 1-line block ×3, first 2 shown]
	s_addc_u32 s21, s6, s7
	s_add_u32 s16, s0, 0xd0
	s_addc_u32 s17, s1, 0
.LBB40_11:                              ; =>This Inner Loop Header: Depth=1
	s_mul_hi_i32 s7, s13, s22
	s_mul_i32 s6, s13, s22
	s_delay_alu instid0(SALU_CYCLE_1) | instskip(NEXT) | instid1(SALU_CYCLE_1)
	s_lshl_b64 s[8:9], s[6:7], 2
	s_add_u32 s7, s18, s8
	s_addc_u32 s8, s19, s9
	s_and_saveexec_b32 s9, vcc_lo
	s_cbranch_execz .LBB40_13
; %bb.12:                               ;   in Loop: Header=BB40_11 Depth=1
	v_add_co_u32 v2, s6, s7, v52
	s_delay_alu instid0(VALU_DEP_1)
	v_add_co_ci_u32_e64 v3, s6, s8, v53, s6
	global_load_b128 v[2:5], v[2:3], off offset:64
	s_waitcnt vmcnt(0)
	ds_store_b128 v70, v[2:5]
.LBB40_13:                              ;   in Loop: Header=BB40_11 Depth=1
	s_or_b32 exec_lo, exec_lo, s9
	s_and_saveexec_b32 s9, s3
	s_cbranch_execz .LBB40_15
; %bb.14:                               ;   in Loop: Header=BB40_11 Depth=1
	v_add_co_u32 v2, s6, s7, v54
	s_delay_alu instid0(VALU_DEP_1) | instskip(NEXT) | instid1(VALU_DEP_2)
	v_add_co_ci_u32_e64 v3, s6, s8, v55, s6
	v_add_co_u32 v2, s6, v2, v79
	s_delay_alu instid0(VALU_DEP_1)
	v_add_co_ci_u32_e64 v3, s6, 0, v3, s6
	global_load_b128 v[2:5], v[2:3], off
	s_waitcnt vmcnt(0)
	ds_store_b128 v71, v[2:5]
.LBB40_15:                              ;   in Loop: Header=BB40_11 Depth=1
	s_or_b32 exec_lo, exec_lo, s9
	s_waitcnt lgkmcnt(0)
	s_barrier
	buffer_gl0_inv
	ds_load_b128 v[4:7], v68
	ds_load_b128 v[8:11], v69 offset:3264
	ds_load_b128 v[12:15], v69 offset:3424
	v_dual_mov_b32 v2, 0 :: v_dual_mov_b32 v3, 0
	s_waitcnt lgkmcnt(1)
	;;#ASMSTART
	v_dot2_f32_f16 v2, v4, v8, v2
	;;#ASMEND
	;;#ASMSTART
	v_dot2_f32_f16 v2, v5, v9, v2
	;;#ASMEND
	;;#ASMSTART
	v_dot2_f32_f16 v2, v6, v10, v2
	;;#ASMEND
	;;#ASMSTART
	v_dot2_f32_f16 v2, v7, v11, v2
	;;#ASMEND
	s_waitcnt lgkmcnt(0)
	;;#ASMSTART
	v_dot2_f32_f16 v3, v4, v12, v3
	;;#ASMEND
	;;#ASMSTART
	v_dot2_f32_f16 v3, v5, v13, v3
	;;#ASMEND
	;;#ASMSTART
	v_dot2_f32_f16 v3, v6, v14, v3
	;;#ASMEND
	;;#ASMSTART
	v_dot2_f32_f16 v3, v7, v15, v3
	;;#ASMEND
	ds_load_b128 v[4:7], v68 offset:16
	ds_load_b128 v[8:11], v69 offset:3280
	ds_load_b128 v[12:15], v69 offset:3440
	s_waitcnt lgkmcnt(1)
	;;#ASMSTART
	v_dot2_f32_f16 v2, v4, v8, v2
	;;#ASMEND
	;;#ASMSTART
	v_dot2_f32_f16 v2, v5, v9, v2
	;;#ASMEND
	;;#ASMSTART
	v_dot2_f32_f16 v2, v6, v10, v2
	;;#ASMEND
	;;#ASMSTART
	v_dot2_f32_f16 v2, v7, v11, v2
	;;#ASMEND
	s_waitcnt lgkmcnt(0)
	;;#ASMSTART
	v_dot2_f32_f16 v3, v4, v12, v3
	;;#ASMEND
	;;#ASMSTART
	v_dot2_f32_f16 v3, v5, v13, v3
	;;#ASMEND
	;;#ASMSTART
	v_dot2_f32_f16 v3, v6, v14, v3
	;;#ASMEND
	;;#ASMSTART
	v_dot2_f32_f16 v3, v7, v15, v3
	;;#ASMEND
	ds_load_b128 v[4:7], v68 offset:32
	ds_load_b128 v[8:11], v69 offset:3296
	ds_load_b128 v[12:15], v69 offset:3456
	;; [unrolled: 29-line block ×4, first 2 shown]
	s_waitcnt lgkmcnt(1)
	;;#ASMSTART
	v_dot2_f32_f16 v2, v4, v8, v2
	;;#ASMEND
	;;#ASMSTART
	v_dot2_f32_f16 v2, v5, v9, v2
	;;#ASMEND
	;; [unrolled: 3-line block ×4, first 2 shown]
	s_waitcnt lgkmcnt(0)
	;;#ASMSTART
	v_dot2_f32_f16 v3, v4, v12, v3
	;;#ASMEND
	;;#ASMSTART
	v_dot2_f32_f16 v3, v5, v13, v3
	;;#ASMEND
	;; [unrolled: 3-line block ×4, first 2 shown]
	s_barrier
	buffer_gl0_inv
	s_and_saveexec_b32 s9, vcc_lo
	s_cbranch_execz .LBB40_17
; %bb.16:                               ;   in Loop: Header=BB40_11 Depth=1
	v_add_co_u32 v4, s6, s7, v52
	s_delay_alu instid0(VALU_DEP_1)
	v_add_co_ci_u32_e64 v5, s6, s8, v53, s6
	global_load_b128 v[4:7], v[4:5], off offset:144
	s_waitcnt vmcnt(0)
	ds_store_b128 v70, v[4:7]
.LBB40_17:                              ;   in Loop: Header=BB40_11 Depth=1
	s_or_b32 exec_lo, exec_lo, s9
	s_and_saveexec_b32 s9, s3
	s_cbranch_execz .LBB40_19
; %bb.18:                               ;   in Loop: Header=BB40_11 Depth=1
	v_add_co_u32 v4, s6, s7, v54
	s_delay_alu instid0(VALU_DEP_1) | instskip(NEXT) | instid1(VALU_DEP_2)
	v_add_co_ci_u32_e64 v5, s6, s8, v55, s6
	v_add_co_u32 v4, s6, v4, v79
	s_delay_alu instid0(VALU_DEP_1)
	v_add_co_ci_u32_e64 v5, s6, 0, v5, s6
	global_load_b128 v[4:7], v[4:5], off offset:80
	s_waitcnt vmcnt(0)
	ds_store_b128 v71, v[4:7]
.LBB40_19:                              ;   in Loop: Header=BB40_11 Depth=1
	s_or_b32 exec_lo, exec_lo, s9
	s_waitcnt lgkmcnt(0)
	s_barrier
	buffer_gl0_inv
	ds_load_b128 v[4:7], v68
	ds_load_b128 v[8:11], v69 offset:3344
	ds_load_b128 v[12:15], v69 offset:3504
	v_xor_b32_e32 v82, 16, v62
	v_xor_b32_e32 v83, 8, v62
	;; [unrolled: 1-line block ×5, first 2 shown]
	s_mul_hi_i32 s27, s13, s15
	s_mul_i32 s26, s13, s15
	s_waitcnt lgkmcnt(1)
	;;#ASMSTART
	v_dot2_f32_f16 v2, v4, v8, v2
	;;#ASMEND
	;;#ASMSTART
	v_dot2_f32_f16 v2, v5, v9, v2
	;;#ASMEND
	;; [unrolled: 3-line block ×4, first 2 shown]
	s_waitcnt lgkmcnt(0)
	;;#ASMSTART
	v_dot2_f32_f16 v3, v4, v12, v3
	;;#ASMEND
	;;#ASMSTART
	v_dot2_f32_f16 v3, v5, v13, v3
	;;#ASMEND
	;; [unrolled: 3-line block ×4, first 2 shown]
	ds_load_b128 v[4:7], v68 offset:16
	ds_load_b128 v[8:11], v69 offset:3360
	;; [unrolled: 1-line block ×3, first 2 shown]
	s_lshl_b64 s[26:27], s[26:27], 2
	s_waitcnt lgkmcnt(1)
	;;#ASMSTART
	v_dot2_f32_f16 v2, v4, v8, v2
	;;#ASMEND
	;;#ASMSTART
	v_dot2_f32_f16 v2, v5, v9, v2
	;;#ASMEND
	;;#ASMSTART
	v_dot2_f32_f16 v2, v6, v10, v2
	;;#ASMEND
	;;#ASMSTART
	v_dot2_f32_f16 v2, v7, v11, v2
	;;#ASMEND
	s_waitcnt lgkmcnt(0)
	;;#ASMSTART
	v_dot2_f32_f16 v3, v4, v12, v3
	;;#ASMEND
	;;#ASMSTART
	v_dot2_f32_f16 v3, v5, v13, v3
	;;#ASMEND
	;;#ASMSTART
	v_dot2_f32_f16 v3, v6, v14, v3
	;;#ASMEND
	;;#ASMSTART
	v_dot2_f32_f16 v3, v7, v15, v3
	;;#ASMEND
	ds_load_b128 v[4:7], v68 offset:32
	ds_load_b128 v[8:11], v69 offset:3376
	;; [unrolled: 1-line block ×3, first 2 shown]
	s_add_u32 s23, s20, s26
	s_addc_u32 s26, s21, s27
	s_waitcnt lgkmcnt(1)
	;;#ASMSTART
	v_dot2_f32_f16 v2, v4, v8, v2
	;;#ASMEND
	;;#ASMSTART
	v_dot2_f32_f16 v2, v5, v9, v2
	;;#ASMEND
	;; [unrolled: 3-line block ×4, first 2 shown]
	s_waitcnt lgkmcnt(0)
	;;#ASMSTART
	v_dot2_f32_f16 v3, v4, v12, v3
	;;#ASMEND
	;;#ASMSTART
	v_dot2_f32_f16 v3, v5, v13, v3
	;;#ASMEND
	;; [unrolled: 3-line block ×4, first 2 shown]
	ds_load_b128 v[4:7], v68 offset:48
	ds_load_b128 v[8:11], v69 offset:3392
	;; [unrolled: 1-line block ×3, first 2 shown]
	s_waitcnt lgkmcnt(1)
	;;#ASMSTART
	v_dot2_f32_f16 v2, v4, v8, v2
	;;#ASMEND
	;;#ASMSTART
	v_dot2_f32_f16 v2, v5, v9, v2
	;;#ASMEND
	;;#ASMSTART
	v_dot2_f32_f16 v2, v6, v10, v2
	;;#ASMEND
	;;#ASMSTART
	v_dot2_f32_f16 v2, v7, v11, v2
	;;#ASMEND
	s_waitcnt lgkmcnt(0)
	;;#ASMSTART
	v_dot2_f32_f16 v3, v4, v12, v3
	;;#ASMEND
	;;#ASMSTART
	v_dot2_f32_f16 v3, v5, v13, v3
	;;#ASMEND
	;; [unrolled: 3-line block ×4, first 2 shown]
	ds_load_b128 v[4:7], v68 offset:64
	ds_load_b128 v[8:11], v69 offset:3408
	;; [unrolled: 1-line block ×3, first 2 shown]
	s_waitcnt lgkmcnt(1)
	;;#ASMSTART
	v_dot2_f32_f16 v2, v4, v8, v2
	;;#ASMEND
	;;#ASMSTART
	v_dot2_f32_f16 v2, v5, v9, v2
	;;#ASMEND
	;; [unrolled: 3-line block ×4, first 2 shown]
	s_waitcnt lgkmcnt(0)
	;;#ASMSTART
	v_dot2_f32_f16 v3, v4, v12, v3
	;;#ASMEND
	;;#ASMSTART
	v_dot2_f32_f16 v3, v5, v13, v3
	;;#ASMEND
	;; [unrolled: 3-line block ×4, first 2 shown]
	v_dual_max_f32 v7, v0, v0 :: v_dual_add_nc_u32 v16, s13, v51
	v_lshlrev_b32_e32 v93, 2, v73
	s_delay_alu instid0(VALU_DEP_2) | instskip(NEXT) | instid1(VALU_DEP_1)
	v_ashrrev_i32_e32 v17, 31, v16
	v_lshlrev_b64 v[16:17], 1, v[16:17]
	s_delay_alu instid0(VALU_DEP_1) | instskip(NEXT) | instid1(VALU_DEP_1)
	v_add_co_u32 v16, s6, s40, v16
	v_add_co_ci_u32_e64 v17, s6, s41, v17, s6
	v_cmp_gt_i32_e64 s6, 32, v82
	flat_load_u16 v4, v[16:17]
	s_waitcnt vmcnt(0) lgkmcnt(0)
	s_barrier
	buffer_gl0_inv
	v_cvt_f32_f16_e32 v4, v4
	s_delay_alu instid0(VALU_DEP_1) | instskip(SKIP_3) | instid1(VALU_DEP_4)
	v_dual_max_f32 v5, v1, v1 :: v_dual_add_f32 v2, v2, v4
	v_add_f32_e32 v3, v3, v4
	v_cndmask_b32_e64 v4, v62, v82, s6
	v_cmp_gt_i32_e64 s6, 32, v83
	v_add_f32_e32 v8, 0x40051340, v2
	s_delay_alu instid0(VALU_DEP_4) | instskip(NEXT) | instid1(VALU_DEP_1)
	v_add_f32_e32 v6, 0x40051340, v3
	v_dual_max_f32 v5, v5, v6 :: v_dual_lshlrev_b32 v4, 2, v4
	s_delay_alu instid0(VALU_DEP_3)
	v_max_f32_e32 v6, v7, v8
	v_cndmask_b32_e64 v8, v62, v83, s6
	v_cmp_gt_i32_e64 s6, 32, v84
	ds_bpermute_b32 v7, v4, v5
	s_waitcnt lgkmcnt(0)
	v_max_f32_e32 v7, v7, v7
	s_delay_alu instid0(VALU_DEP_1) | instskip(SKIP_4) | instid1(VALU_DEP_1)
	v_max_f32_e32 v5, v5, v7
	ds_bpermute_b32 v4, v4, v6
	v_lshlrev_b32_e32 v8, 2, v8
	s_waitcnt lgkmcnt(0)
	v_max_f32_e32 v4, v4, v4
	v_max_f32_e32 v4, v6, v4
	ds_bpermute_b32 v6, v8, v5
	s_waitcnt lgkmcnt(0)
	v_max_f32_e32 v6, v6, v6
	s_delay_alu instid0(VALU_DEP_1) | instskip(SKIP_3) | instid1(VALU_DEP_2)
	v_max_f32_e32 v5, v5, v6
	ds_bpermute_b32 v7, v8, v4
	v_cndmask_b32_e64 v8, v62, v84, s6
	v_cmp_gt_i32_e64 s6, 32, v85
	v_lshlrev_b32_e32 v8, 2, v8
	ds_bpermute_b32 v6, v8, v5
	s_waitcnt lgkmcnt(0)
	v_dual_max_f32 v7, v7, v7 :: v_dual_max_f32 v6, v6, v6
	s_delay_alu instid0(VALU_DEP_1) | instskip(SKIP_3) | instid1(VALU_DEP_2)
	v_dual_max_f32 v5, v5, v6 :: v_dual_max_f32 v4, v4, v7
	ds_bpermute_b32 v7, v8, v4
	v_cndmask_b32_e64 v8, v62, v85, s6
	v_cmp_gt_i32_e64 s6, 32, v86
	v_lshlrev_b32_e32 v8, 2, v8
	ds_bpermute_b32 v6, v8, v5
	s_waitcnt lgkmcnt(0)
	v_dual_max_f32 v7, v7, v7 :: v_dual_max_f32 v6, v6, v6
	s_delay_alu instid0(VALU_DEP_1) | instskip(SKIP_2) | instid1(VALU_DEP_1)
	v_dual_max_f32 v5, v5, v6 :: v_dual_max_f32 v4, v4, v7
	ds_bpermute_b32 v7, v8, v4
	v_cndmask_b32_e64 v8, v62, v86, s6
	v_lshlrev_b32_e32 v8, 2, v8
	ds_bpermute_b32 v6, v8, v5
	s_waitcnt lgkmcnt(0)
	v_dual_max_f32 v7, v7, v7 :: v_dual_max_f32 v6, v6, v6
	s_delay_alu instid0(VALU_DEP_1) | instskip(NEXT) | instid1(VALU_DEP_1)
	v_max_f32_e32 v61, v5, v6
	v_dual_sub_f32 v3, v3, v61 :: v_dual_max_f32 v4, v4, v7
	v_sub_f32_e32 v92, v1, v61
	s_delay_alu instid0(VALU_DEP_2)
	v_cmp_ngt_f32_e64 s6, 0xc2ce8ed0, v3
	ds_bpermute_b32 v7, v8, v4
	v_cmp_ngt_f32_e64 s9, 0xc2ce8ed0, v92
	v_cmp_nlt_f32_e64 s8, 0x42b17218, v92
	s_waitcnt lgkmcnt(0)
	v_max_f32_e32 v7, v7, v7
	s_delay_alu instid0(VALU_DEP_1) | instskip(SKIP_1) | instid1(VALU_DEP_2)
	v_max_f32_e32 v60, v4, v7
	v_mul_f32_e32 v4, 0x3fb8aa3b, v3
	v_sub_f32_e32 v2, v2, v60
	s_delay_alu instid0(VALU_DEP_2) | instskip(SKIP_2) | instid1(VALU_DEP_4)
	v_fma_f32 v6, 0x3fb8aa3b, v3, -v4
	v_rndne_f32_e32 v7, v4
	v_sub_f32_e32 v91, v0, v60
	v_mul_f32_e32 v5, 0x3fb8aa3b, v2
	s_delay_alu instid0(VALU_DEP_4) | instskip(NEXT) | instid1(VALU_DEP_4)
	v_fmac_f32_e32 v6, 0x32a5705f, v3
	v_sub_f32_e32 v4, v4, v7
	s_delay_alu instid0(VALU_DEP_4) | instskip(NEXT) | instid1(VALU_DEP_4)
	v_cmp_ngt_f32_e64 s7, 0xc2ce8ed0, v91
	v_fma_f32 v8, 0x3fb8aa3b, v2, -v5
	v_rndne_f32_e32 v9, v5
	s_delay_alu instid0(VALU_DEP_4) | instskip(SKIP_1) | instid1(VALU_DEP_3)
	v_add_f32_e32 v4, v4, v6
	v_cvt_i32_f32_e32 v6, v7
	v_dual_fmac_f32 v8, 0x32a5705f, v2 :: v_dual_sub_f32 v5, v5, v9
	s_delay_alu instid0(VALU_DEP_3) | instskip(SKIP_1) | instid1(VALU_DEP_2)
	v_exp_f32_e32 v4, v4
	v_cvt_i32_f32_e32 v7, v9
	v_add_f32_e32 v5, v5, v8
	s_delay_alu instid0(VALU_DEP_1) | instskip(SKIP_2) | instid1(VALU_DEP_1)
	v_exp_f32_e32 v5, v5
	s_waitcnt_depctr 0xfff
	v_ldexp_f32 v4, v4, v6
	v_cndmask_b32_e64 v4, 0, v4, s6
	v_cmp_ngt_f32_e64 s6, 0xc2ce8ed0, v2
	v_ldexp_f32 v5, v5, v7
	s_delay_alu instid0(VALU_DEP_1) | instskip(SKIP_1) | instid1(VALU_DEP_1)
	v_cndmask_b32_e64 v5, 0, v5, s6
	v_cmp_nlt_f32_e64 s6, 0x42b17218, v3
	v_cndmask_b32_e64 v87, 0x7f800000, v4, s6
	v_cmp_nlt_f32_e64 s6, 0x42b17218, v2
	s_delay_alu instid0(VALU_DEP_2) | instskip(NEXT) | instid1(VALU_DEP_2)
	v_cvt_f16_f32_e32 v0, v87
	v_cndmask_b32_e64 v88, 0x7f800000, v5, s6
	v_cmp_nlt_f32_e64 s6, 0x42b17218, v91
	s_delay_alu instid0(VALU_DEP_2) | instskip(NEXT) | instid1(VALU_DEP_1)
	v_cvt_f16_f32_e32 v1, v88
	v_pack_b32_f16 v0, v1, v0
	ds_store_b32 v74, v0
	s_and_saveexec_b32 s27, s4
	s_cbranch_execz .LBB40_21
; %bb.20:                               ;   in Loop: Header=BB40_11 Depth=1
	v_add_co_u32 v0, s10, s23, v56
	s_delay_alu instid0(VALU_DEP_1) | instskip(NEXT) | instid1(VALU_DEP_2)
	v_add_co_ci_u32_e64 v1, s10, s26, v57, s10
	v_add_co_u32 v0, s10, v0, v93
	s_delay_alu instid0(VALU_DEP_1)
	v_add_co_ci_u32_e64 v1, s10, 0, v1, s10
	global_load_b128 v[0:3], v[0:1], off offset:128
	s_waitcnt vmcnt(0)
	ds_store_b128 v77, v[0:3]
.LBB40_21:                              ;   in Loop: Header=BB40_11 Depth=1
	s_or_b32 exec_lo, exec_lo, s27
	v_lshlrev_b32_e32 v94, 2, v75
	s_and_saveexec_b32 s27, s5
	s_cbranch_execz .LBB40_23
; %bb.22:                               ;   in Loop: Header=BB40_11 Depth=1
	v_add_co_u32 v0, s10, s23, v58
	s_delay_alu instid0(VALU_DEP_1) | instskip(NEXT) | instid1(VALU_DEP_2)
	v_add_co_ci_u32_e64 v1, s10, s26, v59, s10
	v_add_co_u32 v0, s10, v0, v94
	s_delay_alu instid0(VALU_DEP_1)
	v_add_co_ci_u32_e64 v1, s10, 0, v1, s10
	global_load_b128 v[0:3], v[0:1], off
	s_waitcnt vmcnt(0)
	ds_store_b128 v78, v[0:3]
.LBB40_23:                              ;   in Loop: Header=BB40_11 Depth=1
	s_or_b32 exec_lo, exec_lo, s27
	s_waitcnt lgkmcnt(0)
	s_barrier
	buffer_gl0_inv
	ds_load_2addr_b64 v[40:43], v76 offset1:20
	ds_load_b128 v[32:35], v72
	ds_load_b128 v[24:27], v72 offset:16
	ds_load_b128 v[8:11], v72 offset:32
	ds_load_b128 v[0:3], v72 offset:48
	ds_load_2addr_b64 v[36:39], v76 offset0:40 offset1:60
	ds_load_2addr_b64 v[28:31], v76 offset0:80 offset1:100
	v_add_nc_u32_e32 v90, 0x400, v76
	v_add_nc_u32_e32 v89, 0x800, v76
	ds_load_2addr_b64 v[44:47], v76 offset0:120 offset1:140
	ds_load_2addr_b64 v[20:23], v76 offset0:160 offset1:180
	;; [unrolled: 1-line block ×5, first 2 shown]
	s_or_b32 s10, s13, 16
	s_waitcnt lgkmcnt(0)
	s_mul_hi_i32 s27, s10, s15
	s_mul_i32 s26, s10, s15
	s_barrier
	s_lshl_b64 s[26:27], s[26:27], 2
	buffer_gl0_inv
	s_add_u32 s23, s20, s26
	s_addc_u32 s26, s21, s27
	s_and_saveexec_b32 s27, s4
	s_cbranch_execz .LBB40_25
; %bb.24:                               ;   in Loop: Header=BB40_11 Depth=1
	v_add_co_u32 v95, s10, s23, v56
	s_delay_alu instid0(VALU_DEP_1) | instskip(NEXT) | instid1(VALU_DEP_2)
	v_add_co_ci_u32_e64 v96, s10, s26, v57, s10
	v_add_co_u32 v95, s10, v95, v93
	s_delay_alu instid0(VALU_DEP_1)
	v_add_co_ci_u32_e64 v96, s10, 0, v96, s10
	global_load_b128 v[95:98], v[95:96], off offset:128
	s_waitcnt vmcnt(0)
	ds_store_b128 v77, v[95:98]
.LBB40_25:                              ;   in Loop: Header=BB40_11 Depth=1
	s_or_b32 exec_lo, exec_lo, s27
	s_and_saveexec_b32 s27, s5
	s_cbranch_execz .LBB40_27
; %bb.26:                               ;   in Loop: Header=BB40_11 Depth=1
	v_add_co_u32 v93, s10, s23, v58
	s_delay_alu instid0(VALU_DEP_1) | instskip(NEXT) | instid1(VALU_DEP_2)
	v_add_co_ci_u32_e64 v95, s10, s26, v59, s10
	v_add_co_u32 v93, s10, v93, v94
	s_delay_alu instid0(VALU_DEP_1)
	v_add_co_ci_u32_e64 v94, s10, 0, v95, s10
	global_load_b128 v[93:96], v[93:94], off
	s_waitcnt vmcnt(0)
	ds_store_b128 v78, v[93:96]
.LBB40_27:                              ;   in Loop: Header=BB40_11 Depth=1
	s_or_b32 exec_lo, exec_lo, s27
	v_dual_mul_f32 v93, 0x3fb8aa3b, v91 :: v_dual_mul_f32 v94, 0x3fb8aa3b, v92
	s_waitcnt lgkmcnt(0)
	s_barrier
	buffer_gl0_inv
	v_fma_f32 v95, 0x3fb8aa3b, v91, -v93
	v_fma_f32 v96, 0x3fb8aa3b, v92, -v94
	v_rndne_f32_e32 v97, v94
	v_rndne_f32_e32 v98, v93
	s_delay_alu instid0(VALU_DEP_3) | instskip(NEXT) | instid1(VALU_DEP_2)
	v_dual_fmac_f32 v95, 0x32a5705f, v91 :: v_dual_fmac_f32 v96, 0x32a5705f, v92
	v_dual_sub_f32 v91, v94, v97 :: v_dual_sub_f32 v92, v93, v98
	v_cvt_i32_f32_e32 v93, v97
	v_cvt_i32_f32_e32 v94, v98
	s_delay_alu instid0(VALU_DEP_3) | instskip(SKIP_1) | instid1(VALU_DEP_2)
	v_dual_add_f32 v91, v91, v96 :: v_dual_add_f32 v92, v92, v95
	v_pk_mul_f16 v96, v41, v32 op_sel_hi:[1,0]
	v_exp_f32_e32 v91, v91
	s_delay_alu instid0(VALU_DEP_2)
	v_exp_f32_e32 v92, v92
	s_waitcnt_depctr 0xfff
	v_ldexp_f32 v91, v91, v93
	v_ldexp_f32 v92, v92, v94
	v_pk_mul_f16 v93, v40, v32 op_sel_hi:[1,0]
	v_pk_mul_f16 v40, v40, v32 op_sel:[0,1]
	s_delay_alu instid0(VALU_DEP_4) | instskip(NEXT) | instid1(VALU_DEP_4)
	v_cndmask_b32_e64 v91, 0, v91, s9
	v_cndmask_b32_e64 v92, 0, v92, s7
	s_delay_alu instid0(VALU_DEP_2) | instskip(NEXT) | instid1(VALU_DEP_2)
	v_cndmask_b32_e64 v91, 0x7f800000, v91, s8
	v_cndmask_b32_e64 v92, 0x7f800000, v92, s6
	s_delay_alu instid0(VALU_DEP_2) | instskip(NEXT) | instid1(VALU_DEP_2)
	v_cvt_f16_f32_e32 v94, v91
	v_cvt_f16_f32_e32 v95, v92
	v_dual_fmac_f32 v88, v81, v92 :: v_dual_fmac_f32 v87, v80, v91
	s_delay_alu instid0(VALU_DEP_3) | instskip(NEXT) | instid1(VALU_DEP_3)
	v_pk_mul_f16 v63, v94, v63 op_sel_hi:[0,1]
	v_pk_fma_f16 v66, v95, v66, v93 op_sel_hi:[0,1,1]
	v_pk_fma_f16 v40, v94, v64, v40 op_sel_hi:[0,1,1]
	;; [unrolled: 1-line block ×3, first 2 shown]
	s_delay_alu instid0(VALU_DEP_4) | instskip(NEXT) | instid1(VALU_DEP_4)
	v_pk_fma_f16 v32, v41, v32, v63 op_sel:[0,1,0]
	v_pk_fma_f16 v41, v42, v33, v66 op_sel_hi:[1,0,1]
	s_delay_alu instid0(VALU_DEP_4) | instskip(NEXT) | instid1(VALU_DEP_4)
	v_pk_fma_f16 v40, v42, v33, v40 op_sel:[0,1,0]
	v_pk_fma_f16 v42, v43, v33, v64 op_sel_hi:[1,0,1]
	;; [unrolled: 3-line block ×20, first 2 shown]
	ds_load_2addr_b64 v[20:23], v76 offset1:20
	v_pk_fma_f16 v8, v17, v10, v8 op_sel:[0,1,0]
	v_pk_fma_f16 v9, v18, v11, v9 op_sel_hi:[1,0,1]
	v_pk_fma_f16 v10, v18, v11, v16 op_sel:[0,1,0]
	v_pk_fma_f16 v16, v19, v11, v24 op_sel_hi:[1,0,1]
	s_delay_alu instid0(VALU_DEP_4) | instskip(NEXT) | instid1(VALU_DEP_4)
	v_pk_fma_f16 v17, v19, v11, v8 op_sel:[0,1,0]
	v_pk_fma_f16 v24, v12, v0, v9 op_sel_hi:[1,0,1]
	s_delay_alu instid0(VALU_DEP_4)
	v_pk_fma_f16 v12, v12, v0, v10 op_sel:[0,1,0]
	ds_load_b128 v[8:11], v72 offset:64
	v_pk_fma_f16 v25, v13, v0, v16 op_sel_hi:[1,0,1]
	v_pk_fma_f16 v0, v13, v0, v17 op_sel:[0,1,0]
	ds_load_b128 v[16:19], v72 offset:80
	v_pk_fma_f16 v24, v14, v1, v24 op_sel_hi:[1,0,1]
	v_pk_fma_f16 v26, v14, v1, v12 op_sel:[0,1,0]
	v_pk_fma_f16 v25, v15, v1, v25 op_sel_hi:[1,0,1]
	v_pk_fma_f16 v0, v15, v1, v0 op_sel:[0,1,0]
	ds_load_2addr_b64 v[12:15], v76 offset0:40 offset1:60
	v_pk_fma_f16 v1, v4, v2, v24 op_sel_hi:[1,0,1]
	v_pk_fma_f16 v4, v4, v2, v26 op_sel:[0,1,0]
	v_pk_fma_f16 v32, v5, v2, v25 op_sel_hi:[1,0,1]
	v_pk_fma_f16 v0, v5, v2, v0 op_sel:[0,1,0]
	ds_load_b128 v[24:27], v72 offset:96
	ds_load_b128 v[28:31], v72 offset:112
	v_pk_fma_f16 v5, v6, v3, v1 op_sel_hi:[1,0,1]
	v_pk_fma_f16 v4, v6, v3, v4 op_sel:[0,1,0]
	v_pk_fma_f16 v6, v7, v3, v32 op_sel_hi:[1,0,1]
	v_pk_fma_f16 v7, v7, v3, v0 op_sel:[0,1,0]
	ds_load_2addr_b64 v[0:3], v76 offset0:80 offset1:100
	s_waitcnt lgkmcnt(5)
	v_pk_fma_f16 v32, v20, v8, v5 op_sel_hi:[1,0,1]
	v_pk_fma_f16 v20, v20, v8, v4 op_sel:[0,1,0]
	v_pk_fma_f16 v33, v21, v8, v6 op_sel_hi:[1,0,1]
	v_pk_fma_f16 v8, v21, v8, v7 op_sel:[0,1,0]
	ds_load_2addr_b64 v[4:7], v76 offset0:120 offset1:140
	v_pk_fma_f16 v32, v22, v9, v32 op_sel_hi:[1,0,1]
	v_pk_fma_f16 v34, v22, v9, v20 op_sel:[0,1,0]
	v_pk_fma_f16 v33, v23, v9, v33 op_sel_hi:[1,0,1]
	v_pk_fma_f16 v8, v23, v9, v8 op_sel:[0,1,0]
	ds_load_2addr_b64 v[20:23], v76 offset0:160 offset1:180
	s_waitcnt lgkmcnt(5)
	v_pk_fma_f16 v9, v12, v10, v32 op_sel_hi:[1,0,1]
	v_pk_fma_f16 v12, v12, v10, v34 op_sel:[0,1,0]
	v_pk_fma_f16 v36, v13, v10, v33 op_sel_hi:[1,0,1]
	v_pk_fma_f16 v8, v13, v10, v8 op_sel:[0,1,0]
	ds_load_2addr_b64 v[32:35], v76 offset0:200 offset1:220
	;; [unrolled: 11-line block ×3, first 2 shown]
	v_pk_fma_f16 v16, v2, v17, v36 op_sel_hi:[1,0,1]
	v_pk_fma_f16 v0, v2, v17, v0 op_sel:[0,1,0]
	v_pk_fma_f16 v2, v3, v17, v37 op_sel_hi:[1,0,1]
	v_pk_fma_f16 v1, v3, v17, v1 op_sel:[0,1,0]
	s_waitcnt lgkmcnt(0)
	v_pk_fma_f16 v3, v4, v18, v16 op_sel_hi:[1,0,1]
	v_pk_fma_f16 v0, v4, v18, v0 op_sel:[0,1,0]
	v_pk_fma_f16 v2, v5, v18, v2 op_sel_hi:[1,0,1]
	v_pk_fma_f16 v1, v5, v18, v1 op_sel:[0,1,0]
	s_barrier
	v_pk_fma_f16 v3, v6, v19, v3 op_sel_hi:[1,0,1]
	v_pk_fma_f16 v0, v6, v19, v0 op_sel:[0,1,0]
	v_pk_fma_f16 v2, v7, v19, v2 op_sel_hi:[1,0,1]
	v_pk_fma_f16 v1, v7, v19, v1 op_sel:[0,1,0]
	buffer_gl0_inv
	v_pk_fma_f16 v3, v20, v24, v3 op_sel_hi:[1,0,1]
	v_pk_fma_f16 v0, v20, v24, v0 op_sel:[0,1,0]
	v_pk_fma_f16 v2, v21, v24, v2 op_sel_hi:[1,0,1]
	v_pk_fma_f16 v1, v21, v24, v1 op_sel:[0,1,0]
	s_load_b32 s6, s[16:17], 0x4
	v_pk_fma_f16 v3, v22, v25, v3 op_sel_hi:[1,0,1]
	v_pk_fma_f16 v0, v22, v25, v0 op_sel:[0,1,0]
	v_pk_fma_f16 v2, v23, v25, v2 op_sel_hi:[1,0,1]
	v_pk_fma_f16 v1, v23, v25, v1 op_sel:[0,1,0]
	s_delay_alu instid0(VALU_DEP_4) | instskip(NEXT) | instid1(VALU_DEP_4)
	v_pk_fma_f16 v3, v32, v26, v3 op_sel_hi:[1,0,1]
	v_pk_fma_f16 v0, v32, v26, v0 op_sel:[0,1,0]
	s_delay_alu instid0(VALU_DEP_4) | instskip(NEXT) | instid1(VALU_DEP_4)
	;; [unrolled: 3-line block ×6, first 2 shown]
	v_pk_fma_f16 v2, v9, v28, v2 op_sel_hi:[1,0,1]
	v_pk_fma_f16 v1, v9, v28, v1 op_sel:[0,1,0]
	s_waitcnt lgkmcnt(0)
	s_lshl_b32 s6, s6, 5
	v_pk_fma_f16 v3, v10, v29, v3 op_sel_hi:[1,0,1]
	v_pk_fma_f16 v0, v10, v29, v0 op_sel:[0,1,0]
	v_pk_fma_f16 v2, v11, v29, v2 op_sel_hi:[1,0,1]
	v_pk_fma_f16 v1, v11, v29, v1 op_sel:[0,1,0]
	s_add_i32 s13, s6, s13
	v_pk_fma_f16 v3, v12, v30, v3 op_sel_hi:[1,0,1]
	v_pk_fma_f16 v0, v12, v30, v0 op_sel:[0,1,0]
	v_pk_fma_f16 v2, v13, v30, v2 op_sel_hi:[1,0,1]
	v_pk_fma_f16 v1, v13, v30, v1 op_sel:[0,1,0]
	s_cmp_ge_i32 s13, s34
	v_pk_fma_f16 v66, v14, v31, v3 op_sel_hi:[1,0,1]
	v_pk_fma_f16 v64, v14, v31, v0 op_sel:[0,1,0]
	v_pk_fma_f16 v67, v15, v31, v2 op_sel_hi:[1,0,1]
	v_pk_fma_f16 v63, v15, v31, v1 op_sel:[0,1,0]
	s_cbranch_scc1 .LBB40_29
; %bb.28:                               ;   in Loop: Header=BB40_11 Depth=1
	v_dual_mov_b32 v0, v60 :: v_dual_mov_b32 v1, v61
	v_dual_mov_b32 v81, v88 :: v_dual_mov_b32 v80, v87
	s_branch .LBB40_11
.LBB40_29:
	v_mov_b32_e32 v3, v62
.LBB40_30:
	v_cmp_lt_i32_e32 vcc_lo, v82, v65
	s_cmp_lg_u64 s[24:25], 0
	s_cselect_b32 s3, -1, 0
	s_cmp_eq_u32 s14, 0
	v_cndmask_b32_e32 v0, v3, v82, vcc_lo
	v_cmp_lt_i32_e32 vcc_lo, v83, v65
	s_cselect_b32 s4, -1, 0
	s_delay_alu instid0(SALU_CYCLE_1)
	s_and_b32 s3, s4, s3
	v_cndmask_b32_e32 v2, v3, v83, vcc_lo
	v_cmp_lt_i32_e32 vcc_lo, v84, v65
	v_cndmask_b32_e32 v5, v3, v84, vcc_lo
	v_cmp_lt_i32_e32 vcc_lo, v85, v65
	v_lshlrev_b32_e32 v0, 2, v0
	s_delay_alu instid0(VALU_DEP_3)
	v_lshlrev_b32_e32 v5, 2, v5
	ds_bpermute_b32 v1, v0, v88
	ds_bpermute_b32 v0, v0, v87
	s_waitcnt lgkmcnt(1)
	v_dual_add_f32 v1, v88, v1 :: v_dual_lshlrev_b32 v2, 2, v2
	s_waitcnt lgkmcnt(0)
	v_add_f32_e32 v0, v87, v0
	ds_bpermute_b32 v4, v2, v1
	s_waitcnt lgkmcnt(0)
	v_add_f32_e32 v1, v1, v4
	ds_bpermute_b32 v2, v2, v0
	;; [unrolled: 3-line block ×3, first 2 shown]
	ds_bpermute_b32 v4, v5, v0
	v_cndmask_b32_e32 v5, v3, v85, vcc_lo
	v_cmp_lt_i32_e32 vcc_lo, v86, v65
	s_delay_alu instid0(VALU_DEP_2)
	v_lshlrev_b32_e32 v5, 2, v5
	s_waitcnt lgkmcnt(0)
	v_dual_add_f32 v1, v1, v2 :: v_dual_add_f32 v0, v0, v4
	ds_bpermute_b32 v2, v5, v1
	ds_bpermute_b32 v4, v5, v0
	v_cndmask_b32_e32 v3, v3, v86, vcc_lo
	s_and_b32 vcc_lo, exec_lo, s3
	s_waitcnt lgkmcnt(0)
	v_dual_add_f32 v1, v1, v2 :: v_dual_add_f32 v2, v0, v4
	s_delay_alu instid0(VALU_DEP_2)
	v_lshlrev_b32_e32 v3, 2, v3
	ds_bpermute_b32 v0, v3, v1
	s_waitcnt lgkmcnt(0)
	v_add_f32_e32 v0, v1, v0
	ds_bpermute_b32 v3, v3, v2
	s_waitcnt lgkmcnt(0)
	v_add_f32_e32 v1, v2, v3
	s_cbranch_vccz .LBB40_33
; %bb.31:
	s_ashr_i32 s13, s12, 31
	v_mov_b32_e32 v2, 0
	s_lshl_b64 s[4:5], s[12:13], 2
	s_delay_alu instid0(SALU_CYCLE_1) | instskip(SKIP_4) | instid1(VALU_DEP_1)
	s_add_u32 s4, s24, s4
	s_addc_u32 s5, s25, s5
	global_load_b64 v[2:3], v2, s[4:5]
	s_waitcnt vmcnt(0)
	v_dual_max_f32 v4, v60, v60 :: v_dual_max_f32 v5, v2, v2
	v_dual_max_f32 v7, v3, v3 :: v_dual_max_f32 v4, v4, v5
	s_delay_alu instid0(VALU_DEP_1) | instskip(NEXT) | instid1(VALU_DEP_1)
	v_sub_f32_e32 v2, v2, v4
	v_dual_max_f32 v6, v61, v61 :: v_dual_mul_f32 v9, 0x3fb8aa3b, v2
	s_delay_alu instid0(VALU_DEP_1) | instskip(NEXT) | instid1(VALU_DEP_2)
	v_dual_max_f32 v5, v6, v7 :: v_dual_sub_f32 v6, v60, v4
	v_rndne_f32_e32 v15, v9
	s_delay_alu instid0(VALU_DEP_2) | instskip(NEXT) | instid1(VALU_DEP_3)
	v_sub_f32_e32 v7, v61, v5
	v_dual_sub_f32 v3, v3, v5 :: v_dual_mul_f32 v8, 0x3fb8aa3b, v6
	v_fma_f32 v14, 0x3fb8aa3b, v2, -v9
	v_cmp_ngt_f32_e32 vcc_lo, 0xc2ce8ed0, v6
	v_sub_f32_e32 v9, v9, v15
	s_delay_alu instid0(VALU_DEP_4) | instskip(SKIP_3) | instid1(VALU_DEP_4)
	v_mul_f32_e32 v11, 0x3fb8aa3b, v3
	v_fma_f32 v12, 0x3fb8aa3b, v6, -v8
	v_rndne_f32_e32 v13, v8
	v_dual_mov_b32 v61, v5 :: v_dual_mov_b32 v60, v4
	v_rndne_f32_e32 v19, v11
	s_delay_alu instid0(VALU_DEP_4) | instskip(NEXT) | instid1(VALU_DEP_4)
	v_fmac_f32_e32 v12, 0x32a5705f, v6
	v_sub_f32_e32 v8, v8, v13
	v_fma_f32 v18, 0x3fb8aa3b, v3, -v11
	s_delay_alu instid0(VALU_DEP_2) | instskip(SKIP_1) | instid1(VALU_DEP_3)
	v_dual_sub_f32 v11, v11, v19 :: v_dual_add_f32 v8, v8, v12
	v_cvt_i32_f32_e32 v12, v13
	v_fmac_f32_e32 v18, 0x32a5705f, v3
	v_cvt_i32_f32_e32 v13, v15
	v_cvt_i32_f32_e32 v15, v19
	v_exp_f32_e32 v8, v8
	s_delay_alu instid0(VALU_DEP_3) | instskip(NEXT) | instid1(VALU_DEP_1)
	v_add_f32_e32 v11, v11, v18
	v_exp_f32_e32 v11, v11
	s_waitcnt_depctr 0xfff
	v_ldexp_f32 v8, v8, v12
	s_delay_alu instid0(VALU_DEP_1) | instskip(SKIP_4) | instid1(VALU_DEP_3)
	v_cndmask_b32_e32 v8, 0, v8, vcc_lo
	v_cmp_ngt_f32_e32 vcc_lo, 0xc2ce8ed0, v2
	v_fmac_f32_e32 v14, 0x32a5705f, v2
	v_mul_f32_e32 v10, 0x3fb8aa3b, v7
	v_ldexp_f32 v11, v11, v15
	v_add_f32_e32 v9, v9, v14
	s_delay_alu instid0(VALU_DEP_3) | instskip(SKIP_1) | instid1(VALU_DEP_3)
	v_fma_f32 v16, 0x3fb8aa3b, v7, -v10
	v_rndne_f32_e32 v17, v10
	v_exp_f32_e32 v9, v9
	s_delay_alu instid0(VALU_DEP_2) | instskip(NEXT) | instid1(VALU_DEP_2)
	v_fmac_f32_e32 v16, 0x32a5705f, v7
	v_sub_f32_e32 v10, v10, v17
	v_cvt_i32_f32_e32 v14, v17
	s_delay_alu instid0(VALU_DEP_2) | instskip(SKIP_3) | instid1(VALU_DEP_1)
	v_add_f32_e32 v10, v10, v16
	s_waitcnt_depctr 0xfff
	v_ldexp_f32 v9, v9, v13
	v_exp_f32_e32 v10, v10
	v_cndmask_b32_e32 v9, 0, v9, vcc_lo
	v_cmp_ngt_f32_e32 vcc_lo, 0xc2ce8ed0, v7
	s_waitcnt_depctr 0xfff
	v_ldexp_f32 v10, v10, v14
	s_delay_alu instid0(VALU_DEP_1)
	v_cndmask_b32_e32 v10, 0, v10, vcc_lo
	v_cmp_ngt_f32_e32 vcc_lo, 0xc2ce8ed0, v3
	v_cndmask_b32_e32 v11, 0, v11, vcc_lo
	v_cmp_nlt_f32_e32 vcc_lo, 0x42b17218, v6
	v_cndmask_b32_e32 v6, 0x7f800000, v8, vcc_lo
	v_cmp_nlt_f32_e32 vcc_lo, 0x42b17218, v2
	s_delay_alu instid0(VALU_DEP_2) | instskip(SKIP_2) | instid1(VALU_DEP_3)
	v_cvt_f16_f32_e32 v8, v6
	v_cndmask_b32_e32 v2, 0x7f800000, v9, vcc_lo
	v_cmp_nlt_f32_e32 vcc_lo, 0x42b17218, v7
	v_pk_mul_f16 v66, v8, v66 op_sel_hi:[0,1]
	s_delay_alu instid0(VALU_DEP_3) | instskip(SKIP_3) | instid1(VALU_DEP_4)
	v_fmac_f32_e32 v2, v0, v6
	v_cndmask_b32_e32 v7, 0x7f800000, v10, vcc_lo
	v_cmp_nlt_f32_e32 vcc_lo, 0x42b17218, v3
	v_pk_mul_f16 v67, v8, v67 op_sel_hi:[0,1]
	v_mov_b32_e32 v0, v2
	s_delay_alu instid0(VALU_DEP_4) | instskip(SKIP_1) | instid1(VALU_DEP_2)
	v_cvt_f16_f32_e32 v4, v7
	v_cndmask_b32_e32 v3, 0x7f800000, v11, vcc_lo
	v_pk_mul_f16 v64, v4, v64 op_sel_hi:[0,1]
	s_delay_alu instid0(VALU_DEP_2) | instskip(SKIP_1) | instid1(VALU_DEP_2)
	v_fmac_f32_e32 v3, v1, v7
	v_pk_mul_f16 v63, v4, v63 op_sel_hi:[0,1]
	v_mov_b32_e32 v1, v3
	s_mov_b32 s3, exec_lo
	v_cmpx_gt_i32_e64 s38, v50
	s_cbranch_execnz .LBB40_34
.LBB40_32:
	s_nop 0
	s_sendmsg sendmsg(MSG_DEALLOC_VGPRS)
	s_endpgm
.LBB40_33:
	s_delay_alu instid0(VALU_DEP_1)
	v_dual_mov_b32 v3, v1 :: v_dual_mov_b32 v2, v0
	s_mov_b32 s3, exec_lo
	v_cmpx_gt_i32_e64 s38, v50
	s_cbranch_execz .LBB40_32
.LBB40_34:
	s_load_b32 s0, s[0:1], 0xd4
	v_mov_b32_e32 v6, 1.0
	s_waitcnt lgkmcnt(0)
	s_cmp_lg_u32 s0, 1
	s_cselect_b32 s3, -1, 0
	s_cmp_eq_u32 s0, 1
	s_cselect_b32 s1, -1, 0
	s_and_b32 vcc_lo, exec_lo, s3
	s_cbranch_vccnz .LBB40_36
; %bb.35:
	v_div_scale_f32 v4, null, v0, v0, 1.0
	s_delay_alu instid0(VALU_DEP_1) | instskip(SKIP_2) | instid1(VALU_DEP_1)
	v_rcp_f32_e32 v5, v4
	s_waitcnt_depctr 0xfff
	v_fma_f32 v6, -v4, v5, 1.0
	v_fmac_f32_e32 v5, v6, v5
	v_div_scale_f32 v6, vcc_lo, 1.0, v0, 1.0
	s_delay_alu instid0(VALU_DEP_1) | instskip(NEXT) | instid1(VALU_DEP_1)
	v_mul_f32_e32 v7, v6, v5
	v_fma_f32 v8, -v4, v7, v6
	s_delay_alu instid0(VALU_DEP_1) | instskip(NEXT) | instid1(VALU_DEP_1)
	v_fmac_f32_e32 v7, v8, v5
	v_fma_f32 v4, -v4, v7, v6
	s_delay_alu instid0(VALU_DEP_1) | instskip(NEXT) | instid1(VALU_DEP_1)
	v_div_fmas_f32 v4, v4, v5, v7
	v_div_fixup_f32 v6, v4, v0, 1.0
.LBB40_36:
	v_mad_u64_u32 v[4:5], null, s11, s38, v[50:51]
	s_delay_alu instid0(VALU_DEP_1) | instskip(NEXT) | instid1(VALU_DEP_1)
	v_mad_u64_u32 v[7:8], null, v4, s39, s[12:13]
	v_mad_u64_u32 v[4:5], null, s0, v7, s[14:15]
	s_and_saveexec_b32 s4, s2
	s_cbranch_execz .LBB40_38
; %bb.37:
	v_lshrrev_b32_e32 v0, 16, v67
	s_delay_alu instid0(VALU_DEP_2) | instskip(SKIP_2) | instid1(VALU_DEP_4)
	v_mad_u64_u32 v[7:8], null, 0x50, v4, v[48:49]
	v_lshrrev_b32_e32 v5, 16, v66
	v_cvt_f32_f16_e32 v12, v67
	v_cvt_f32_f16_e32 v0, v0
	v_mov_b32_e32 v8, 0
	v_cvt_f32_f16_e32 v13, v66
	v_cvt_f32_f16_e32 v5, v5
	s_delay_alu instid0(VALU_DEP_4) | instskip(NEXT) | instid1(VALU_DEP_4)
	v_mul_f32_e32 v9, v6, v0
	v_lshlrev_b64 v[10:11], 2, v[7:8]
	v_mul_f32_e32 v8, v6, v12
	s_delay_alu instid0(VALU_DEP_4) | instskip(SKIP_1) | instid1(VALU_DEP_4)
	v_mul_f32_e32 v7, v6, v5
	v_mul_f32_e32 v6, v6, v13
	v_add_co_u32 v10, vcc_lo, s28, v10
	v_add_co_ci_u32_e32 v11, vcc_lo, s29, v11, vcc_lo
	global_store_b128 v[10:11], v[6:9], off
.LBB40_38:
	s_or_b32 exec_lo, exec_lo, s4
	v_cmp_eq_u32_e32 vcc_lo, 0, v49
	s_and_b32 s3, vcc_lo, s3
	s_delay_alu instid0(SALU_CYCLE_1)
	s_and_saveexec_b32 s4, s3
	s_cbranch_execnz .LBB40_42
; %bb.39:
	s_or_b32 exec_lo, exec_lo, s4
	v_mov_b32_e32 v2, 1.0
	s_and_not1_b32 vcc_lo, exec_lo, s1
	s_cbranch_vccz .LBB40_43
.LBB40_40:
	v_add_nc_u32_e32 v0, s0, v4
	s_and_saveexec_b32 s0, s2
	s_cbranch_execnz .LBB40_44
.LBB40_41:
	s_or_b32 exec_lo, exec_lo, s0
	s_delay_alu instid0(SALU_CYCLE_1)
	s_and_b32 exec_lo, exec_lo, s3
	s_cbranch_execz .LBB40_32
	s_branch .LBB40_45
.LBB40_42:
	v_ashrrev_i32_e32 v5, 31, v4
	v_dual_mov_b32 v7, v60 :: v_dual_mov_b32 v8, v2
	s_delay_alu instid0(VALU_DEP_2) | instskip(NEXT) | instid1(VALU_DEP_1)
	v_lshlrev_b64 v[5:6], 3, v[4:5]
	v_add_co_u32 v5, vcc_lo, s30, v5
	s_delay_alu instid0(VALU_DEP_2)
	v_add_co_ci_u32_e32 v6, vcc_lo, s31, v6, vcc_lo
	global_store_b64 v[5:6], v[7:8], off
	s_or_b32 exec_lo, exec_lo, s4
	v_mov_b32_e32 v2, 1.0
	s_and_not1_b32 vcc_lo, exec_lo, s1
	s_cbranch_vccnz .LBB40_40
.LBB40_43:
	v_div_scale_f32 v0, null, v1, v1, 1.0
	s_delay_alu instid0(VALU_DEP_1) | instskip(SKIP_2) | instid1(VALU_DEP_1)
	v_rcp_f32_e32 v2, v0
	s_waitcnt_depctr 0xfff
	v_fma_f32 v5, -v0, v2, 1.0
	v_fmac_f32_e32 v2, v5, v2
	v_div_scale_f32 v5, vcc_lo, 1.0, v1, 1.0
	s_delay_alu instid0(VALU_DEP_1) | instskip(NEXT) | instid1(VALU_DEP_1)
	v_mul_f32_e32 v6, v5, v2
	v_fma_f32 v7, -v0, v6, v5
	s_delay_alu instid0(VALU_DEP_1) | instskip(NEXT) | instid1(VALU_DEP_1)
	v_fmac_f32_e32 v6, v7, v2
	v_fma_f32 v0, -v0, v6, v5
	s_delay_alu instid0(VALU_DEP_1) | instskip(NEXT) | instid1(VALU_DEP_1)
	v_div_fmas_f32 v0, v0, v2, v6
	v_div_fixup_f32 v2, v0, v1, 1.0
	v_add_nc_u32_e32 v0, s0, v4
	s_and_saveexec_b32 s0, s2
	s_cbranch_execz .LBB40_41
.LBB40_44:
	s_delay_alu instid0(VALU_DEP_1)
	v_mad_u64_u32 v[4:5], null, 0x50, v0, v[48:49]
	v_lshrrev_b32_e32 v6, 16, v64
	v_cvt_f32_f16_e32 v10, v63
	v_mov_b32_e32 v5, 0
	v_lshrrev_b32_e32 v1, 16, v63
	v_cvt_f32_f16_e32 v12, v64
	v_cvt_f32_f16_e32 v11, v6
	v_mul_f32_e32 v6, v2, v10
	v_lshlrev_b64 v[8:9], 2, v[4:5]
	v_cvt_f32_f16_e32 v1, v1
	v_mul_f32_e32 v4, v2, v12
	v_mul_f32_e32 v5, v2, v11
	s_delay_alu instid0(VALU_DEP_3) | instskip(SKIP_4) | instid1(SALU_CYCLE_1)
	v_mul_f32_e32 v7, v2, v1
	v_add_co_u32 v1, vcc_lo, s28, v8
	v_add_co_ci_u32_e32 v2, vcc_lo, s29, v9, vcc_lo
	global_store_b128 v[1:2], v[4:7], off
	s_or_b32 exec_lo, exec_lo, s0
	s_and_b32 exec_lo, exec_lo, s3
	s_cbranch_execz .LBB40_32
.LBB40_45:
	v_ashrrev_i32_e32 v1, 31, v0
	v_mov_b32_e32 v2, v61
	s_delay_alu instid0(VALU_DEP_2) | instskip(NEXT) | instid1(VALU_DEP_1)
	v_lshlrev_b64 v[0:1], 3, v[0:1]
	v_add_co_u32 v0, vcc_lo, s30, v0
	s_delay_alu instid0(VALU_DEP_2)
	v_add_co_ci_u32_e32 v1, vcc_lo, s31, v1, vcc_lo
	global_store_b64 v[0:1], v[2:3], off
	s_nop 0
	s_sendmsg sendmsg(MSG_DEALLOC_VGPRS)
	s_endpgm
	.section	.rodata,"a",@progbits
	.p2align	6, 0x0
	.amdhsa_kernel _ZL15flash_attn_tileILi80ELi80ELi8ELi2ELb0EEvPKcS1_S1_S1_S1_PKiPfP15HIP_vector_typeIfLj2EEffffjfiS5_IjLj3EEiiiiiiiiiiiliiliiiiil
		.amdhsa_group_segment_fixed_size 6848
		.amdhsa_private_segment_fixed_size 0
		.amdhsa_kernarg_size 464
		.amdhsa_user_sgpr_count 13
		.amdhsa_user_sgpr_dispatch_ptr 0
		.amdhsa_user_sgpr_queue_ptr 0
		.amdhsa_user_sgpr_kernarg_segment_ptr 1
		.amdhsa_user_sgpr_dispatch_id 0
		.amdhsa_user_sgpr_private_segment_size 0
		.amdhsa_wavefront_size32 1
		.amdhsa_uses_dynamic_stack 0
		.amdhsa_enable_private_segment 0
		.amdhsa_system_sgpr_workgroup_id_x 1
		.amdhsa_system_sgpr_workgroup_id_y 1
		.amdhsa_system_sgpr_workgroup_id_z 1
		.amdhsa_system_sgpr_workgroup_info 0
		.amdhsa_system_vgpr_workitem_id 1
		.amdhsa_next_free_vgpr 99
		.amdhsa_next_free_sgpr 48
		.amdhsa_reserve_vcc 1
		.amdhsa_float_round_mode_32 0
		.amdhsa_float_round_mode_16_64 0
		.amdhsa_float_denorm_mode_32 3
		.amdhsa_float_denorm_mode_16_64 3
		.amdhsa_dx10_clamp 1
		.amdhsa_ieee_mode 1
		.amdhsa_fp16_overflow 0
		.amdhsa_workgroup_processor_mode 1
		.amdhsa_memory_ordered 1
		.amdhsa_forward_progress 0
		.amdhsa_shared_vgpr_count 0
		.amdhsa_exception_fp_ieee_invalid_op 0
		.amdhsa_exception_fp_denorm_src 0
		.amdhsa_exception_fp_ieee_div_zero 0
		.amdhsa_exception_fp_ieee_overflow 0
		.amdhsa_exception_fp_ieee_underflow 0
		.amdhsa_exception_fp_ieee_inexact 0
		.amdhsa_exception_int_div_zero 0
	.end_amdhsa_kernel
	.section	.text._ZL15flash_attn_tileILi80ELi80ELi8ELi2ELb0EEvPKcS1_S1_S1_S1_PKiPfP15HIP_vector_typeIfLj2EEffffjfiS5_IjLj3EEiiiiiiiiiiiliiliiiiil,"axG",@progbits,_ZL15flash_attn_tileILi80ELi80ELi8ELi2ELb0EEvPKcS1_S1_S1_S1_PKiPfP15HIP_vector_typeIfLj2EEffffjfiS5_IjLj3EEiiiiiiiiiiiliiliiiiil,comdat
.Lfunc_end40:
	.size	_ZL15flash_attn_tileILi80ELi80ELi8ELi2ELb0EEvPKcS1_S1_S1_S1_PKiPfP15HIP_vector_typeIfLj2EEffffjfiS5_IjLj3EEiiiiiiiiiiiliiliiiiil, .Lfunc_end40-_ZL15flash_attn_tileILi80ELi80ELi8ELi2ELb0EEvPKcS1_S1_S1_S1_PKiPfP15HIP_vector_typeIfLj2EEffffjfiS5_IjLj3EEiiiiiiiiiiiliiliiiiil
                                        ; -- End function
	.section	.AMDGPU.csdata,"",@progbits
; Kernel info:
; codeLenInByte = 8304
; NumSgprs: 50
; NumVgprs: 99
; ScratchSize: 0
; MemoryBound: 0
; FloatMode: 240
; IeeeMode: 1
; LDSByteSize: 6848 bytes/workgroup (compile time only)
; SGPRBlocks: 6
; VGPRBlocks: 12
; NumSGPRsForWavesPerEU: 50
; NumVGPRsForWavesPerEU: 99
; Occupancy: 12
; WaveLimiterHint : 1
; COMPUTE_PGM_RSRC2:SCRATCH_EN: 0
; COMPUTE_PGM_RSRC2:USER_SGPR: 13
; COMPUTE_PGM_RSRC2:TRAP_HANDLER: 0
; COMPUTE_PGM_RSRC2:TGID_X_EN: 1
; COMPUTE_PGM_RSRC2:TGID_Y_EN: 1
; COMPUTE_PGM_RSRC2:TGID_Z_EN: 1
; COMPUTE_PGM_RSRC2:TIDIG_COMP_CNT: 1
	.section	.text._ZL33flash_attn_stream_k_fixup_uniformILi80ELi8ELi2EEvPfPK15HIP_vector_typeIfLj2EEiiiiiiS1_IjLj3EES5_S5_,"axG",@progbits,_ZL33flash_attn_stream_k_fixup_uniformILi80ELi8ELi2EEvPfPK15HIP_vector_typeIfLj2EEiiiiiiS1_IjLj3EES5_S5_,comdat
	.globl	_ZL33flash_attn_stream_k_fixup_uniformILi80ELi8ELi2EEvPfPK15HIP_vector_typeIfLj2EEiiiiiiS1_IjLj3EES5_S5_ ; -- Begin function _ZL33flash_attn_stream_k_fixup_uniformILi80ELi8ELi2EEvPfPK15HIP_vector_typeIfLj2EEiiiiiiS1_IjLj3EES5_S5_
	.p2align	8
	.type	_ZL33flash_attn_stream_k_fixup_uniformILi80ELi8ELi2EEvPfPK15HIP_vector_typeIfLj2EEiiiiiiS1_IjLj3EES5_S5_,@function
_ZL33flash_attn_stream_k_fixup_uniformILi80ELi8ELi2EEvPfPK15HIP_vector_typeIfLj2EEiiiiiiS1_IjLj3EES5_S5_: ; @_ZL33flash_attn_stream_k_fixup_uniformILi80ELi8ELi2EEvPfPK15HIP_vector_typeIfLj2EEiiiiiiS1_IjLj3EES5_S5_
; %bb.0:
	s_clause 0x1
	s_load_b256 s[4:11], s[0:1], 0x1c
	s_load_b128 s[16:19], s[0:1], 0x3c
	s_waitcnt lgkmcnt(0)
	s_mul_hi_u32 s2, s7, s13
	s_delay_alu instid0(SALU_CYCLE_1) | instskip(NEXT) | instid1(SALU_CYCLE_1)
	s_add_i32 s2, s13, s2
	s_lshr_b32 s2, s2, s8
	s_delay_alu instid0(SALU_CYCLE_1) | instskip(SKIP_2) | instid1(SALU_CYCLE_1)
	s_mul_i32 s3, s2, s9
	s_load_b64 s[8:9], s[0:1], 0x10
	s_sub_i32 s3, s13, s3
	s_mul_hi_u32 s7, s3, s10
	s_delay_alu instid0(SALU_CYCLE_1) | instskip(NEXT) | instid1(SALU_CYCLE_1)
	s_add_i32 s7, s3, s7
	s_lshr_b32 s7, s7, s11
	s_delay_alu instid0(SALU_CYCLE_1) | instskip(NEXT) | instid1(SALU_CYCLE_1)
	s_mul_i32 s10, s7, s16
	s_sub_i32 s3, s3, s10
	s_delay_alu instid0(SALU_CYCLE_1) | instskip(NEXT) | instid1(SALU_CYCLE_1)
	s_mul_hi_u32 s10, s3, s17
	s_add_i32 s10, s3, s10
	s_delay_alu instid0(SALU_CYCLE_1) | instskip(NEXT) | instid1(SALU_CYCLE_1)
	s_lshr_b32 s11, s10, s18
	s_mul_i32 s10, s11, s19
	s_lshl_b32 s11, s11, 1
	s_sub_i32 s10, s3, s10
	s_delay_alu instid0(SALU_CYCLE_1) | instskip(NEXT) | instid1(SALU_CYCLE_1)
	s_lshl_b32 s3, s10, 3
	s_add_i32 s3, s3, s14
	s_waitcnt lgkmcnt(0)
	s_cmp_lt_i32 s3, s8
	s_cselect_b32 s3, -1, 0
	s_add_i32 s11, s11, s15
	s_delay_alu instid0(SALU_CYCLE_1) | instskip(SKIP_1) | instid1(SALU_CYCLE_1)
	s_cmp_lt_i32 s11, s5
	s_cselect_b32 s12, -1, 0
	s_and_b32 s3, s3, s12
	s_delay_alu instid0(SALU_CYCLE_1)
	s_and_not1_b32 vcc_lo, exec_lo, s3
	s_cbranch_vccnz .LBB41_6
; %bb.1:
	s_mul_i32 s8, s2, s8
	s_mul_i32 s7, s7, s5
	s_add_i32 s8, s8, s14
	s_add_i32 s5, s11, s7
	s_mul_i32 s8, s8, s9
	s_load_b128 s[0:3], s[0:1], 0x0
	s_mul_i32 s7, s9, s10
	s_add_i32 s5, s5, s8
	s_mulk_i32 s7, 0x280
	s_mulk_i32 s5, 0x50
	s_lshl_b32 s9, s14, 1
	v_add3_u32 v1, s5, s7, v0
	s_mul_i32 s5, s13, s6
	s_delay_alu instid0(SALU_CYCLE_1) | instskip(NEXT) | instid1(VALU_DEP_1)
	s_add_i32 s10, s5, s6
	v_ashrrev_i32_e32 v2, 31, v1
	s_delay_alu instid0(VALU_DEP_1) | instskip(SKIP_1) | instid1(VALU_DEP_1)
	v_lshlrev_b64 v[1:2], 2, v[1:2]
	s_waitcnt lgkmcnt(0)
	v_add_co_u32 v1, vcc_lo, s0, v1
	s_delay_alu instid0(VALU_DEP_2) | instskip(SKIP_4) | instid1(SALU_CYCLE_1)
	v_add_co_ci_u32_e32 v2, vcc_lo, s1, v2, vcc_lo
	s_add_i32 s0, s9, s15
	s_lshl_b32 s1, s10, 4
	global_load_b32 v5, v[1:2], off
	s_add_i32 s0, s0, s1
	s_add_i32 s0, s0, -16
	s_delay_alu instid0(SALU_CYCLE_1) | instskip(NEXT) | instid1(SALU_CYCLE_1)
	s_ashr_i32 s1, s0, 31
	s_lshl_b64 s[0:1], s[0:1], 3
	s_delay_alu instid0(SALU_CYCLE_1)
	s_add_u32 s0, s2, s0
	s_addc_u32 s1, s3, s1
	s_add_i32 s7, s10, -2
	s_load_b32 s11, s[0:1], 0x4
	s_cmp_lt_i32 s7, s5
	s_cbranch_scc1 .LBB41_4
; %bb.2:
	s_load_b32 s12, s[0:1], 0x0
	s_lshl_b32 s16, s4, 6
	s_mulk_i32 s14, 0xa0
	s_ashr_i32 s17, s16, 31
	s_waitcnt lgkmcnt(0)
	v_mov_b32_e32 v6, s11
	s_lshl_b64 s[0:1], s[16:17], 2
	s_delay_alu instid0(SALU_CYCLE_1)
	s_add_u32 s7, s2, s0
	s_addc_u32 s8, s3, s1
	s_add_i32 s13, s13, 1
	s_lshl_b32 s4, s4, 4
	s_mul_i32 s0, s6, s13
	s_mul_i32 s6, s15, 0x50
	s_lshl_b32 s1, s0, 4
	s_mulk_i32 s0, 0x500
	s_add_i32 s6, s6, s14
	s_add_i32 s1, s15, s1
	;; [unrolled: 1-line block ×4, first 2 shown]
	v_add3_u32 v3, s6, v0, 0xfffff600
	v_mov_b32_e32 v0, s12
	s_add_i32 s0, s0, s9
	s_add_i32 s4, s10, -1
	s_sub_i32 s0, s0, 32
.LBB41_3:                               ; =>This Inner Loop Header: Depth=1
	s_delay_alu instid0(VALU_DEP_2) | instskip(SKIP_1) | instid1(SALU_CYCLE_1)
	v_ashrrev_i32_e32 v4, 31, v3
	s_ashr_i32 s1, s0, 31
	s_lshl_b64 s[10:11], s[0:1], 3
	s_delay_alu instid0(SALU_CYCLE_1) | instskip(NEXT) | instid1(VALU_DEP_1)
	s_add_u32 s10, s2, s10
	v_lshlrev_b64 v[7:8], 2, v[3:4]
	s_addc_u32 s11, s3, s11
	s_add_i32 s4, s4, -1
	s_add_i32 s0, s0, -16
	s_cmp_le_i32 s4, s5
	s_load_b64 s[10:11], s[10:11], 0x0
	v_add_co_u32 v7, vcc_lo, s7, v7
	v_add_co_ci_u32_e32 v8, vcc_lo, s8, v8, vcc_lo
	global_load_b32 v4, v[7:8], off
	v_max_f32_e32 v7, v0, v0
	s_waitcnt lgkmcnt(0)
	v_max_f32_e64 v8, s10, s10
	s_delay_alu instid0(VALU_DEP_1) | instskip(NEXT) | instid1(VALU_DEP_1)
	v_max_f32_e32 v7, v7, v8
	v_sub_f32_e32 v8, s10, v7
	s_delay_alu instid0(VALU_DEP_1) | instskip(NEXT) | instid1(VALU_DEP_1)
	v_dual_sub_f32 v0, v0, v7 :: v_dual_mul_f32 v9, 0x3fb8aa3b, v8
	v_fma_f32 v10, 0x3fb8aa3b, v8, -v9
	v_rndne_f32_e32 v11, v9
	s_delay_alu instid0(VALU_DEP_3) | instskip(NEXT) | instid1(VALU_DEP_2)
	v_mul_f32_e32 v12, 0x3fb8aa3b, v0
	v_dual_fmac_f32 v10, 0x32a5705f, v8 :: v_dual_sub_f32 v9, v9, v11
	v_cvt_i32_f32_e32 v11, v11
	s_delay_alu instid0(VALU_DEP_3) | instskip(SKIP_1) | instid1(VALU_DEP_4)
	v_fma_f32 v13, 0x3fb8aa3b, v0, -v12
	v_rndne_f32_e32 v14, v12
	v_add_f32_e32 v9, v9, v10
	v_cmp_ngt_f32_e32 vcc_lo, 0xc2ce8ed0, v8
	s_delay_alu instid0(VALU_DEP_3) | instskip(NEXT) | instid1(VALU_DEP_3)
	v_sub_f32_e32 v10, v12, v14
	v_exp_f32_e32 v9, v9
	s_waitcnt_depctr 0xfff
	v_ldexp_f32 v9, v9, v11
	v_cvt_i32_f32_e32 v11, v14
	s_delay_alu instid0(VALU_DEP_2) | instskip(SKIP_1) | instid1(VALU_DEP_2)
	v_cndmask_b32_e32 v9, 0, v9, vcc_lo
	v_cmp_nlt_f32_e32 vcc_lo, 0x42b17218, v8
	v_cndmask_b32_e32 v9, 0x7f800000, v9, vcc_lo
	v_cmp_ngt_f32_e32 vcc_lo, 0xc2ce8ed0, v0
	v_fmac_f32_e32 v13, 0x32a5705f, v0
	s_delay_alu instid0(VALU_DEP_1) | instskip(NEXT) | instid1(VALU_DEP_1)
	v_add_f32_e32 v10, v10, v13
	v_exp_f32_e32 v10, v10
	s_waitcnt_depctr 0xfff
	v_ldexp_f32 v10, v10, v11
	s_delay_alu instid0(VALU_DEP_1)
	v_dual_mov_b32 v11, v6 :: v_dual_cndmask_b32 v10, 0, v10
	v_cmp_le_f32_e32 vcc_lo, 0xc1a00000, v8
	s_waitcnt vmcnt(1)
	v_dual_cndmask_b32 v8, 0, v9 :: v_dual_mov_b32 v9, v5
	v_cmp_nlt_f32_e32 vcc_lo, 0x42b17218, v0
	v_cndmask_b32_e32 v5, 0x7f800000, v10, vcc_lo
	s_delay_alu instid0(VALU_DEP_3) | instskip(SKIP_2) | instid1(VALU_DEP_3)
	v_mul_f32_e32 v10, s11, v8
	v_cmp_le_f32_e32 vcc_lo, 0xc1a00000, v0
	v_mov_b32_e32 v0, v7
	v_mov_b32_e32 v6, v10
	s_waitcnt vmcnt(0)
	v_dual_cndmask_b32 v12, 0, v5 :: v_dual_mul_f32 v5, v4, v8
	s_delay_alu instid0(VALU_DEP_1) | instskip(NEXT) | instid1(VALU_DEP_2)
	v_dual_fmac_f32 v6, v11, v12 :: v_dual_add_nc_u32 v3, 0xfffffb00, v3
	v_fmac_f32_e32 v5, v9, v12
	s_cbranch_scc0 .LBB41_3
	s_branch .LBB41_5
.LBB41_4:
	s_waitcnt lgkmcnt(0)
	v_mov_b32_e32 v6, s11
.LBB41_5:
	s_waitcnt vmcnt(0)
	s_delay_alu instid0(VALU_DEP_1) | instskip(NEXT) | instid1(VALU_DEP_1)
	v_div_scale_f32 v0, null, v6, v6, v5
	v_rcp_f32_e32 v3, v0
	s_waitcnt_depctr 0xfff
	v_fma_f32 v4, -v0, v3, 1.0
	s_delay_alu instid0(VALU_DEP_1) | instskip(SKIP_1) | instid1(VALU_DEP_1)
	v_fmac_f32_e32 v3, v4, v3
	v_div_scale_f32 v4, vcc_lo, v5, v6, v5
	v_mul_f32_e32 v7, v4, v3
	s_delay_alu instid0(VALU_DEP_1) | instskip(NEXT) | instid1(VALU_DEP_1)
	v_fma_f32 v8, -v0, v7, v4
	v_fmac_f32_e32 v7, v8, v3
	s_delay_alu instid0(VALU_DEP_1) | instskip(NEXT) | instid1(VALU_DEP_1)
	v_fma_f32 v0, -v0, v7, v4
	v_div_fmas_f32 v0, v0, v3, v7
	s_delay_alu instid0(VALU_DEP_1)
	v_div_fixup_f32 v0, v0, v6, v5
	global_store_b32 v[1:2], v0, off
.LBB41_6:
	s_nop 0
	s_sendmsg sendmsg(MSG_DEALLOC_VGPRS)
	s_endpgm
	.section	.rodata,"a",@progbits
	.p2align	6, 0x0
	.amdhsa_kernel _ZL33flash_attn_stream_k_fixup_uniformILi80ELi8ELi2EEvPfPK15HIP_vector_typeIfLj2EEiiiiiiS1_IjLj3EES5_S5_
		.amdhsa_group_segment_fixed_size 0
		.amdhsa_private_segment_fixed_size 0
		.amdhsa_kernarg_size 76
		.amdhsa_user_sgpr_count 13
		.amdhsa_user_sgpr_dispatch_ptr 0
		.amdhsa_user_sgpr_queue_ptr 0
		.amdhsa_user_sgpr_kernarg_segment_ptr 1
		.amdhsa_user_sgpr_dispatch_id 0
		.amdhsa_user_sgpr_private_segment_size 0
		.amdhsa_wavefront_size32 1
		.amdhsa_uses_dynamic_stack 0
		.amdhsa_enable_private_segment 0
		.amdhsa_system_sgpr_workgroup_id_x 1
		.amdhsa_system_sgpr_workgroup_id_y 1
		.amdhsa_system_sgpr_workgroup_id_z 1
		.amdhsa_system_sgpr_workgroup_info 0
		.amdhsa_system_vgpr_workitem_id 0
		.amdhsa_next_free_vgpr 15
		.amdhsa_next_free_sgpr 20
		.amdhsa_reserve_vcc 1
		.amdhsa_float_round_mode_32 0
		.amdhsa_float_round_mode_16_64 0
		.amdhsa_float_denorm_mode_32 3
		.amdhsa_float_denorm_mode_16_64 3
		.amdhsa_dx10_clamp 1
		.amdhsa_ieee_mode 1
		.amdhsa_fp16_overflow 0
		.amdhsa_workgroup_processor_mode 1
		.amdhsa_memory_ordered 1
		.amdhsa_forward_progress 0
		.amdhsa_shared_vgpr_count 0
		.amdhsa_exception_fp_ieee_invalid_op 0
		.amdhsa_exception_fp_denorm_src 0
		.amdhsa_exception_fp_ieee_div_zero 0
		.amdhsa_exception_fp_ieee_overflow 0
		.amdhsa_exception_fp_ieee_underflow 0
		.amdhsa_exception_fp_ieee_inexact 0
		.amdhsa_exception_int_div_zero 0
	.end_amdhsa_kernel
	.section	.text._ZL33flash_attn_stream_k_fixup_uniformILi80ELi8ELi2EEvPfPK15HIP_vector_typeIfLj2EEiiiiiiS1_IjLj3EES5_S5_,"axG",@progbits,_ZL33flash_attn_stream_k_fixup_uniformILi80ELi8ELi2EEvPfPK15HIP_vector_typeIfLj2EEiiiiiiS1_IjLj3EES5_S5_,comdat
.Lfunc_end41:
	.size	_ZL33flash_attn_stream_k_fixup_uniformILi80ELi8ELi2EEvPfPK15HIP_vector_typeIfLj2EEiiiiiiS1_IjLj3EES5_S5_, .Lfunc_end41-_ZL33flash_attn_stream_k_fixup_uniformILi80ELi8ELi2EEvPfPK15HIP_vector_typeIfLj2EEiiiiiiS1_IjLj3EES5_S5_
                                        ; -- End function
	.section	.AMDGPU.csdata,"",@progbits
; Kernel info:
; codeLenInByte = 992
; NumSgprs: 22
; NumVgprs: 15
; ScratchSize: 0
; MemoryBound: 0
; FloatMode: 240
; IeeeMode: 1
; LDSByteSize: 0 bytes/workgroup (compile time only)
; SGPRBlocks: 2
; VGPRBlocks: 1
; NumSGPRsForWavesPerEU: 22
; NumVGPRsForWavesPerEU: 15
; Occupancy: 16
; WaveLimiterHint : 0
; COMPUTE_PGM_RSRC2:SCRATCH_EN: 0
; COMPUTE_PGM_RSRC2:USER_SGPR: 13
; COMPUTE_PGM_RSRC2:TRAP_HANDLER: 0
; COMPUTE_PGM_RSRC2:TGID_X_EN: 1
; COMPUTE_PGM_RSRC2:TGID_Y_EN: 1
; COMPUTE_PGM_RSRC2:TGID_Z_EN: 1
; COMPUTE_PGM_RSRC2:TIDIG_COMP_CNT: 0
	.section	.text._ZL33flash_attn_stream_k_fixup_generalILi80ELi8ELi2EEvPfPK15HIP_vector_typeIfLj2EEiiiiS1_IjLj3EES5_S5_S5_,"axG",@progbits,_ZL33flash_attn_stream_k_fixup_generalILi80ELi8ELi2EEvPfPK15HIP_vector_typeIfLj2EEiiiiS1_IjLj3EES5_S5_S5_,comdat
	.globl	_ZL33flash_attn_stream_k_fixup_generalILi80ELi8ELi2EEvPfPK15HIP_vector_typeIfLj2EEiiiiS1_IjLj3EES5_S5_S5_ ; -- Begin function _ZL33flash_attn_stream_k_fixup_generalILi80ELi8ELi2EEvPfPK15HIP_vector_typeIfLj2EEiiiiS1_IjLj3EES5_S5_S5_
	.p2align	8
	.type	_ZL33flash_attn_stream_k_fixup_generalILi80ELi8ELi2EEvPfPK15HIP_vector_typeIfLj2EEiiiiS1_IjLj3EES5_S5_S5_,@function
_ZL33flash_attn_stream_k_fixup_generalILi80ELi8ELi2EEvPfPK15HIP_vector_typeIfLj2EEiiiiS1_IjLj3EES5_S5_S5_: ; @_ZL33flash_attn_stream_k_fixup_generalILi80ELi8ELi2EEvPfPK15HIP_vector_typeIfLj2EEiiiiS1_IjLj3EES5_S5_S5_
; %bb.0:
	s_clause 0x1
	s_load_b128 s[4:7], s[0:1], 0x10
	s_load_b32 s20, s[0:1], 0x50
	s_mov_b32 s2, 0
	s_waitcnt lgkmcnt(0)
	s_mul_hi_i32 s3, s7, s13
	s_mul_i32 s12, s7, s13
	s_cmp_lg_u64 s[2:3], 0
	s_cbranch_scc0 .LBB42_21
; %bb.1:
	v_cvt_f32_ubyte0_e32 v1, 0
	v_cvt_f32_u32_e32 v2, s20
	s_sub_u32 s10, 0, s20
	s_subb_u32 s11, 0, 0
	s_delay_alu instid0(VALU_DEP_1) | instskip(NEXT) | instid1(VALU_DEP_1)
	v_fmamk_f32 v1, v1, 0x4f800000, v2
	v_rcp_f32_e32 v1, v1
	s_waitcnt_depctr 0xfff
	v_mul_f32_e32 v1, 0x5f7ffffc, v1
	s_delay_alu instid0(VALU_DEP_1) | instskip(NEXT) | instid1(VALU_DEP_1)
	v_mul_f32_e32 v2, 0x2f800000, v1
	v_trunc_f32_e32 v2, v2
	s_delay_alu instid0(VALU_DEP_1) | instskip(SKIP_1) | instid1(VALU_DEP_2)
	v_fmamk_f32 v1, v2, 0xcf800000, v1
	v_cvt_u32_f32_e32 v2, v2
	v_cvt_u32_f32_e32 v1, v1
	s_delay_alu instid0(VALU_DEP_2) | instskip(NEXT) | instid1(VALU_DEP_2)
	v_readfirstlane_b32 s8, v2
	v_readfirstlane_b32 s9, v1
	s_delay_alu instid0(VALU_DEP_2) | instskip(NEXT) | instid1(VALU_DEP_1)
	s_mul_i32 s16, s10, s8
	s_mul_hi_u32 s18, s10, s9
	s_mul_i32 s17, s11, s9
	s_add_i32 s16, s18, s16
	s_mul_i32 s19, s10, s9
	s_add_i32 s16, s16, s17
	s_mul_hi_u32 s18, s9, s19
	s_mul_hi_u32 s21, s8, s19
	s_mul_i32 s17, s8, s19
	s_mul_hi_u32 s19, s9, s16
	s_mul_i32 s9, s9, s16
	s_mul_hi_u32 s22, s8, s16
	s_add_u32 s9, s18, s9
	s_addc_u32 s18, 0, s19
	s_add_u32 s9, s9, s17
	s_mul_i32 s16, s8, s16
	s_addc_u32 s9, s18, s21
	s_addc_u32 s17, s22, 0
	s_add_u32 s9, s9, s16
	s_addc_u32 s16, 0, s17
	v_add_co_u32 v1, s9, v1, s9
	s_delay_alu instid0(VALU_DEP_1) | instskip(SKIP_1) | instid1(VALU_DEP_1)
	s_cmp_lg_u32 s9, 0
	s_addc_u32 s8, s8, s16
	v_readfirstlane_b32 s9, v1
	s_mul_i32 s16, s10, s8
	s_delay_alu instid0(VALU_DEP_1)
	s_mul_hi_u32 s17, s10, s9
	s_mul_i32 s11, s11, s9
	s_add_i32 s16, s17, s16
	s_mul_i32 s10, s10, s9
	s_add_i32 s16, s16, s11
	s_mul_hi_u32 s17, s8, s10
	s_mul_i32 s18, s8, s10
	s_mul_hi_u32 s10, s9, s10
	s_mul_hi_u32 s19, s9, s16
	s_mul_i32 s9, s9, s16
	s_mul_hi_u32 s11, s8, s16
	s_add_u32 s9, s10, s9
	s_addc_u32 s10, 0, s19
	s_add_u32 s9, s9, s18
	s_mul_i32 s16, s8, s16
	s_addc_u32 s9, s10, s17
	s_addc_u32 s10, s11, 0
	s_add_u32 s9, s9, s16
	s_addc_u32 s10, 0, s10
	v_add_co_u32 v1, s9, v1, s9
	s_delay_alu instid0(VALU_DEP_1) | instskip(SKIP_2) | instid1(SALU_CYCLE_1)
	s_cmp_lg_u32 s9, 0
	s_addc_u32 s16, s8, s10
	s_ashr_i32 s8, s3, 31
	s_add_u32 s10, s12, s8
	s_addc_u32 s11, s3, s8
	v_readfirstlane_b32 s3, v1
	s_mov_b32 s9, s8
	s_delay_alu instid0(SALU_CYCLE_1) | instskip(NEXT) | instid1(SALU_CYCLE_1)
	s_xor_b64 s[10:11], s[10:11], s[8:9]
	s_mul_i32 s18, s10, s16
	s_delay_alu instid0(VALU_DEP_1)
	s_mul_hi_u32 s19, s10, s3
	s_mul_hi_u32 s17, s10, s16
	;; [unrolled: 1-line block ×3, first 2 shown]
	s_mul_i32 s3, s11, s3
	s_add_u32 s18, s19, s18
	s_addc_u32 s17, 0, s17
	s_mul_hi_u32 s21, s11, s16
	s_add_u32 s3, s18, s3
	s_mul_i32 s16, s11, s16
	s_addc_u32 s3, s17, s22
	s_addc_u32 s17, s21, 0
	s_add_u32 s3, s3, s16
	s_addc_u32 s16, 0, s17
	s_mul_i32 s18, s20, s3
	s_add_u32 s17, s3, 1
	v_sub_co_u32 v1, s10, s10, s18
	s_mul_hi_u32 s18, s20, s3
	s_addc_u32 s19, s16, 0
	s_mul_i32 s21, s20, s16
	s_delay_alu instid0(VALU_DEP_1)
	v_sub_co_u32 v2, s22, v1, s20
	s_add_u32 s23, s3, 2
	s_addc_u32 s24, s16, 0
	s_add_i32 s18, s18, s21
	s_cmp_lg_u32 s10, 0
	v_readfirstlane_b32 s10, v2
	s_subb_u32 s11, s11, s18
	s_cmp_lg_u32 s22, 0
	s_subb_u32 s18, s11, 0
	s_delay_alu instid0(VALU_DEP_1) | instskip(SKIP_4) | instid1(SALU_CYCLE_1)
	s_cmp_ge_u32 s10, s20
	s_cselect_b32 s10, -1, 0
	s_cmp_eq_u32 s18, 0
	v_readfirstlane_b32 s18, v1
	s_cselect_b32 s10, s10, -1
	s_cmp_lg_u32 s10, 0
	s_cselect_b32 s10, s23, s17
	s_cselect_b32 s17, s24, s19
	s_cmp_ge_u32 s18, s20
	s_cselect_b32 s18, -1, 0
	s_cmp_eq_u32 s11, 0
	s_cselect_b32 s11, s18, -1
	s_delay_alu instid0(SALU_CYCLE_1) | instskip(SKIP_2) | instid1(SALU_CYCLE_1)
	s_cmp_lg_u32 s11, 0
	s_cselect_b32 s11, s17, s16
	s_cselect_b32 s10, s10, s3
	s_xor_b64 s[10:11], s[10:11], s[8:9]
	s_delay_alu instid0(SALU_CYCLE_1)
	s_sub_u32 s16, s10, s8
	s_load_b128 s[8:11], s[0:1], 0x44
	s_and_not1_b32 vcc_lo, exec_lo, s2
	s_cbranch_vccnz .LBB42_3
.LBB42_2:
	v_cvt_f32_u32_e32 v1, s20
	s_sub_i32 s3, 0, s20
	s_delay_alu instid0(VALU_DEP_1) | instskip(SKIP_2) | instid1(VALU_DEP_1)
	v_rcp_iflag_f32_e32 v1, v1
	s_waitcnt_depctr 0xfff
	v_mul_f32_e32 v1, 0x4f7ffffe, v1
	v_cvt_u32_f32_e32 v1, v1
	s_delay_alu instid0(VALU_DEP_1) | instskip(NEXT) | instid1(VALU_DEP_1)
	v_readfirstlane_b32 s2, v1
	s_mul_i32 s3, s3, s2
	s_delay_alu instid0(SALU_CYCLE_1) | instskip(NEXT) | instid1(SALU_CYCLE_1)
	s_mul_hi_u32 s3, s2, s3
	s_add_i32 s2, s2, s3
	s_delay_alu instid0(SALU_CYCLE_1) | instskip(NEXT) | instid1(SALU_CYCLE_1)
	s_mul_hi_u32 s2, s12, s2
	s_mul_i32 s3, s2, s20
	s_waitcnt lgkmcnt(0)
	s_add_i32 s11, s2, 1
	s_sub_i32 s3, s12, s3
	s_delay_alu instid0(SALU_CYCLE_1)
	s_sub_i32 s12, s3, s20
	s_cmp_ge_u32 s3, s20
	s_cselect_b32 s2, s11, s2
	s_cselect_b32 s3, s12, s3
	s_add_i32 s11, s2, 1
	s_cmp_ge_u32 s3, s20
	s_cselect_b32 s16, s11, s2
.LBB42_3:
	s_waitcnt lgkmcnt(0)
	s_add_i32 s11, s13, 1
	s_mov_b32 s2, 0
	s_mul_hi_i32 s3, s7, s11
	s_mul_i32 s11, s7, s11
	s_cmp_lg_u64 s[2:3], 0
	s_cbranch_scc0 .LBB42_22
; %bb.4:
	v_cvt_f32_ubyte0_e32 v1, 0
	v_cvt_f32_u32_e32 v2, s20
	s_sub_u32 s18, 0, s20
	s_subb_u32 s19, 0, 0
	s_delay_alu instid0(VALU_DEP_1) | instskip(NEXT) | instid1(VALU_DEP_1)
	v_fmamk_f32 v1, v1, 0x4f800000, v2
	v_rcp_f32_e32 v1, v1
	s_waitcnt_depctr 0xfff
	v_mul_f32_e32 v1, 0x5f7ffffc, v1
	s_delay_alu instid0(VALU_DEP_1) | instskip(NEXT) | instid1(VALU_DEP_1)
	v_mul_f32_e32 v2, 0x2f800000, v1
	v_trunc_f32_e32 v2, v2
	s_delay_alu instid0(VALU_DEP_1) | instskip(SKIP_1) | instid1(VALU_DEP_2)
	v_fmamk_f32 v1, v2, 0xcf800000, v1
	v_cvt_u32_f32_e32 v2, v2
	v_cvt_u32_f32_e32 v1, v1
	s_delay_alu instid0(VALU_DEP_2) | instskip(NEXT) | instid1(VALU_DEP_2)
	v_readfirstlane_b32 s12, v2
	v_readfirstlane_b32 s17, v1
	s_delay_alu instid0(VALU_DEP_2) | instskip(NEXT) | instid1(VALU_DEP_1)
	s_mul_i32 s21, s18, s12
	s_mul_hi_u32 s23, s18, s17
	s_mul_i32 s22, s19, s17
	s_add_i32 s21, s23, s21
	s_mul_i32 s24, s18, s17
	s_add_i32 s21, s21, s22
	s_mul_hi_u32 s23, s17, s24
	s_mul_hi_u32 s25, s12, s24
	s_mul_i32 s22, s12, s24
	s_mul_hi_u32 s24, s17, s21
	s_mul_i32 s17, s17, s21
	s_mul_hi_u32 s26, s12, s21
	s_add_u32 s17, s23, s17
	s_addc_u32 s23, 0, s24
	s_add_u32 s17, s17, s22
	s_mul_i32 s21, s12, s21
	s_addc_u32 s17, s23, s25
	s_addc_u32 s22, s26, 0
	s_add_u32 s17, s17, s21
	s_addc_u32 s21, 0, s22
	v_add_co_u32 v1, s17, v1, s17
	s_delay_alu instid0(VALU_DEP_1) | instskip(SKIP_1) | instid1(VALU_DEP_1)
	s_cmp_lg_u32 s17, 0
	s_addc_u32 s12, s12, s21
	v_readfirstlane_b32 s17, v1
	s_mul_i32 s21, s18, s12
	s_delay_alu instid0(VALU_DEP_1)
	s_mul_hi_u32 s22, s18, s17
	s_mul_i32 s19, s19, s17
	s_add_i32 s21, s22, s21
	s_mul_i32 s18, s18, s17
	s_add_i32 s21, s21, s19
	s_mul_hi_u32 s22, s12, s18
	s_mul_i32 s23, s12, s18
	s_mul_hi_u32 s18, s17, s18
	s_mul_hi_u32 s24, s17, s21
	s_mul_i32 s17, s17, s21
	s_mul_hi_u32 s19, s12, s21
	s_add_u32 s17, s18, s17
	s_addc_u32 s18, 0, s24
	s_add_u32 s17, s17, s23
	s_mul_i32 s21, s12, s21
	s_addc_u32 s17, s18, s22
	s_addc_u32 s18, s19, 0
	s_add_u32 s17, s17, s21
	s_addc_u32 s18, 0, s18
	v_add_co_u32 v1, s17, v1, s17
	s_delay_alu instid0(VALU_DEP_1) | instskip(SKIP_2) | instid1(SALU_CYCLE_1)
	s_cmp_lg_u32 s17, 0
	s_addc_u32 s12, s12, s18
	s_ashr_i32 s18, s3, 31
	s_add_u32 s22, s11, s18
	s_addc_u32 s23, s3, s18
	v_readfirstlane_b32 s3, v1
	s_mov_b32 s19, s18
	s_delay_alu instid0(SALU_CYCLE_1) | instskip(NEXT) | instid1(SALU_CYCLE_1)
	s_xor_b64 s[22:23], s[22:23], s[18:19]
	s_mul_i32 s21, s22, s12
	s_delay_alu instid0(VALU_DEP_1)
	s_mul_hi_u32 s24, s22, s3
	s_mul_hi_u32 s17, s22, s12
	;; [unrolled: 1-line block ×3, first 2 shown]
	s_mul_i32 s3, s23, s3
	s_add_u32 s21, s24, s21
	s_addc_u32 s17, 0, s17
	s_mul_hi_u32 s25, s23, s12
	s_add_u32 s3, s21, s3
	s_mul_i32 s12, s23, s12
	s_addc_u32 s3, s17, s26
	s_addc_u32 s17, s25, 0
	s_add_u32 s3, s3, s12
	s_addc_u32 s12, 0, s17
	s_mul_i32 s21, s20, s3
	s_add_u32 s17, s3, 1
	v_sub_co_u32 v1, s21, s22, s21
	s_mul_hi_u32 s22, s20, s3
	s_addc_u32 s24, s12, 0
	s_mul_i32 s25, s20, s12
	s_delay_alu instid0(VALU_DEP_1)
	v_sub_co_u32 v2, s26, v1, s20
	s_add_u32 s27, s3, 2
	s_addc_u32 s28, s12, 0
	s_add_i32 s22, s22, s25
	s_cmp_lg_u32 s21, 0
	v_readfirstlane_b32 s21, v2
	s_subb_u32 s22, s23, s22
	s_cmp_lg_u32 s26, 0
	s_subb_u32 s23, s22, 0
	s_delay_alu instid0(VALU_DEP_1) | instskip(SKIP_4) | instid1(SALU_CYCLE_1)
	s_cmp_ge_u32 s21, s20
	s_cselect_b32 s21, -1, 0
	s_cmp_eq_u32 s23, 0
	v_readfirstlane_b32 s23, v1
	s_cselect_b32 s21, s21, -1
	s_cmp_lg_u32 s21, 0
	s_cselect_b32 s17, s27, s17
	s_cselect_b32 s21, s28, s24
	s_cmp_ge_u32 s23, s20
	s_cselect_b32 s23, -1, 0
	s_cmp_eq_u32 s22, 0
	s_cselect_b32 s22, s23, -1
	s_delay_alu instid0(SALU_CYCLE_1) | instskip(SKIP_2) | instid1(SALU_CYCLE_1)
	s_cmp_lg_u32 s22, 0
	s_cselect_b32 s23, s21, s12
	s_cselect_b32 s22, s17, s3
	s_xor_b64 s[22:23], s[22:23], s[18:19]
	s_delay_alu instid0(SALU_CYCLE_1)
	s_sub_u32 s18, s22, s18
	s_and_not1_b32 vcc_lo, exec_lo, s2
	s_cbranch_vccnz .LBB42_6
.LBB42_5:
	v_cvt_f32_u32_e32 v1, s20
	s_sub_i32 s3, 0, s20
	s_delay_alu instid0(VALU_DEP_1) | instskip(SKIP_2) | instid1(VALU_DEP_1)
	v_rcp_iflag_f32_e32 v1, v1
	s_waitcnt_depctr 0xfff
	v_mul_f32_e32 v1, 0x4f7ffffe, v1
	v_cvt_u32_f32_e32 v1, v1
	s_delay_alu instid0(VALU_DEP_1) | instskip(NEXT) | instid1(VALU_DEP_1)
	v_readfirstlane_b32 s2, v1
	s_mul_i32 s3, s3, s2
	s_delay_alu instid0(SALU_CYCLE_1) | instskip(NEXT) | instid1(SALU_CYCLE_1)
	s_mul_hi_u32 s3, s2, s3
	s_add_i32 s2, s2, s3
	s_delay_alu instid0(SALU_CYCLE_1) | instskip(NEXT) | instid1(SALU_CYCLE_1)
	s_mul_hi_u32 s2, s11, s2
	s_mul_i32 s3, s2, s20
	s_delay_alu instid0(SALU_CYCLE_1)
	s_sub_i32 s3, s11, s3
	s_add_i32 s11, s2, 1
	s_sub_i32 s12, s3, s20
	s_cmp_ge_u32 s3, s20
	s_cselect_b32 s2, s11, s2
	s_cselect_b32 s3, s12, s3
	s_add_i32 s11, s2, 1
	s_cmp_ge_u32 s3, s20
	s_cselect_b32 s18, s11, s2
.LBB42_6:
	s_delay_alu instid0(SALU_CYCLE_1) | instskip(SKIP_3) | instid1(SALU_CYCLE_1)
	s_cmp_eq_u32 s16, s18
	s_mul_hi_u32 s2, s16, s8
	s_cselect_b32 s3, -1, 0
	s_add_i32 s2, s2, s16
	s_lshr_b32 s11, s2, s9
	s_delay_alu instid0(SALU_CYCLE_1) | instskip(NEXT) | instid1(SALU_CYCLE_1)
	s_mul_i32 s2, s11, s10
	s_cmp_eq_u32 s2, s16
	s_mul_hi_u32 s2, s18, s8
	s_cselect_b32 s12, -1, 0
	s_add_i32 s2, s2, s18
	s_delay_alu instid0(SALU_CYCLE_1) | instskip(NEXT) | instid1(SALU_CYCLE_1)
	s_lshr_b32 s2, s2, s9
	s_cmp_eq_u32 s11, s2
	s_mul_i32 s2, s2, s10
	s_cselect_b32 s17, -1, 0
	s_cmp_lg_u32 s2, s18
	s_cselect_b32 s2, -1, 0
	s_or_b32 s3, s3, s12
	s_and_b32 s2, s17, s2
	s_delay_alu instid0(SALU_CYCLE_1) | instskip(NEXT) | instid1(SALU_CYCLE_1)
	s_or_b32 s2, s3, s2
	s_and_b32 vcc_lo, exec_lo, s2
	s_cbranch_vccnz .LBB42_24
; %bb.7:
	s_load_b256 s[24:31], s[0:1], 0x20
	s_waitcnt lgkmcnt(0)
	s_mul_hi_u32 s2, s16, s24
	s_delay_alu instid0(SALU_CYCLE_1) | instskip(NEXT) | instid1(SALU_CYCLE_1)
	s_add_i32 s2, s2, s16
	s_lshr_b32 s17, s2, s25
	s_load_b32 s2, s[0:1], 0x40
	s_mul_i32 s3, s17, s26
	s_delay_alu instid0(SALU_CYCLE_1) | instskip(NEXT) | instid1(SALU_CYCLE_1)
	s_sub_i32 s3, s16, s3
	s_mul_hi_u32 s12, s3, s27
	s_delay_alu instid0(SALU_CYCLE_1) | instskip(NEXT) | instid1(SALU_CYCLE_1)
	s_add_i32 s12, s3, s12
	s_lshr_b32 s19, s12, s28
	s_delay_alu instid0(SALU_CYCLE_1) | instskip(NEXT) | instid1(SALU_CYCLE_1)
	s_mul_i32 s12, s19, s29
	s_sub_i32 s3, s3, s12
	s_delay_alu instid0(SALU_CYCLE_1) | instskip(NEXT) | instid1(SALU_CYCLE_1)
	s_mul_hi_u32 s12, s3, s30
	s_add_i32 s12, s3, s12
	s_delay_alu instid0(SALU_CYCLE_1)
	s_lshr_b32 s12, s12, s31
	s_waitcnt lgkmcnt(0)
	s_mul_i32 s2, s12, s2
	s_lshl_b32 s21, s12, 1
	s_sub_i32 s2, s3, s2
	s_mov_b32 s12, 0
	s_mul_hi_u32 s3, s2, s8
	s_delay_alu instid0(SALU_CYCLE_1) | instskip(NEXT) | instid1(SALU_CYCLE_1)
	s_add_i32 s2, s2, s3
	s_lshr_b32 s18, s2, s9
	s_delay_alu instid0(SALU_CYCLE_1) | instskip(NEXT) | instid1(SALU_CYCLE_1)
	s_lshl_b32 s2, s18, 3
	s_add_i32 s2, s2, s14
	s_delay_alu instid0(SALU_CYCLE_1) | instskip(SKIP_2) | instid1(SALU_CYCLE_1)
	s_cmp_lt_i32 s2, s4
	s_cselect_b32 s2, -1, 0
	s_add_i32 s21, s21, s15
	s_cmp_lt_i32 s21, s6
	s_cselect_b32 s3, -1, 0
	s_delay_alu instid0(SALU_CYCLE_1) | instskip(NEXT) | instid1(SALU_CYCLE_1)
	s_and_b32 s2, s2, s3
	s_and_not1_b32 vcc_lo, exec_lo, s2
	s_cbranch_vccnz .LBB42_24
; %bb.8:
	s_load_b128 s[0:3], s[0:1], 0x0
	s_lshl_b32 s22, s20, 6
	s_mov_b32 s23, s12
	s_lshl_b32 s24, s14, 1
	s_lshl_b64 s[22:23], s[22:23], 2
	s_mul_i32 s19, s19, s6
	s_mul_i32 s4, s17, s4
	s_add_i32 s6, s24, s15
	v_cvt_f32_ubyte0_e32 v3, 0
	v_cvt_f32_u32_e32 v4, s20
	s_waitcnt lgkmcnt(0)
	s_add_u32 s15, s2, s22
	s_addc_u32 s17, s3, s23
	s_add_i32 s4, s4, s14
	s_add_i32 s14, s21, s19
	s_mul_i32 s4, s4, s5
	s_mul_i32 s5, s5, s18
	s_add_i32 s4, s14, s4
	s_mulk_i32 s5, 0x280
	s_mulk_i32 s4, 0x50
	s_delay_alu instid0(SALU_CYCLE_1) | instskip(NEXT) | instid1(VALU_DEP_1)
	v_add3_u32 v1, s5, s4, v0
	v_ashrrev_i32_e32 v2, 31, v1
	s_delay_alu instid0(VALU_DEP_1) | instskip(NEXT) | instid1(VALU_DEP_1)
	v_lshlrev_b64 v[1:2], 2, v[1:2]
	v_add_co_u32 v1, vcc_lo, s0, v1
	s_delay_alu instid0(VALU_DEP_2) | instskip(SKIP_1) | instid1(SALU_CYCLE_1)
	v_add_co_ci_u32_e32 v2, vcc_lo, s1, v2, vcc_lo
	s_lshl_b32 s0, s13, 4
	s_add_i32 s0, s6, s0
	global_load_b32 v5, v[1:2], off
	s_ashr_i32 s1, s0, 31
	s_delay_alu instid0(SALU_CYCLE_1) | instskip(NEXT) | instid1(SALU_CYCLE_1)
	s_lshl_b64 s[0:1], s[0:1], 3
	s_add_u32 s0, s2, s0
	s_addc_u32 s1, s3, s1
	s_add_i32 s18, s13, -1
	s_load_b64 s[0:1], s[0:1], 0x0
	v_fmac_f32_e32 v4, 0x4f800000, v3
	s_sub_i32 s14, 0, s20
	s_delay_alu instid0(VALU_DEP_1)
	v_rcp_f32_e32 v3, v4
	s_waitcnt_depctr 0xfff
	v_mul_f32_e32 v6, 0x5f7ffffc, v3
	v_cvt_f32_u32_e32 v3, s20
	s_waitcnt lgkmcnt(0)
	v_mov_b32_e32 v8, s0
	s_delay_alu instid0(VALU_DEP_3) | instskip(NEXT) | instid1(VALU_DEP_3)
	v_mul_f32_e32 v4, 0x2f800000, v6
	v_rcp_iflag_f32_e32 v7, v3
	s_delay_alu instid0(VALU_DEP_1) | instskip(SKIP_1) | instid1(VALU_DEP_2)
	v_trunc_f32_e32 v9, v4
	v_mad_u64_u32 v[3:4], null, 0x50, s6, v[0:1]
	v_fmac_f32_e32 v6, 0xcf800000, v9
	s_waitcnt_depctr 0xfff
	v_dual_mul_f32 v10, 0x4f7ffffe, v7 :: v_dual_mov_b32 v7, s1
	v_cvt_u32_f32_e32 v4, v9
	v_cvt_u32_f32_e32 v0, v6
	s_delay_alu instid0(VALU_DEP_3)
	v_cvt_u32_f32_e32 v6, v10
.LBB42_9:                               ; =>This Inner Loop Header: Depth=1
	s_mul_hi_i32 s13, s18, s7
	s_mul_i32 s4, s18, s7
	s_cmp_lg_u64 s[12:13], 0
	s_mov_b32 s5, -1
                                        ; implicit-def: $sgpr0_sgpr1
	s_cbranch_scc0 .LBB42_11
; %bb.10:                               ;   in Loop: Header=BB42_9 Depth=1
	v_readfirstlane_b32 s0, v0
	v_readfirstlane_b32 s1, v4
	s_sub_u32 s5, 0, s20
	s_subb_u32 s19, 0, 0
	s_delay_alu instid0(VALU_DEP_2) | instskip(NEXT) | instid1(VALU_DEP_1)
	s_mul_hi_u32 s21, s5, s0
	s_mul_i32 s22, s5, s1
	s_mul_i32 s23, s19, s0
	s_add_i32 s21, s21, s22
	s_mul_i32 s22, s5, s0
	s_add_i32 s21, s21, s23
	s_mul_hi_u32 s23, s0, s22
	s_mul_i32 s24, s0, s21
	s_mul_hi_u32 s0, s0, s21
	s_add_u32 s23, s23, s24
	s_mul_i32 s25, s1, s22
	s_addc_u32 s0, 0, s0
	s_mul_hi_u32 s22, s1, s22
	s_mul_hi_u32 s24, s1, s21
	s_add_u32 s23, s23, s25
	s_addc_u32 s0, s0, s22
	s_mul_i32 s21, s1, s21
	s_addc_u32 s22, s24, 0
	s_add_u32 s0, s0, s21
	s_addc_u32 s21, 0, s22
	v_add_co_u32 v9, s0, v0, s0
	s_delay_alu instid0(VALU_DEP_1) | instskip(SKIP_1) | instid1(VALU_DEP_1)
	s_cmp_lg_u32 s0, 0
	s_addc_u32 s1, s1, s21
	v_readfirstlane_b32 s0, v9
	s_mul_i32 s21, s5, s1
	s_delay_alu instid0(VALU_DEP_1)
	s_mul_hi_u32 s22, s5, s0
	s_mul_i32 s19, s19, s0
	s_add_i32 s21, s22, s21
	s_mul_i32 s5, s5, s0
	s_add_i32 s21, s21, s19
	s_mul_hi_u32 s19, s1, s5
	s_mul_i32 s23, s1, s5
	s_mul_i32 s24, s0, s21
	s_mul_hi_u32 s5, s0, s5
	s_mul_hi_u32 s0, s0, s21
	s_add_u32 s5, s5, s24
	s_addc_u32 s0, 0, s0
	s_mul_hi_u32 s22, s1, s21
	s_add_u32 s5, s5, s23
	s_addc_u32 s0, s0, s19
	s_mul_i32 s5, s1, s21
	s_addc_u32 s19, s22, 0
	s_add_u32 s0, s0, s5
	s_addc_u32 s5, 0, s19
	v_add_co_u32 v9, s0, v9, s0
	s_delay_alu instid0(VALU_DEP_1) | instskip(SKIP_2) | instid1(SALU_CYCLE_1)
	s_cmp_lg_u32 s0, 0
	s_addc_u32 s5, s1, s5
	s_ashr_i32 s0, s13, 31
	s_add_u32 s22, s4, s0
	s_addc_u32 s23, s13, s0
	v_readfirstlane_b32 s13, v9
	s_mov_b32 s1, s0
	s_delay_alu instid0(SALU_CYCLE_1) | instskip(NEXT) | instid1(SALU_CYCLE_1)
	s_xor_b64 s[22:23], s[22:23], s[0:1]
	s_mul_i32 s19, s22, s5
	s_delay_alu instid0(VALU_DEP_1)
	s_mul_hi_u32 s21, s22, s13
	s_mul_hi_u32 s24, s22, s5
	s_add_u32 s19, s21, s19
	s_mul_i32 s25, s23, s13
	s_addc_u32 s21, 0, s24
	s_mul_hi_u32 s13, s23, s13
	s_mul_hi_u32 s24, s23, s5
	s_add_u32 s19, s19, s25
	s_addc_u32 s13, s21, s13
	s_mul_i32 s5, s23, s5
	s_addc_u32 s19, s24, 0
	s_add_u32 s5, s13, s5
	s_addc_u32 s13, 0, s19
	s_mul_i32 s21, s20, s5
	s_add_u32 s19, s5, 1
	v_sub_co_u32 v9, s21, s22, s21
	s_addc_u32 s22, s13, 0
	s_mul_i32 s25, s20, s13
	s_mul_hi_u32 s27, s20, s5
	s_delay_alu instid0(VALU_DEP_1)
	v_sub_co_u32 v10, s26, v9, s20
	s_add_u32 s24, s5, 2
	s_addc_u32 s28, s13, 0
	s_add_i32 s27, s27, s25
	s_cmp_lg_u32 s21, 0
	v_readfirstlane_b32 s21, v10
	s_subb_u32 s23, s23, s27
	s_cmp_lg_u32 s26, 0
	s_subb_u32 s25, s23, 0
	s_delay_alu instid0(VALU_DEP_1) | instskip(SKIP_4) | instid1(SALU_CYCLE_1)
	s_cmp_ge_u32 s21, s20
	s_cselect_b32 s21, -1, 0
	s_cmp_eq_u32 s25, 0
	v_readfirstlane_b32 s25, v9
	s_cselect_b32 s21, s21, -1
	s_cmp_lg_u32 s21, 0
	s_cselect_b32 s19, s24, s19
	s_cselect_b32 s21, s28, s22
	s_cmp_ge_u32 s25, s20
	s_cselect_b32 s22, -1, 0
	s_cmp_eq_u32 s23, 0
	s_cselect_b32 s22, s22, -1
	s_delay_alu instid0(SALU_CYCLE_1) | instskip(SKIP_4) | instid1(SALU_CYCLE_1)
	s_cmp_lg_u32 s22, 0
	s_cselect_b32 s23, s21, s13
	s_cselect_b32 s22, s19, s5
	s_mov_b32 s5, 0
	s_xor_b64 s[22:23], s[22:23], s[0:1]
	s_sub_u32 s0, s22, s0
.LBB42_11:                              ;   in Loop: Header=BB42_9 Depth=1
	s_and_not1_b32 vcc_lo, exec_lo, s5
	s_cbranch_vccnz .LBB42_13
; %bb.12:                               ;   in Loop: Header=BB42_9 Depth=1
	v_readfirstlane_b32 s0, v6
	s_delay_alu instid0(VALU_DEP_1) | instskip(NEXT) | instid1(SALU_CYCLE_1)
	s_mul_i32 s1, s14, s0
	s_mul_hi_u32 s1, s0, s1
	s_delay_alu instid0(SALU_CYCLE_1) | instskip(NEXT) | instid1(SALU_CYCLE_1)
	s_add_i32 s0, s0, s1
	s_mul_hi_u32 s0, s4, s0
	s_delay_alu instid0(SALU_CYCLE_1) | instskip(NEXT) | instid1(SALU_CYCLE_1)
	s_mul_i32 s1, s0, s20
	s_sub_i32 s1, s4, s1
	s_add_i32 s4, s0, 1
	s_sub_i32 s5, s1, s20
	s_cmp_ge_u32 s1, s20
	s_cselect_b32 s0, s4, s0
	s_cselect_b32 s1, s5, s1
	s_add_i32 s4, s0, 1
	s_cmp_ge_u32 s1, s20
	s_cselect_b32 s0, s4, s0
.LBB42_13:                              ;   in Loop: Header=BB42_9 Depth=1
	s_delay_alu instid0(SALU_CYCLE_1)
	s_cmp_lg_u32 s16, s0
	s_cbranch_scc0 .LBB42_17
; %bb.14:                               ;   in Loop: Header=BB42_9 Depth=1
	s_add_i32 s1, s18, s20
	s_mov_b32 s5, s12
	s_lshl_b32 s1, s1, 4
	s_mov_b32 s19, s16
	s_add_i32 s4, s1, s6
	s_mul_hi_u32 s1, s0, s8
	s_lshl_b64 s[4:5], s[4:5], 3
	s_delay_alu instid0(SALU_CYCLE_1) | instskip(SKIP_2) | instid1(SALU_CYCLE_1)
	s_add_u32 s4, s2, s4
	s_addc_u32 s5, s3, s5
	s_add_i32 s1, s1, s0
	s_lshr_b32 s1, s1, s9
	s_delay_alu instid0(SALU_CYCLE_1) | instskip(NEXT) | instid1(SALU_CYCLE_1)
	s_mul_i32 s13, s1, s10
	s_cmp_eq_u32 s13, s0
	s_cselect_b32 s13, -1, 0
	s_cmp_lt_u32 s1, s11
	s_cselect_b32 s1, -1, 0
	s_delay_alu instid0(SALU_CYCLE_1)
	s_or_b32 s1, s1, s13
	s_mov_b32 s13, -1
	s_and_b32 vcc_lo, exec_lo, s1
	s_mov_b32 s1, s18
	s_cbranch_vccnz .LBB42_16
; %bb.15:                               ;   in Loop: Header=BB42_9 Depth=1
	s_add_i32 s1, s18, -1
	s_mov_b32 s13, 0
	s_mov_b32 s19, s0
.LBB42_16:                              ;   in Loop: Header=BB42_9 Depth=1
	v_mad_u64_u32 v[9:10], null, 0x500, s18, v[3:4]
	s_load_b64 s[4:5], s[4:5], 0x0
	s_delay_alu instid0(VALU_DEP_1) | instskip(NEXT) | instid1(VALU_DEP_1)
	v_ashrrev_i32_e32 v10, 31, v9
	v_lshlrev_b64 v[9:10], 2, v[9:10]
	s_delay_alu instid0(VALU_DEP_1) | instskip(NEXT) | instid1(VALU_DEP_2)
	v_add_co_u32 v9, vcc_lo, s15, v9
	v_add_co_ci_u32_e32 v10, vcc_lo, s17, v10, vcc_lo
	s_waitcnt lgkmcnt(0)
	v_max_f32_e64 v11, s4, s4
	global_load_b32 v10, v[9:10], off
	v_max_f32_e32 v9, v8, v8
	s_delay_alu instid0(VALU_DEP_1) | instskip(NEXT) | instid1(VALU_DEP_1)
	v_max_f32_e32 v9, v9, v11
	v_sub_f32_e32 v12, v8, v9
	s_delay_alu instid0(VALU_DEP_1) | instskip(NEXT) | instid1(VALU_DEP_1)
	v_dual_mul_f32 v14, 0x3fb8aa3b, v12 :: v_dual_sub_f32 v11, s4, v9
	v_rndne_f32_e32 v18, v14
	s_delay_alu instid0(VALU_DEP_2) | instskip(SKIP_2) | instid1(VALU_DEP_4)
	v_mul_f32_e32 v13, 0x3fb8aa3b, v11
	v_fma_f32 v17, 0x3fb8aa3b, v12, -v14
	v_cmp_ngt_f32_e32 vcc_lo, 0xc2ce8ed0, v11
	v_sub_f32_e32 v14, v14, v18
	s_delay_alu instid0(VALU_DEP_4) | instskip(SKIP_2) | instid1(VALU_DEP_3)
	v_fma_f32 v15, 0x3fb8aa3b, v11, -v13
	v_rndne_f32_e32 v16, v13
	v_fmac_f32_e32 v17, 0x32a5705f, v12
	v_fmac_f32_e32 v15, 0x32a5705f, v11
	s_delay_alu instid0(VALU_DEP_2) | instskip(NEXT) | instid1(VALU_DEP_1)
	v_dual_sub_f32 v13, v13, v16 :: v_dual_add_f32 v14, v14, v17
	v_add_f32_e32 v13, v13, v15
	s_delay_alu instid0(VALU_DEP_2) | instskip(SKIP_2) | instid1(VALU_DEP_3)
	v_exp_f32_e32 v14, v14
	v_cvt_i32_f32_e32 v15, v16
	v_cvt_i32_f32_e32 v16, v18
	v_exp_f32_e32 v13, v13
	s_waitcnt_depctr 0xfff
	v_ldexp_f32 v14, v14, v16
	v_ldexp_f32 v13, v13, v15
	s_delay_alu instid0(VALU_DEP_1) | instskip(SKIP_1) | instid1(VALU_DEP_4)
	v_cndmask_b32_e32 v13, 0, v13, vcc_lo
	v_cmp_ngt_f32_e32 vcc_lo, 0xc2ce8ed0, v12
	v_cndmask_b32_e32 v14, 0, v14, vcc_lo
	v_cmp_nlt_f32_e32 vcc_lo, 0x42b17218, v11
	s_delay_alu instid0(VALU_DEP_4) | instskip(SKIP_1) | instid1(VALU_DEP_4)
	v_cndmask_b32_e32 v13, 0x7f800000, v13, vcc_lo
	v_cmp_nlt_f32_e32 vcc_lo, 0x42b17218, v12
	v_cndmask_b32_e32 v14, 0x7f800000, v14, vcc_lo
	v_cmp_le_f32_e32 vcc_lo, 0xc1a00000, v11
	s_delay_alu instid0(VALU_DEP_4) | instskip(SKIP_1) | instid1(VALU_DEP_4)
	v_cndmask_b32_e32 v11, 0, v13, vcc_lo
	v_cmp_le_f32_e32 vcc_lo, 0xc1a00000, v12
	v_cndmask_b32_e32 v12, 0, v14, vcc_lo
	s_waitcnt vmcnt(0)
	s_delay_alu instid0(VALU_DEP_3) | instskip(NEXT) | instid1(VALU_DEP_1)
	v_mul_f32_e32 v10, v10, v11
	v_dual_mul_f32 v11, s5, v11 :: v_dual_fmac_f32 v10, v5, v12
	s_delay_alu instid0(VALU_DEP_1)
	v_fmac_f32_e32 v11, v7, v12
	s_cbranch_execz .LBB42_18
	s_branch .LBB42_19
.LBB42_17:                              ;   in Loop: Header=BB42_9 Depth=1
                                        ; implicit-def: $sgpr13
                                        ; implicit-def: $vgpr10
                                        ; implicit-def: $vgpr9
                                        ; implicit-def: $vgpr11
                                        ; implicit-def: $sgpr1
                                        ; implicit-def: $sgpr19
.LBB42_18:                              ;   in Loop: Header=BB42_9 Depth=1
	s_waitcnt vmcnt(0)
	v_dual_mov_b32 v11, v7 :: v_dual_mov_b32 v10, v5
	v_mov_b32_e32 v9, v8
	s_add_i32 s1, s18, -1
	s_mov_b32 s13, 0
	s_mov_b32 s19, s16
.LBB42_19:                              ;   in Loop: Header=BB42_9 Depth=1
	s_and_not1_b32 vcc_lo, exec_lo, s13
	s_cbranch_vccz .LBB42_23
; %bb.20:                               ;   in Loop: Header=BB42_9 Depth=1
	v_dual_mov_b32 v7, v11 :: v_dual_mov_b32 v8, v9
	s_waitcnt vmcnt(0)
	v_mov_b32_e32 v5, v10
	s_mov_b32 s16, s19
	s_mov_b32 s18, s1
	s_branch .LBB42_9
.LBB42_21:
                                        ; implicit-def: $sgpr16_sgpr17
	s_load_b128 s[8:11], s[0:1], 0x44
	s_branch .LBB42_2
.LBB42_22:
                                        ; implicit-def: $sgpr18_sgpr19
	s_branch .LBB42_5
.LBB42_23:
	v_div_scale_f32 v0, null, v11, v11, v10
	s_delay_alu instid0(VALU_DEP_1) | instskip(SKIP_2) | instid1(VALU_DEP_1)
	v_rcp_f32_e32 v3, v0
	s_waitcnt_depctr 0xfff
	v_fma_f32 v4, -v0, v3, 1.0
	v_fmac_f32_e32 v3, v4, v3
	v_div_scale_f32 v4, vcc_lo, v10, v11, v10
	s_waitcnt vmcnt(0)
	s_delay_alu instid0(VALU_DEP_1) | instskip(NEXT) | instid1(VALU_DEP_1)
	v_mul_f32_e32 v5, v4, v3
	v_fma_f32 v6, -v0, v5, v4
	s_delay_alu instid0(VALU_DEP_1) | instskip(NEXT) | instid1(VALU_DEP_1)
	v_fmac_f32_e32 v5, v6, v3
	v_fma_f32 v0, -v0, v5, v4
	s_delay_alu instid0(VALU_DEP_1) | instskip(NEXT) | instid1(VALU_DEP_1)
	v_div_fmas_f32 v0, v0, v3, v5
	v_div_fixup_f32 v0, v0, v11, v10
	global_store_b32 v[1:2], v0, off
.LBB42_24:
	s_nop 0
	s_sendmsg sendmsg(MSG_DEALLOC_VGPRS)
	s_endpgm
	.section	.rodata,"a",@progbits
	.p2align	6, 0x0
	.amdhsa_kernel _ZL33flash_attn_stream_k_fixup_generalILi80ELi8ELi2EEvPfPK15HIP_vector_typeIfLj2EEiiiiS1_IjLj3EES5_S5_S5_
		.amdhsa_group_segment_fixed_size 0
		.amdhsa_private_segment_fixed_size 0
		.amdhsa_kernarg_size 336
		.amdhsa_user_sgpr_count 13
		.amdhsa_user_sgpr_dispatch_ptr 0
		.amdhsa_user_sgpr_queue_ptr 0
		.amdhsa_user_sgpr_kernarg_segment_ptr 1
		.amdhsa_user_sgpr_dispatch_id 0
		.amdhsa_user_sgpr_private_segment_size 0
		.amdhsa_wavefront_size32 1
		.amdhsa_uses_dynamic_stack 0
		.amdhsa_enable_private_segment 0
		.amdhsa_system_sgpr_workgroup_id_x 1
		.amdhsa_system_sgpr_workgroup_id_y 1
		.amdhsa_system_sgpr_workgroup_id_z 1
		.amdhsa_system_sgpr_workgroup_info 0
		.amdhsa_system_vgpr_workitem_id 0
		.amdhsa_next_free_vgpr 19
		.amdhsa_next_free_sgpr 32
		.amdhsa_reserve_vcc 1
		.amdhsa_float_round_mode_32 0
		.amdhsa_float_round_mode_16_64 0
		.amdhsa_float_denorm_mode_32 3
		.amdhsa_float_denorm_mode_16_64 3
		.amdhsa_dx10_clamp 1
		.amdhsa_ieee_mode 1
		.amdhsa_fp16_overflow 0
		.amdhsa_workgroup_processor_mode 1
		.amdhsa_memory_ordered 1
		.amdhsa_forward_progress 0
		.amdhsa_shared_vgpr_count 0
		.amdhsa_exception_fp_ieee_invalid_op 0
		.amdhsa_exception_fp_denorm_src 0
		.amdhsa_exception_fp_ieee_div_zero 0
		.amdhsa_exception_fp_ieee_overflow 0
		.amdhsa_exception_fp_ieee_underflow 0
		.amdhsa_exception_fp_ieee_inexact 0
		.amdhsa_exception_int_div_zero 0
	.end_amdhsa_kernel
	.section	.text._ZL33flash_attn_stream_k_fixup_generalILi80ELi8ELi2EEvPfPK15HIP_vector_typeIfLj2EEiiiiS1_IjLj3EES5_S5_S5_,"axG",@progbits,_ZL33flash_attn_stream_k_fixup_generalILi80ELi8ELi2EEvPfPK15HIP_vector_typeIfLj2EEiiiiS1_IjLj3EES5_S5_S5_,comdat
.Lfunc_end42:
	.size	_ZL33flash_attn_stream_k_fixup_generalILi80ELi8ELi2EEvPfPK15HIP_vector_typeIfLj2EEiiiiS1_IjLj3EES5_S5_S5_, .Lfunc_end42-_ZL33flash_attn_stream_k_fixup_generalILi80ELi8ELi2EEvPfPK15HIP_vector_typeIfLj2EEiiiiS1_IjLj3EES5_S5_S5_
                                        ; -- End function
	.section	.AMDGPU.csdata,"",@progbits
; Kernel info:
; codeLenInByte = 3224
; NumSgprs: 34
; NumVgprs: 19
; ScratchSize: 0
; MemoryBound: 0
; FloatMode: 240
; IeeeMode: 1
; LDSByteSize: 0 bytes/workgroup (compile time only)
; SGPRBlocks: 4
; VGPRBlocks: 2
; NumSGPRsForWavesPerEU: 34
; NumVGPRsForWavesPerEU: 19
; Occupancy: 16
; WaveLimiterHint : 0
; COMPUTE_PGM_RSRC2:SCRATCH_EN: 0
; COMPUTE_PGM_RSRC2:USER_SGPR: 13
; COMPUTE_PGM_RSRC2:TRAP_HANDLER: 0
; COMPUTE_PGM_RSRC2:TGID_X_EN: 1
; COMPUTE_PGM_RSRC2:TGID_Y_EN: 1
; COMPUTE_PGM_RSRC2:TGID_Z_EN: 1
; COMPUTE_PGM_RSRC2:TIDIG_COMP_CNT: 0
	.section	.text._ZL15flash_attn_tileILi80ELi80ELi4ELi2ELb0EEvPKcS1_S1_S1_S1_PKiPfP15HIP_vector_typeIfLj2EEffffjfiS5_IjLj3EEiiiiiiiiiiiliiliiiiil,"axG",@progbits,_ZL15flash_attn_tileILi80ELi80ELi4ELi2ELb0EEvPKcS1_S1_S1_S1_PKiPfP15HIP_vector_typeIfLj2EEffffjfiS5_IjLj3EEiiiiiiiiiiiliiliiiiil,comdat
	.globl	_ZL15flash_attn_tileILi80ELi80ELi4ELi2ELb0EEvPKcS1_S1_S1_S1_PKiPfP15HIP_vector_typeIfLj2EEffffjfiS5_IjLj3EEiiiiiiiiiiiliiliiiiil ; -- Begin function _ZL15flash_attn_tileILi80ELi80ELi4ELi2ELb0EEvPKcS1_S1_S1_S1_PKiPfP15HIP_vector_typeIfLj2EEffffjfiS5_IjLj3EEiiiiiiiiiiiliiliiiiil
	.p2align	8
	.type	_ZL15flash_attn_tileILi80ELi80ELi4ELi2ELb0EEvPKcS1_S1_S1_S1_PKiPfP15HIP_vector_typeIfLj2EEffffjfiS5_IjLj3EEiiiiiiiiiiiliiliiiiil,@function
_ZL15flash_attn_tileILi80ELi80ELi4ELi2ELb0EEvPKcS1_S1_S1_S1_PKiPfP15HIP_vector_typeIfLj2EEffffjfiS5_IjLj3EEiiiiiiiiiiiliiliiiiil: ; @_ZL15flash_attn_tileILi80ELi80ELi4ELi2ELb0EEvPKcS1_S1_S1_S1_PKiPfP15HIP_vector_typeIfLj2EEffffjfiS5_IjLj3EEiiiiiiiiiiiliiliiiiil
; %bb.0:
	s_clause 0x1
	s_load_b128 s[8:11], s[0:1], 0x5c
	s_load_b64 s[34:35], s[0:1], 0x80
	s_mov_b64 s[36:37], 0
	s_waitcnt lgkmcnt(0)
	s_lshr_b32 s2, s11, 31
	s_delay_alu instid0(SALU_CYCLE_1) | instskip(NEXT) | instid1(SALU_CYCLE_1)
	s_add_i32 s2, s11, s2
	s_ashr_i32 s2, s2, 1
	s_delay_alu instid0(SALU_CYCLE_1) | instskip(SKIP_1) | instid1(VALU_DEP_1)
	v_cvt_f32_u32_e32 v1, s2
	s_sub_i32 s4, 0, s2
	v_rcp_iflag_f32_e32 v1, v1
	s_waitcnt_depctr 0xfff
	v_mul_f32_e32 v1, 0x4f7ffffe, v1
	s_delay_alu instid0(VALU_DEP_1) | instskip(NEXT) | instid1(VALU_DEP_1)
	v_cvt_u32_f32_e32 v1, v1
	v_readfirstlane_b32 s3, v1
	s_delay_alu instid0(VALU_DEP_1) | instskip(NEXT) | instid1(SALU_CYCLE_1)
	s_mul_i32 s4, s4, s3
	s_mul_hi_u32 s4, s3, s4
	s_delay_alu instid0(SALU_CYCLE_1) | instskip(NEXT) | instid1(SALU_CYCLE_1)
	s_add_i32 s3, s3, s4
	s_mul_hi_u32 s3, s15, s3
	s_delay_alu instid0(SALU_CYCLE_1) | instskip(SKIP_2) | instid1(SALU_CYCLE_1)
	s_mul_i32 s4, s3, s2
	s_add_i32 s5, s3, 1
	s_sub_i32 s4, s15, s4
	s_sub_i32 s6, s4, s2
	s_cmp_ge_u32 s4, s2
	s_cselect_b32 s3, s5, s3
	s_cselect_b32 s4, s6, s4
	s_add_i32 s5, s3, 1
	s_cmp_ge_u32 s4, s2
	s_cselect_b32 s33, s5, s3
	s_abs_i32 s2, s35
	s_abs_i32 s5, s11
	v_cvt_f32_u32_e32 v1, s2
	s_sub_i32 s4, 0, s2
	s_xor_b32 s6, s11, s35
	s_delay_alu instid0(SALU_CYCLE_1) | instskip(NEXT) | instid1(VALU_DEP_1)
	s_ashr_i32 s6, s6, 31
	v_rcp_iflag_f32_e32 v1, v1
	s_waitcnt_depctr 0xfff
	v_mul_f32_e32 v1, 0x4f7ffffe, v1
	s_delay_alu instid0(VALU_DEP_1) | instskip(NEXT) | instid1(VALU_DEP_1)
	v_cvt_u32_f32_e32 v1, v1
	v_readfirstlane_b32 s3, v1
	s_delay_alu instid0(VALU_DEP_1) | instskip(NEXT) | instid1(SALU_CYCLE_1)
	s_mul_i32 s4, s4, s3
	s_mul_hi_u32 s4, s3, s4
	s_delay_alu instid0(SALU_CYCLE_1) | instskip(SKIP_2) | instid1(SALU_CYCLE_1)
	s_add_i32 s3, s3, s4
	s_lshl_b32 s4, s15, 1
	s_mul_hi_u32 s3, s5, s3
	s_mul_i32 s7, s3, s2
	s_delay_alu instid0(SALU_CYCLE_1)
	s_sub_i32 s5, s5, s7
	s_add_i32 s7, s3, 1
	s_sub_i32 s12, s5, s2
	s_cmp_ge_u32 s5, s2
	s_cselect_b32 s3, s7, s3
	s_cselect_b32 s5, s12, s5
	s_add_i32 s7, s3, 1
	s_cmp_ge_u32 s5, s2
	s_mul_i32 s5, s33, s11
	s_cselect_b32 s2, s7, s3
	s_delay_alu instid0(SALU_CYCLE_1) | instskip(NEXT) | instid1(SALU_CYCLE_1)
	s_xor_b32 s2, s2, s6
	s_sub_i32 s35, s2, s6
	s_clause 0x1
	s_load_b512 s[16:31], s[0:1], 0x0
	s_load_b64 s[2:3], s[0:1], 0xb8
	s_abs_i32 s12, s35
	s_delay_alu instid0(SALU_CYCLE_1) | instskip(NEXT) | instid1(VALU_DEP_1)
	v_cvt_f32_u32_e32 v1, s12
	v_rcp_iflag_f32_e32 v1, v1
	s_waitcnt_depctr 0xfff
	v_mul_f32_e32 v1, 0x4f7ffffe, v1
	s_waitcnt lgkmcnt(0)
	s_cmp_eq_u64 s[22:23], 0
	s_delay_alu instid0(VALU_DEP_1) | instskip(NEXT) | instid1(VALU_DEP_1)
	v_cvt_u32_f32_e32 v1, v1
	v_readfirstlane_b32 s38, v1
	s_cbranch_scc1 .LBB43_2
; %bb.1:
	s_abs_i32 s2, s2
	s_abs_i32 s15, s33
	v_cvt_f32_u32_e32 v1, s2
	s_sub_i32 s7, 0, s2
	s_delay_alu instid0(VALU_DEP_1) | instskip(SKIP_2) | instid1(VALU_DEP_1)
	v_rcp_iflag_f32_e32 v1, v1
	s_waitcnt_depctr 0xfff
	v_mul_f32_e32 v1, 0x4f7ffffe, v1
	v_cvt_u32_f32_e32 v1, v1
	s_delay_alu instid0(VALU_DEP_1) | instskip(NEXT) | instid1(VALU_DEP_1)
	v_readfirstlane_b32 s6, v1
	s_mul_i32 s7, s7, s6
	s_delay_alu instid0(SALU_CYCLE_1) | instskip(NEXT) | instid1(SALU_CYCLE_1)
	s_mul_hi_u32 s7, s6, s7
	s_add_i32 s36, s6, s7
	s_load_b64 s[6:7], s[0:1], 0xc8
	s_mul_hi_u32 s36, s15, s36
	s_delay_alu instid0(SALU_CYCLE_1) | instskip(NEXT) | instid1(SALU_CYCLE_1)
	s_mul_i32 s36, s36, s2
	s_sub_i32 s15, s15, s36
	s_ashr_i32 s36, s33, 31
	s_sub_i32 s37, s15, s2
	s_cmp_ge_u32 s15, s2
	s_cselect_b32 s15, s37, s15
	s_delay_alu instid0(SALU_CYCLE_1) | instskip(SKIP_2) | instid1(SALU_CYCLE_1)
	s_sub_i32 s37, s15, s2
	s_cmp_ge_u32 s15, s2
	s_cselect_b32 s2, s37, s15
	s_xor_b32 s2, s2, s36
	s_delay_alu instid0(SALU_CYCLE_1)
	s_sub_i32 s2, s2, s36
	s_waitcnt lgkmcnt(0)
	s_mul_i32 s7, s2, s7
	s_mul_hi_u32 s15, s2, s6
	s_ashr_i32 s36, s2, 31
	s_add_i32 s7, s15, s7
	s_mul_i32 s36, s36, s6
	s_mul_i32 s2, s2, s6
	s_add_i32 s7, s7, s36
	s_add_u32 s36, s22, s2
	s_addc_u32 s37, s23, s7
.LBB43_2:
	v_bfe_u32 v1, v0, 10, 10
	s_lshl_b32 s2, s13, 2
	v_and_b32_e32 v40, 0x3ff, v0
	s_sub_i32 s15, s4, s5
	s_delay_alu instid0(VALU_DEP_2) | instskip(SKIP_1) | instid1(VALU_DEP_2)
	v_lshrrev_b32_e32 v2, 1, v1
	v_and_b32_e32 v53, 1, v1
	v_add_nc_u32_e32 v41, s2, v2
	v_cmp_gt_u32_e64 s2, 20, v40
	s_delay_alu instid0(VALU_DEP_2) | instskip(NEXT) | instid1(VALU_DEP_2)
	v_mul_hi_u32 v0, s8, v41
	s_and_saveexec_b32 s4, s2
	s_cbranch_execz .LBB43_4
; %bb.3:
	s_load_b128 s[40:43], s[0:1], 0x70
	s_delay_alu instid0(VALU_DEP_1) | instskip(SKIP_1) | instid1(VALU_DEP_2)
	v_add_nc_u32_e32 v2, v41, v0
	v_lshlrev_b32_e32 v9, 1, v40
	v_lshrrev_b32_e32 v2, s9, v2
	s_delay_alu instid0(VALU_DEP_1) | instskip(NEXT) | instid1(VALU_DEP_1)
	v_mul_lo_u32 v2, v2, s10
	v_sub_nc_u32_e32 v4, v41, v2
	s_waitcnt lgkmcnt(0)
	s_mul_i32 s5, s33, s42
	s_mul_i32 s6, s15, s41
	s_ashr_i32 s7, s5, 31
	s_add_u32 s5, s16, s5
	s_addc_u32 s7, s17, s7
	s_ashr_i32 s8, s6, 31
	s_add_u32 s5, s5, s6
	s_addc_u32 s6, s7, s8
	s_ashr_i32 s7, s40, 31
	s_ashr_i32 s8, s41, 31
	v_alignbit_b32 v5, s7, s40, 2
	v_alignbit_b32 v8, s8, s41, 2
	s_lshr_b32 s8, s8, 2
	s_lshr_b32 s7, s7, 2
	s_delay_alu instid0(VALU_DEP_2) | instskip(SKIP_1) | instid1(VALU_DEP_2)
	v_mad_u64_u32 v[2:3], null, v5, v4, 0
	v_mul_lo_u32 v5, s8, v53
	v_mad_u64_u32 v[6:7], null, s7, v4, v[3:4]
	v_mul_lo_u32 v4, v8, v53
	v_mul_u32_u24_e32 v8, 40, v1
	s_delay_alu instid0(VALU_DEP_3) | instskip(NEXT) | instid1(VALU_DEP_3)
	v_dual_mov_b32 v3, v6 :: v_dual_lshlrev_b32 v6, 4, v40
	v_lshlrev_b64 v[4:5], 2, v[4:5]
	s_delay_alu instid0(VALU_DEP_2) | instskip(NEXT) | instid1(VALU_DEP_2)
	v_lshlrev_b64 v[2:3], 2, v[2:3]
	v_add_co_u32 v4, vcc_lo, s5, v4
	s_delay_alu instid0(VALU_DEP_3) | instskip(SKIP_1) | instid1(VALU_DEP_2)
	v_add_co_ci_u32_e32 v5, vcc_lo, s6, v5, vcc_lo
	s_load_b32 s5, s[0:1], 0x40
	v_add_co_u32 v2, vcc_lo, v4, v2
	s_delay_alu instid0(VALU_DEP_2) | instskip(NEXT) | instid1(VALU_DEP_2)
	v_add_co_ci_u32_e32 v3, vcc_lo, v5, v3, vcc_lo
	v_add_co_u32 v2, vcc_lo, v2, v6
	s_delay_alu instid0(VALU_DEP_2)
	v_add_co_ci_u32_e32 v3, vcc_lo, 0, v3, vcc_lo
	global_load_b128 v[2:5], v[2:3], off
	s_waitcnt vmcnt(0) lgkmcnt(0)
	v_fma_mixlo_f16 v7, v4, s5, 0
	v_fma_mixlo_f16 v6, v2, s5, 0
	v_add_lshl_u32 v2, v8, v9, 2
	s_delay_alu instid0(VALU_DEP_3) | instskip(NEXT) | instid1(VALU_DEP_3)
	v_fma_mixhi_f16 v7, v5, s5, 0
	v_fma_mixhi_f16 v6, v3, s5, 0
	ds_store_b64 v2, v[6:7] offset:3264
.LBB43_4:
	s_or_b32 exec_lo, exec_lo, s4
	s_cmp_eq_u64 s[26:27], 0
	s_waitcnt lgkmcnt(0)
	s_barrier
	buffer_gl0_inv
	s_cbranch_scc1 .LBB43_6
; %bb.5:
	s_load_b32 s4, s[0:1], 0xd0
	s_mov_b32 s5, 0
	s_waitcnt lgkmcnt(0)
	s_mul_i32 s4, s4, s33
	s_delay_alu instid0(SALU_CYCLE_1) | instskip(NEXT) | instid1(SALU_CYCLE_1)
	s_add_i32 s4, s4, s13
	s_lshl_b64 s[4:5], s[4:5], 2
	s_delay_alu instid0(SALU_CYCLE_1)
	s_add_u32 s4, s26, s4
	s_addc_u32 s5, s27, s5
	s_load_b32 s34, s[4:5], 0x0
.LBB43_6:
	v_mbcnt_lo_u32_b32 v52, -1, 0
	s_lshl_b32 s16, s14, 5
	s_waitcnt lgkmcnt(0)
	s_cmp_lt_i32 s16, s34
	s_cbranch_scc1 .LBB43_8
; %bb.7:
	v_mbcnt_lo_u32_b32 v2, -1, 0
	v_mov_b32_e32 v55, 32
	s_mov_b32 s4, 0
	s_mov_b32 s5, 0xfeffffff
	s_delay_alu instid0(VALU_DEP_2)
	v_xor_b32_e32 v70, 16, v2
	v_xor_b32_e32 v72, 8, v2
	;; [unrolled: 1-line block ×5, first 2 shown]
	s_branch .LBB43_9
.LBB43_8:
	s_mov_b32 s4, -1
                                        ; implicit-def: $sgpr5
                                        ; implicit-def: $vgpr2
                                        ; implicit-def: $vgpr55
                                        ; implicit-def: $vgpr70
                                        ; implicit-def: $vgpr72
                                        ; implicit-def: $vgpr73
                                        ; implicit-def: $vgpr74
                                        ; implicit-def: $vgpr75
.LBB43_9:
	s_delay_alu instid0(SALU_CYCLE_1) | instskip(SKIP_3) | instid1(VALU_DEP_4)
	v_cndmask_b32_e64 v3, 0, 1, s4
	v_dual_mov_b32 v56, s4 :: v_dual_mov_b32 v51, s5
	v_mov_b32_e32 v76, s4
	v_mov_b32_e32 v54, s4
	v_cmp_ne_u32_e32 vcc_lo, 1, v3
	s_cbranch_vccnz .LBB43_30
; %bb.10:
	s_clause 0x1
	s_load_b128 s[4:7], s[0:1], 0x98
	s_load_b64 s[22:23], s[0:1], 0x8c
	s_sub_i32 s8, 0, s12
	s_abs_i32 s13, s15
	s_mul_i32 s8, s8, s38
	v_dual_mov_b32 v55, 32 :: v_dual_lshlrev_b32 v6, 2, v40
	s_mul_hi_u32 s8, s38, s8
	s_ashr_i32 s39, s15, 31
	s_add_i32 s38, s38, s8
	s_ashr_i32 s8, s3, 1
	s_mul_hi_u32 s3, s13, s38
	s_ashr_i32 s38, s33, 31
	s_ashr_i32 s35, s35, 31
	s_load_b64 s[26:27], s[0:1], 0xa8
	s_mul_i32 s40, s3, s12
	v_dual_mov_b32 v71, 0xfeffffff :: v_dual_add_nc_u32 v0, v41, v0
	v_lshrrev_b32_e32 v2, 2, v40
	v_dual_mov_b32 v69, 0 :: v_dual_and_b32 v8, 12, v6
	s_waitcnt lgkmcnt(0)
	s_ashr_i32 s17, s6, 2
	s_mul_i32 s5, s33, s5
	s_mul_hi_u32 s6, s33, s4
	s_mul_i32 s41, s38, s4
	s_add_i32 s5, s6, s5
	s_mul_i32 s4, s33, s4
	s_ashr_i32 s22, s22, 2
	s_add_i32 s5, s5, s41
	s_add_u32 s4, s18, s4
	s_addc_u32 s5, s19, s5
	s_sub_i32 s13, s13, s40
	s_xor_b32 s6, s39, s35
	s_add_i32 s18, s3, 1
	s_sub_i32 s19, s13, s12
	s_cmp_ge_u32 s13, s12
	v_lshrrev_b32_e32 v0, s9, v0
	s_cselect_b32 s3, s18, s3
	s_cselect_b32 s13, s19, s13
	v_lshl_add_u32 v5, v1, 3, v2
	v_dual_mov_b32 v54, 0 :: v_dual_lshlrev_b32 v7, 2, v8
	v_lshrrev_b32_e32 v9, 1, v40
	s_add_i32 s18, s3, 1
	s_cmp_ge_u32 s13, s12
	v_mul_lo_u32 v0, v0, s10
	s_cselect_b32 s3, s18, s3
	v_mad_u32_u24 v60, 0x60, v5, v7
	v_lshl_add_u32 v7, v1, 4, v9
	v_lshrrev_b32_e32 v9, 3, v40
	s_xor_b32 s3, s3, s6
	v_lshl_add_u32 v3, v1, 5, v40
	s_sub_i32 s3, s3, s6
	v_sub_nc_u32_e32 v0, v41, v0
	s_mul_i32 s6, s3, s23
	v_lshl_add_u32 v9, v1, 2, v9
	s_mul_i32 s12, s33, s27
	s_mul_hi_u32 s13, s33, s26
	s_ashr_i32 s19, s6, 31
	s_add_u32 s18, s4, s6
	v_and_b32_e32 v62, 4, v6
	v_mul_u32_u24_e32 v10, 0xa0, v7
	v_and_b32_e32 v64, 28, v6
	s_mul_i32 s38, s38, s26
	s_addc_u32 s19, s5, s19
	s_add_i32 s4, s13, s12
	s_mul_i32 s23, s33, s26
	v_mul_lo_u32 v2, s22, v3
	v_mul_lo_u32 v4, s22, v5
	v_mad_u64_u32 v[42:43], null, v0, s8, v[40:41]
	v_mul_lo_u32 v0, s17, v7
	v_mul_lo_u32 v6, s17, v9
	s_add_i32 s4, s4, s38
	s_add_u32 s5, s20, s23
	s_addc_u32 s6, s21, s4
	v_mul_u32_u24_e32 v58, 0xa0, v1
	v_lshl_add_u32 v61, v1, 6, 0x11c0
	v_lshl_or_b32 v1, v62, 2, v10
	v_cmp_gt_u32_e64 s4, 16, v7
	v_dual_mov_b32 v56, 0 :: v_dual_lshlrev_b32 v7, 2, v64
	s_mul_i32 s3, s3, s7
	v_cmp_gt_u32_e32 vcc_lo, 32, v3
	s_ashr_i32 s7, s3, 31
	s_add_u32 s20, s5, s3
	v_cmp_gt_u32_e64 s3, 32, v5
	v_mad_u32_u24 v59, 0x60, v3, 64
	v_ashrrev_i32_e32 v3, 31, v2
	v_ashrrev_i32_e32 v5, 31, v4
	v_add_nc_u32_e32 v66, 0x80, v1
	v_ashrrev_i32_e32 v1, 31, v0
	v_mad_u32_u24 v67, 0xa0, v9, v7
	v_ashrrev_i32_e32 v7, 31, v6
	v_lshlrev_b64 v[43:44], 2, v[2:3]
	v_lshlrev_b64 v[45:46], 2, v[4:5]
	;; [unrolled: 1-line block ×3, first 2 shown]
	v_mul_u32_u24_e32 v57, 0x60, v40
	v_lshlrev_b64 v[49:50], 2, v[6:7]
	v_lshl_add_u32 v63, v40, 1, v61
	v_cmp_gt_u32_e64 s5, 16, v9
	v_lshlrev_b32_e32 v65, 3, v40
	v_lshlrev_b32_e32 v68, 2, v8
	s_addc_u32 s9, s6, s7
	s_add_u32 s12, s0, 0xd0
	s_addc_u32 s13, s1, 0
.LBB43_11:                              ; =>This Inner Loop Header: Depth=1
	s_mul_hi_i32 s7, s16, s22
	s_mul_i32 s6, s16, s22
	s_delay_alu instid0(SALU_CYCLE_1) | instskip(NEXT) | instid1(SALU_CYCLE_1)
	s_lshl_b64 s[26:27], s[6:7], 2
	s_add_u32 s7, s18, s26
	s_addc_u32 s8, s19, s27
	s_and_saveexec_b32 s21, vcc_lo
	s_cbranch_execz .LBB43_13
; %bb.12:                               ;   in Loop: Header=BB43_11 Depth=1
	v_add_co_u32 v0, s6, s7, v43
	s_delay_alu instid0(VALU_DEP_1)
	v_add_co_ci_u32_e64 v1, s6, s8, v44, s6
	global_load_b128 v[0:3], v[0:1], off offset:64
	s_waitcnt vmcnt(0)
	ds_store_b128 v59, v[0:3]
.LBB43_13:                              ;   in Loop: Header=BB43_11 Depth=1
	s_or_b32 exec_lo, exec_lo, s21
	s_and_saveexec_b32 s21, s3
	s_cbranch_execz .LBB43_15
; %bb.14:                               ;   in Loop: Header=BB43_11 Depth=1
	v_add_co_u32 v0, s6, s7, v45
	s_delay_alu instid0(VALU_DEP_1) | instskip(NEXT) | instid1(VALU_DEP_2)
	v_add_co_ci_u32_e64 v1, s6, s8, v46, s6
	v_add_co_u32 v0, s6, v0, v68
	s_delay_alu instid0(VALU_DEP_1)
	v_add_co_ci_u32_e64 v1, s6, 0, v1, s6
	global_load_b128 v[0:3], v[0:1], off
	s_waitcnt vmcnt(0)
	ds_store_b128 v60, v[0:3]
.LBB43_15:                              ;   in Loop: Header=BB43_11 Depth=1
	s_or_b32 exec_lo, exec_lo, s21
	s_waitcnt lgkmcnt(0)
	s_barrier
	buffer_gl0_inv
	ds_load_b128 v[1:4], v57
	ds_load_b128 v[5:8], v58 offset:3264
	v_mov_b32_e32 v0, 0
	s_waitcnt lgkmcnt(0)
	;;#ASMSTART
	v_dot2_f32_f16 v0, v1, v5, v0
	;;#ASMEND
	;;#ASMSTART
	v_dot2_f32_f16 v0, v2, v6, v0
	;;#ASMEND
	;;#ASMSTART
	v_dot2_f32_f16 v0, v3, v7, v0
	;;#ASMEND
	;;#ASMSTART
	v_dot2_f32_f16 v0, v4, v8, v0
	;;#ASMEND
	ds_load_b128 v[1:4], v57 offset:16
	ds_load_b128 v[5:8], v58 offset:3280
	s_waitcnt lgkmcnt(0)
	;;#ASMSTART
	v_dot2_f32_f16 v0, v1, v5, v0
	;;#ASMEND
	;;#ASMSTART
	v_dot2_f32_f16 v0, v2, v6, v0
	;;#ASMEND
	;;#ASMSTART
	v_dot2_f32_f16 v0, v3, v7, v0
	;;#ASMEND
	;;#ASMSTART
	v_dot2_f32_f16 v0, v4, v8, v0
	;;#ASMEND
	ds_load_b128 v[1:4], v57 offset:32
	ds_load_b128 v[5:8], v58 offset:3296
	;; [unrolled: 15-line block ×4, first 2 shown]
	s_waitcnt lgkmcnt(0)
	;;#ASMSTART
	v_dot2_f32_f16 v0, v1, v5, v0
	;;#ASMEND
	;;#ASMSTART
	v_dot2_f32_f16 v0, v2, v6, v0
	;;#ASMEND
	;; [unrolled: 3-line block ×4, first 2 shown]
	s_barrier
	buffer_gl0_inv
	s_and_saveexec_b32 s21, vcc_lo
	s_cbranch_execz .LBB43_17
; %bb.16:                               ;   in Loop: Header=BB43_11 Depth=1
	v_add_co_u32 v1, s6, s7, v43
	s_delay_alu instid0(VALU_DEP_1)
	v_add_co_ci_u32_e64 v2, s6, s8, v44, s6
	global_load_b128 v[1:4], v[1:2], off offset:144
	s_waitcnt vmcnt(0)
	ds_store_b128 v59, v[1:4]
.LBB43_17:                              ;   in Loop: Header=BB43_11 Depth=1
	s_or_b32 exec_lo, exec_lo, s21
	s_and_saveexec_b32 s21, s3
	s_cbranch_execz .LBB43_19
; %bb.18:                               ;   in Loop: Header=BB43_11 Depth=1
	v_add_co_u32 v1, s6, s7, v45
	s_delay_alu instid0(VALU_DEP_1) | instskip(NEXT) | instid1(VALU_DEP_2)
	v_add_co_ci_u32_e64 v2, s6, s8, v46, s6
	v_add_co_u32 v1, s6, v1, v68
	s_delay_alu instid0(VALU_DEP_1)
	v_add_co_ci_u32_e64 v2, s6, 0, v2, s6
	global_load_b128 v[1:4], v[1:2], off offset:80
	s_waitcnt vmcnt(0)
	ds_store_b128 v60, v[1:4]
.LBB43_19:                              ;   in Loop: Header=BB43_11 Depth=1
	s_or_b32 exec_lo, exec_lo, s21
	s_waitcnt lgkmcnt(0)
	s_barrier
	buffer_gl0_inv
	ds_load_b128 v[1:4], v57
	ds_load_b128 v[5:8], v58 offset:3344
	v_xor_b32_e32 v70, 16, v52
	v_xor_b32_e32 v72, 8, v52
	;; [unrolled: 1-line block ×5, first 2 shown]
	s_mul_hi_i32 s7, s16, s17
	v_lshlrev_b32_e32 v79, 2, v62
	s_waitcnt lgkmcnt(0)
	;;#ASMSTART
	v_dot2_f32_f16 v0, v1, v5, v0
	;;#ASMEND
	;;#ASMSTART
	v_dot2_f32_f16 v0, v2, v6, v0
	;;#ASMEND
	;;#ASMSTART
	v_dot2_f32_f16 v0, v3, v7, v0
	;;#ASMEND
	;;#ASMSTART
	v_dot2_f32_f16 v0, v4, v8, v0
	;;#ASMEND
	ds_load_b128 v[1:4], v57 offset:16
	ds_load_b128 v[5:8], v58 offset:3360
	s_waitcnt lgkmcnt(0)
	;;#ASMSTART
	v_dot2_f32_f16 v0, v1, v5, v0
	;;#ASMEND
	;;#ASMSTART
	v_dot2_f32_f16 v0, v2, v6, v0
	;;#ASMEND
	;;#ASMSTART
	v_dot2_f32_f16 v0, v3, v7, v0
	;;#ASMEND
	;;#ASMSTART
	v_dot2_f32_f16 v0, v4, v8, v0
	;;#ASMEND
	ds_load_b128 v[1:4], v57 offset:32
	ds_load_b128 v[5:8], v58 offset:3376
	;; [unrolled: 15-line block ×4, first 2 shown]
	s_waitcnt lgkmcnt(0)
	;;#ASMSTART
	v_dot2_f32_f16 v0, v1, v5, v0
	;;#ASMEND
	;;#ASMSTART
	v_dot2_f32_f16 v0, v2, v6, v0
	;;#ASMEND
	;; [unrolled: 3-line block ×4, first 2 shown]
	v_add_nc_u32_e32 v9, s16, v42
	s_delay_alu instid0(VALU_DEP_1) | instskip(NEXT) | instid1(VALU_DEP_1)
	v_ashrrev_i32_e32 v10, 31, v9
	v_lshlrev_b64 v[9:10], 1, v[9:10]
	s_delay_alu instid0(VALU_DEP_1) | instskip(NEXT) | instid1(VALU_DEP_1)
	v_add_co_u32 v9, s6, s36, v9
	v_add_co_ci_u32_e64 v10, s6, s37, v10, s6
	v_cmp_gt_i32_e64 s6, 32, v70
	flat_load_u16 v1, v[9:10]
	s_waitcnt vmcnt(0) lgkmcnt(0)
	v_cndmask_b32_e64 v2, v52, v70, s6
	v_cmp_gt_i32_e64 s6, 32, v72
	s_barrier
	buffer_gl0_inv
	v_lshlrev_b32_e32 v2, 2, v2
	v_cvt_f32_f16_e32 v1, v1
	s_delay_alu instid0(VALU_DEP_1) | instskip(NEXT) | instid1(VALU_DEP_1)
	v_dual_add_f32 v0, v0, v1 :: v_dual_max_f32 v1, v71, v71
	v_add_f32_e32 v3, 0x40051340, v0
	s_delay_alu instid0(VALU_DEP_1)
	v_max_f32_e32 v1, v1, v3
	v_cndmask_b32_e64 v3, v52, v72, s6
	v_cmp_gt_i32_e64 s6, 32, v73
	ds_bpermute_b32 v2, v2, v1
	s_waitcnt lgkmcnt(0)
	v_dual_max_f32 v2, v2, v2 :: v_dual_lshlrev_b32 v3, 2, v3
	s_delay_alu instid0(VALU_DEP_1) | instskip(SKIP_4) | instid1(VALU_DEP_2)
	v_max_f32_e32 v1, v1, v2
	ds_bpermute_b32 v2, v3, v1
	v_cndmask_b32_e64 v3, v52, v73, s6
	v_cmp_gt_i32_e64 s6, 32, v74
	s_waitcnt lgkmcnt(0)
	v_dual_max_f32 v2, v2, v2 :: v_dual_lshlrev_b32 v3, 2, v3
	s_delay_alu instid0(VALU_DEP_1) | instskip(SKIP_4) | instid1(VALU_DEP_2)
	v_max_f32_e32 v1, v1, v2
	ds_bpermute_b32 v2, v3, v1
	v_cndmask_b32_e64 v3, v52, v74, s6
	v_cmp_gt_i32_e64 s6, 32, v75
	s_waitcnt lgkmcnt(0)
	v_dual_max_f32 v2, v2, v2 :: v_dual_lshlrev_b32 v3, 2, v3
	s_delay_alu instid0(VALU_DEP_1) | instskip(SKIP_3) | instid1(VALU_DEP_1)
	v_max_f32_e32 v1, v1, v2
	ds_bpermute_b32 v2, v3, v1
	v_cndmask_b32_e64 v3, v52, v75, s6
	s_waitcnt lgkmcnt(0)
	v_dual_max_f32 v2, v2, v2 :: v_dual_lshlrev_b32 v3, 2, v3
	s_delay_alu instid0(VALU_DEP_1) | instskip(SKIP_3) | instid1(VALU_DEP_1)
	v_max_f32_e32 v1, v1, v2
	ds_bpermute_b32 v2, v3, v1
	s_waitcnt lgkmcnt(0)
	v_max_f32_e32 v2, v2, v2
	v_max_f32_e32 v51, v1, v2
	s_delay_alu instid0(VALU_DEP_1) | instskip(NEXT) | instid1(VALU_DEP_1)
	v_sub_f32_e32 v0, v0, v51
	v_mul_f32_e32 v1, 0x3fb8aa3b, v0
	v_cmp_ngt_f32_e64 s6, 0xc2ce8ed0, v0
	s_delay_alu instid0(VALU_DEP_2) | instskip(SKIP_1) | instid1(VALU_DEP_1)
	v_fma_f32 v2, 0x3fb8aa3b, v0, -v1
	v_rndne_f32_e32 v3, v1
	v_dual_fmac_f32 v2, 0x32a5705f, v0 :: v_dual_sub_f32 v1, v1, v3
	s_delay_alu instid0(VALU_DEP_1) | instskip(SKIP_1) | instid1(VALU_DEP_2)
	v_add_f32_e32 v1, v1, v2
	v_cvt_i32_f32_e32 v2, v3
	v_exp_f32_e32 v1, v1
	s_waitcnt_depctr 0xfff
	v_ldexp_f32 v1, v1, v2
	s_delay_alu instid0(VALU_DEP_1) | instskip(SKIP_1) | instid1(VALU_DEP_1)
	v_cndmask_b32_e64 v1, 0, v1, s6
	v_cmp_nlt_f32_e64 s6, 0x42b17218, v0
	v_cndmask_b32_e64 v76, 0x7f800000, v1, s6
	s_mul_i32 s6, s16, s17
	s_delay_alu instid0(SALU_CYCLE_1) | instskip(NEXT) | instid1(VALU_DEP_1)
	s_lshl_b64 s[26:27], s[6:7], 2
	v_cvt_f16_f32_e32 v0, v76
	s_add_u32 s7, s20, s26
	s_addc_u32 s8, s9, s27
	ds_store_b16 v63, v0
	s_and_saveexec_b32 s21, s4
	s_cbranch_execz .LBB43_21
; %bb.20:                               ;   in Loop: Header=BB43_11 Depth=1
	v_add_co_u32 v0, s6, s7, v47
	s_delay_alu instid0(VALU_DEP_1) | instskip(NEXT) | instid1(VALU_DEP_2)
	v_add_co_ci_u32_e64 v1, s6, s8, v48, s6
	v_add_co_u32 v0, s6, v0, v79
	s_delay_alu instid0(VALU_DEP_1)
	v_add_co_ci_u32_e64 v1, s6, 0, v1, s6
	global_load_b128 v[0:3], v[0:1], off offset:128
	s_waitcnt vmcnt(0)
	ds_store_b128 v66, v[0:3]
.LBB43_21:                              ;   in Loop: Header=BB43_11 Depth=1
	s_or_b32 exec_lo, exec_lo, s21
	v_lshlrev_b32_e32 v80, 2, v64
	s_and_saveexec_b32 s21, s5
	s_cbranch_execz .LBB43_23
; %bb.22:                               ;   in Loop: Header=BB43_11 Depth=1
	v_add_co_u32 v0, s6, s7, v49
	s_delay_alu instid0(VALU_DEP_1) | instskip(NEXT) | instid1(VALU_DEP_2)
	v_add_co_ci_u32_e64 v1, s6, s8, v50, s6
	v_add_co_u32 v0, s6, v0, v80
	s_delay_alu instid0(VALU_DEP_1)
	v_add_co_ci_u32_e64 v1, s6, 0, v1, s6
	global_load_b128 v[0:3], v[0:1], off
	s_waitcnt vmcnt(0)
	ds_store_b128 v67, v[0:3]
.LBB43_23:                              ;   in Loop: Header=BB43_11 Depth=1
	s_or_b32 exec_lo, exec_lo, s21
	v_dual_sub_f32 v71, v71, v51 :: v_dual_add_nc_u32 v78, 0x400, v65
	v_add_nc_u32_e32 v77, 0x800, v65
	s_waitcnt lgkmcnt(0)
	s_barrier
	buffer_gl0_inv
	ds_load_2addr_b64 v[20:23], v65 offset1:20
	ds_load_b128 v[12:15], v61
	ds_load_b128 v[0:3], v61 offset:16
	ds_load_2addr_b64 v[28:31], v65 offset0:40 offset1:60
	ds_load_2addr_b64 v[24:27], v65 offset0:80 offset1:100
	;; [unrolled: 1-line block ×7, first 2 shown]
	s_or_b32 s8, s16, 16
	v_cmp_ngt_f32_e64 s6, 0xc2ce8ed0, v71
	s_mul_hi_i32 s27, s8, s17
	s_mul_i32 s26, s8, s17
	v_cmp_nlt_f32_e64 s7, 0x42b17218, v71
	s_lshl_b64 s[26:27], s[26:27], 2
	s_waitcnt lgkmcnt(0)
	s_add_u32 s21, s20, s26
	s_addc_u32 s23, s9, s27
	s_barrier
	buffer_gl0_inv
	s_and_saveexec_b32 s26, s4
	s_cbranch_execz .LBB43_25
; %bb.24:                               ;   in Loop: Header=BB43_11 Depth=1
	v_add_co_u32 v81, s8, s21, v47
	s_delay_alu instid0(VALU_DEP_1) | instskip(NEXT) | instid1(VALU_DEP_2)
	v_add_co_ci_u32_e64 v82, s8, s23, v48, s8
	v_add_co_u32 v81, s8, v81, v79
	s_delay_alu instid0(VALU_DEP_1)
	v_add_co_ci_u32_e64 v82, s8, 0, v82, s8
	global_load_b128 v[81:84], v[81:82], off offset:128
	s_waitcnt vmcnt(0)
	ds_store_b128 v66, v[81:84]
.LBB43_25:                              ;   in Loop: Header=BB43_11 Depth=1
	s_or_b32 exec_lo, exec_lo, s26
	s_and_saveexec_b32 s26, s5
	s_cbranch_execz .LBB43_27
; %bb.26:                               ;   in Loop: Header=BB43_11 Depth=1
	v_add_co_u32 v79, s8, s21, v49
	s_delay_alu instid0(VALU_DEP_1) | instskip(NEXT) | instid1(VALU_DEP_2)
	v_add_co_ci_u32_e64 v81, s8, s23, v50, s8
	v_add_co_u32 v79, s8, v79, v80
	s_delay_alu instid0(VALU_DEP_1)
	v_add_co_ci_u32_e64 v80, s8, 0, v81, s8
	global_load_b128 v[79:82], v[79:80], off
	s_waitcnt vmcnt(0)
	ds_store_b128 v67, v[79:82]
.LBB43_27:                              ;   in Loop: Header=BB43_11 Depth=1
	s_or_b32 exec_lo, exec_lo, s26
	v_mul_f32_e32 v79, 0x3fb8aa3b, v71
	v_pk_mul_f16 v20, v20, v12 op_sel_hi:[1,0]
	v_pk_mul_f16 v21, v21, v12 op_sel_hi:[1,0]
	s_waitcnt lgkmcnt(0)
	s_barrier
	v_fma_f32 v80, 0x3fb8aa3b, v71, -v79
	v_rndne_f32_e32 v81, v79
	buffer_gl0_inv
	v_dual_fmac_f32 v80, 0x32a5705f, v71 :: v_dual_sub_f32 v71, v79, v81
	v_cvt_i32_f32_e32 v79, v81
	s_delay_alu instid0(VALU_DEP_2) | instskip(NEXT) | instid1(VALU_DEP_1)
	v_add_f32_e32 v71, v71, v80
	v_exp_f32_e32 v71, v71
	s_waitcnt_depctr 0xfff
	v_ldexp_f32 v71, v71, v79
	s_delay_alu instid0(VALU_DEP_1) | instskip(NEXT) | instid1(VALU_DEP_1)
	v_cndmask_b32_e64 v71, 0, v71, s6
	v_cndmask_b32_e64 v71, 0x7f800000, v71, s7
	s_delay_alu instid0(VALU_DEP_1) | instskip(SKIP_1) | instid1(VALU_DEP_2)
	v_cvt_f16_f32_e32 v79, v71
	v_fmac_f32_e32 v76, v69, v71
	v_pk_fma_f16 v20, v54, v79, v20 op_sel_hi:[1,0,1]
	v_pk_fma_f16 v21, v56, v79, v21 op_sel_hi:[1,0,1]
	s_delay_alu instid0(VALU_DEP_2) | instskip(NEXT) | instid1(VALU_DEP_2)
	v_pk_fma_f16 v20, v22, v12, v20 op_sel:[0,1,0]
	v_pk_fma_f16 v12, v23, v12, v21 op_sel:[0,1,0]
	s_delay_alu instid0(VALU_DEP_2) | instskip(NEXT) | instid1(VALU_DEP_2)
	v_pk_fma_f16 v20, v28, v13, v20 op_sel_hi:[1,0,1]
	v_pk_fma_f16 v12, v29, v13, v12 op_sel_hi:[1,0,1]
	s_delay_alu instid0(VALU_DEP_2) | instskip(NEXT) | instid1(VALU_DEP_2)
	v_pk_fma_f16 v20, v30, v13, v20 op_sel:[0,1,0]
	v_pk_fma_f16 v12, v31, v13, v12 op_sel:[0,1,0]
	s_delay_alu instid0(VALU_DEP_2) | instskip(NEXT) | instid1(VALU_DEP_2)
	;; [unrolled: 6-line block ×5, first 2 shown]
	v_pk_fma_f16 v12, v16, v1, v13 op_sel_hi:[1,0,1]
	v_pk_fma_f16 v0, v17, v1, v0 op_sel_hi:[1,0,1]
	s_delay_alu instid0(VALU_DEP_2) | instskip(NEXT) | instid1(VALU_DEP_2)
	v_pk_fma_f16 v16, v18, v1, v12 op_sel:[0,1,0]
	v_pk_fma_f16 v0, v19, v1, v0 op_sel:[0,1,0]
	ds_load_2addr_b64 v[12:15], v65 offset1:20
	v_pk_fma_f16 v1, v8, v2, v16 op_sel_hi:[1,0,1]
	ds_load_b128 v[16:19], v61 offset:32
	v_pk_fma_f16 v0, v9, v2, v0 op_sel_hi:[1,0,1]
	v_pk_fma_f16 v1, v10, v2, v1 op_sel:[0,1,0]
	s_delay_alu instid0(VALU_DEP_2) | instskip(SKIP_3) | instid1(VALU_DEP_2)
	v_pk_fma_f16 v0, v11, v2, v0 op_sel:[0,1,0]
	ds_load_2addr_b64 v[8:11], v65 offset0:40 offset1:60
	v_pk_fma_f16 v1, v4, v3, v1 op_sel_hi:[1,0,1]
	v_pk_fma_f16 v0, v5, v3, v0 op_sel_hi:[1,0,1]
	v_pk_fma_f16 v20, v6, v3, v1 op_sel:[0,1,0]
	s_delay_alu instid0(VALU_DEP_2)
	v_pk_fma_f16 v21, v7, v3, v0 op_sel:[0,1,0]
	ds_load_b128 v[0:3], v61 offset:48
	ds_load_2addr_b64 v[4:7], v65 offset0:80 offset1:100
	s_waitcnt lgkmcnt(3)
	v_pk_fma_f16 v12, v12, v16, v20 op_sel_hi:[1,0,1]
	v_pk_fma_f16 v13, v13, v16, v21 op_sel_hi:[1,0,1]
	s_delay_alu instid0(VALU_DEP_2) | instskip(NEXT) | instid1(VALU_DEP_2)
	v_pk_fma_f16 v20, v14, v16, v12 op_sel:[0,1,0]
	v_pk_fma_f16 v16, v15, v16, v13 op_sel:[0,1,0]
	ds_load_2addr_b64 v[12:15], v65 offset0:120 offset1:140
	s_waitcnt lgkmcnt(3)
	v_pk_fma_f16 v8, v8, v17, v20 op_sel_hi:[1,0,1]
	v_pk_fma_f16 v9, v9, v17, v16 op_sel_hi:[1,0,1]
	s_delay_alu instid0(VALU_DEP_2) | instskip(NEXT) | instid1(VALU_DEP_2)
	v_pk_fma_f16 v16, v10, v17, v8 op_sel:[0,1,0]
	v_pk_fma_f16 v17, v11, v17, v9 op_sel:[0,1,0]
	;; [unrolled: 7-line block ×5, first 2 shown]
	ds_load_2addr_b64 v[8:11], v77 offset0:24 offset1:44
	s_waitcnt lgkmcnt(0)
	s_barrier
	v_pk_fma_f16 v4, v4, v1, v16 op_sel_hi:[1,0,1]
	v_pk_fma_f16 v0, v5, v1, v0 op_sel_hi:[1,0,1]
	buffer_gl0_inv
	s_load_b32 s6, s[12:13], 0x4
	v_pk_fma_f16 v4, v6, v1, v4 op_sel:[0,1,0]
	v_pk_fma_f16 v0, v7, v1, v0 op_sel:[0,1,0]
	s_delay_alu instid0(VALU_DEP_2) | instskip(NEXT) | instid1(VALU_DEP_2)
	v_pk_fma_f16 v1, v12, v2, v4 op_sel_hi:[1,0,1]
	v_pk_fma_f16 v0, v13, v2, v0 op_sel_hi:[1,0,1]
	s_delay_alu instid0(VALU_DEP_2) | instskip(NEXT) | instid1(VALU_DEP_2)
	v_pk_fma_f16 v1, v14, v2, v1 op_sel:[0,1,0]
	v_pk_fma_f16 v0, v15, v2, v0 op_sel:[0,1,0]
	s_delay_alu instid0(VALU_DEP_2) | instskip(NEXT) | instid1(VALU_DEP_2)
	v_pk_fma_f16 v1, v8, v3, v1 op_sel_hi:[1,0,1]
	v_pk_fma_f16 v0, v9, v3, v0 op_sel_hi:[1,0,1]
	s_waitcnt lgkmcnt(0)
	s_lshl_b32 s6, s6, 5
	s_delay_alu instid0(VALU_DEP_2) | instskip(NEXT) | instid1(VALU_DEP_2)
	v_pk_fma_f16 v54, v10, v3, v1 op_sel:[0,1,0]
	v_pk_fma_f16 v56, v11, v3, v0 op_sel:[0,1,0]
	s_add_i32 s16, s6, s16
	s_delay_alu instid0(SALU_CYCLE_1)
	s_cmp_lt_i32 s16, s34
	s_cbranch_scc0 .LBB43_29
; %bb.28:                               ;   in Loop: Header=BB43_11 Depth=1
	v_mov_b32_e32 v71, v51
	v_mov_b32_e32 v69, v76
	s_branch .LBB43_11
.LBB43_29:
	v_mov_b32_e32 v2, v52
.LBB43_30:
	v_cmp_lt_i32_e32 vcc_lo, v70, v55
	s_cmp_eq_u64 s[24:25], 0
	s_cselect_b32 s3, -1, 0
	s_cmp_lg_u32 s14, 0
	v_cndmask_b32_e32 v0, v2, v70, vcc_lo
	v_cmp_lt_i32_e32 vcc_lo, v72, v55
	s_cselect_b32 s4, -1, 0
	s_delay_alu instid0(SALU_CYCLE_1) | instskip(SKIP_2) | instid1(VALU_DEP_2)
	s_or_b32 s3, s4, s3
	v_cndmask_b32_e32 v1, v2, v72, vcc_lo
	v_cmp_lt_i32_e32 vcc_lo, v73, v55
	v_lshlrev_b32_e32 v1, 2, v1
	v_dual_cndmask_b32 v3, v2, v73 :: v_dual_lshlrev_b32 v0, 2, v0
	v_cmp_lt_i32_e32 vcc_lo, v74, v55
	ds_bpermute_b32 v0, v0, v76
	s_waitcnt lgkmcnt(0)
	v_dual_add_f32 v0, v76, v0 :: v_dual_lshlrev_b32 v3, 2, v3
	ds_bpermute_b32 v1, v1, v0
	s_waitcnt lgkmcnt(0)
	v_add_f32_e32 v0, v0, v1
	ds_bpermute_b32 v1, v3, v0
	v_cndmask_b32_e32 v3, v2, v74, vcc_lo
	v_cmp_lt_i32_e32 vcc_lo, v75, v55
	s_delay_alu instid0(VALU_DEP_2) | instskip(SKIP_2) | instid1(VALU_DEP_1)
	v_lshlrev_b32_e32 v3, 2, v3
	v_cndmask_b32_e32 v2, v2, v75, vcc_lo
	s_and_b32 vcc_lo, exec_lo, s3
	v_lshlrev_b32_e32 v2, 2, v2
	s_waitcnt lgkmcnt(0)
	v_add_f32_e32 v0, v0, v1
	ds_bpermute_b32 v1, v3, v0
	s_waitcnt lgkmcnt(0)
	v_add_f32_e32 v0, v0, v1
	ds_bpermute_b32 v1, v2, v0
	s_waitcnt lgkmcnt(0)
	v_add_f32_e32 v52, v0, v1
	s_cbranch_vccnz .LBB43_32
; %bb.31:
	v_add_nc_u32_e32 v0, s15, v53
	s_delay_alu instid0(VALU_DEP_1) | instskip(NEXT) | instid1(VALU_DEP_1)
	v_ashrrev_i32_e32 v1, 31, v0
	v_lshlrev_b64 v[0:1], 2, v[0:1]
	s_delay_alu instid0(VALU_DEP_1) | instskip(NEXT) | instid1(VALU_DEP_2)
	v_add_co_u32 v0, vcc_lo, s24, v0
	v_add_co_ci_u32_e32 v1, vcc_lo, s25, v1, vcc_lo
	global_load_b32 v0, v[0:1], off
	s_waitcnt vmcnt(0)
	v_dual_max_f32 v1, v51, v51 :: v_dual_max_f32 v2, v0, v0
	s_delay_alu instid0(VALU_DEP_1) | instskip(NEXT) | instid1(VALU_DEP_1)
	v_max_f32_e32 v1, v1, v2
	v_sub_f32_e32 v0, v0, v1
	s_delay_alu instid0(VALU_DEP_1) | instskip(NEXT) | instid1(VALU_DEP_1)
	v_mul_f32_e32 v4, 0x3fb8aa3b, v0
	v_fma_f32 v7, 0x3fb8aa3b, v0, -v4
	v_sub_f32_e32 v2, v51, v1
	v_rndne_f32_e32 v8, v4
	v_mov_b32_e32 v51, v1
	s_delay_alu instid0(VALU_DEP_4) | instskip(NEXT) | instid1(VALU_DEP_3)
	v_fmac_f32_e32 v7, 0x32a5705f, v0
	v_dual_mul_f32 v3, 0x3fb8aa3b, v2 :: v_dual_sub_f32 v4, v4, v8
	v_cmp_ngt_f32_e32 vcc_lo, 0xc2ce8ed0, v2
	s_delay_alu instid0(VALU_DEP_2) | instskip(SKIP_1) | instid1(VALU_DEP_2)
	v_fma_f32 v5, 0x3fb8aa3b, v2, -v3
	v_rndne_f32_e32 v6, v3
	v_dual_add_f32 v4, v4, v7 :: v_dual_fmac_f32 v5, 0x32a5705f, v2
	s_delay_alu instid0(VALU_DEP_2) | instskip(NEXT) | instid1(VALU_DEP_2)
	v_sub_f32_e32 v3, v3, v6
	v_exp_f32_e32 v4, v4
	s_delay_alu instid0(VALU_DEP_1) | instskip(SKIP_2) | instid1(VALU_DEP_3)
	v_add_f32_e32 v3, v3, v5
	v_cvt_i32_f32_e32 v5, v6
	v_cvt_i32_f32_e32 v6, v8
	v_exp_f32_e32 v3, v3
	s_waitcnt_depctr 0xfff
	v_ldexp_f32 v4, v4, v6
	v_ldexp_f32 v3, v3, v5
	s_delay_alu instid0(VALU_DEP_1) | instskip(SKIP_1) | instid1(VALU_DEP_4)
	v_cndmask_b32_e32 v3, 0, v3, vcc_lo
	v_cmp_ngt_f32_e32 vcc_lo, 0xc2ce8ed0, v0
	v_cndmask_b32_e32 v4, 0, v4, vcc_lo
	v_cmp_nlt_f32_e32 vcc_lo, 0x42b17218, v2
	s_delay_alu instid0(VALU_DEP_4) | instskip(SKIP_1) | instid1(VALU_DEP_2)
	v_cndmask_b32_e32 v2, 0x7f800000, v3, vcc_lo
	v_cmp_nlt_f32_e32 vcc_lo, 0x42b17218, v0
	v_cvt_f16_f32_e32 v3, v2
	v_cndmask_b32_e32 v0, 0x7f800000, v4, vcc_lo
	s_delay_alu instid0(VALU_DEP_2) | instskip(NEXT) | instid1(VALU_DEP_2)
	v_pk_mul_f16 v54, v3, v54 op_sel_hi:[0,1]
	v_fmac_f32_e32 v0, v52, v2
	v_pk_mul_f16 v56, v3, v56 op_sel_hi:[0,1]
	s_delay_alu instid0(VALU_DEP_2)
	v_mov_b32_e32 v52, v0
.LBB43_32:
	s_mov_b32 s3, exec_lo
	v_cmpx_gt_i32_e64 s10, v41
	s_cbranch_execz .LBB43_37
; %bb.33:
	v_mad_u64_u32 v[0:1], null, s33, s10, v[41:42]
	s_load_b32 s0, s[0:1], 0xd4
	s_delay_alu instid0(VALU_DEP_1) | instskip(NEXT) | instid1(VALU_DEP_1)
	v_mul_lo_u32 v0, v0, s11
	v_add3_u32 v2, s15, v53, v0
	s_waitcnt lgkmcnt(0)
	s_cmp_lg_u32 s0, 1
	s_delay_alu instid0(VALU_DEP_1)
	v_mad_u64_u32 v[0:1], null, s0, v2, s[14:15]
	s_cselect_b32 s0, -1, 0
	s_and_saveexec_b32 s1, s2
	s_cbranch_execz .LBB43_35
; %bb.34:
	v_div_scale_f32 v1, null, v52, v52, 1.0
	v_div_scale_f32 v4, vcc_lo, 1.0, v52, 1.0
	v_lshrrev_b32_e32 v6, 16, v54
	s_delay_alu instid0(VALU_DEP_3) | instskip(SKIP_1) | instid1(VALU_DEP_2)
	v_rcp_f32_e32 v2, v1
	v_cvt_f32_f16_e32 v9, v54
	v_cvt_f32_f16_e32 v8, v6
	s_waitcnt_depctr 0xfff
	v_fma_f32 v3, -v1, v2, 1.0
	s_delay_alu instid0(VALU_DEP_1) | instskip(NEXT) | instid1(VALU_DEP_1)
	v_fmac_f32_e32 v2, v3, v2
	v_mul_f32_e32 v3, v4, v2
	s_delay_alu instid0(VALU_DEP_1) | instskip(NEXT) | instid1(VALU_DEP_1)
	v_fma_f32 v5, -v1, v3, v4
	v_fmac_f32_e32 v3, v5, v2
	s_delay_alu instid0(VALU_DEP_1) | instskip(SKIP_1) | instid1(VALU_DEP_2)
	v_fma_f32 v1, -v1, v3, v4
	v_lshrrev_b32_e32 v4, 16, v56
	v_div_fmas_f32 v1, v1, v2, v3
	v_mul_lo_u32 v3, 0x50, v0
	v_mov_b32_e32 v2, 0
	s_delay_alu instid0(VALU_DEP_4) | instskip(NEXT) | instid1(VALU_DEP_4)
	v_cvt_f32_f16_e32 v4, v4
	v_div_fixup_f32 v5, v1, v52, 1.0
	s_delay_alu instid0(VALU_DEP_4) | instskip(NEXT) | instid1(VALU_DEP_2)
	v_lshl_add_u32 v1, v40, 2, v3
	v_cndmask_b32_e64 v7, v5, 1.0, s0
	v_cvt_f32_f16_e32 v3, v56
	s_delay_alu instid0(VALU_DEP_3) | instskip(NEXT) | instid1(VALU_DEP_3)
	v_lshlrev_b64 v[5:6], 2, v[1:2]
	v_mul_f32_e32 v4, v7, v4
	s_delay_alu instid0(VALU_DEP_3)
	v_mul_f32_e32 v3, v7, v3
	v_mul_f32_e32 v2, v7, v8
	;; [unrolled: 1-line block ×3, first 2 shown]
	v_add_co_u32 v5, vcc_lo, s28, v5
	v_add_co_ci_u32_e32 v6, vcc_lo, s29, v6, vcc_lo
	global_store_b128 v[5:6], v[1:4], off
.LBB43_35:
	s_or_b32 exec_lo, exec_lo, s1
	v_cmp_eq_u32_e32 vcc_lo, 0, v40
	s_and_b32 s0, vcc_lo, s0
	s_delay_alu instid0(SALU_CYCLE_1)
	s_and_b32 exec_lo, exec_lo, s0
	s_cbranch_execz .LBB43_37
; %bb.36:
	v_ashrrev_i32_e32 v1, 31, v0
	s_delay_alu instid0(VALU_DEP_1) | instskip(NEXT) | instid1(VALU_DEP_1)
	v_lshlrev_b64 v[0:1], 3, v[0:1]
	v_add_co_u32 v0, vcc_lo, s30, v0
	s_delay_alu instid0(VALU_DEP_2)
	v_add_co_ci_u32_e32 v1, vcc_lo, s31, v1, vcc_lo
	global_store_b64 v[0:1], v[51:52], off
.LBB43_37:
	s_nop 0
	s_sendmsg sendmsg(MSG_DEALLOC_VGPRS)
	s_endpgm
	.section	.rodata,"a",@progbits
	.p2align	6, 0x0
	.amdhsa_kernel _ZL15flash_attn_tileILi80ELi80ELi4ELi2ELb0EEvPKcS1_S1_S1_S1_PKiPfP15HIP_vector_typeIfLj2EEffffjfiS5_IjLj3EEiiiiiiiiiiiliiliiiiil
		.amdhsa_group_segment_fixed_size 5056
		.amdhsa_private_segment_fixed_size 0
		.amdhsa_kernarg_size 464
		.amdhsa_user_sgpr_count 13
		.amdhsa_user_sgpr_dispatch_ptr 0
		.amdhsa_user_sgpr_queue_ptr 0
		.amdhsa_user_sgpr_kernarg_segment_ptr 1
		.amdhsa_user_sgpr_dispatch_id 0
		.amdhsa_user_sgpr_private_segment_size 0
		.amdhsa_wavefront_size32 1
		.amdhsa_uses_dynamic_stack 0
		.amdhsa_enable_private_segment 0
		.amdhsa_system_sgpr_workgroup_id_x 1
		.amdhsa_system_sgpr_workgroup_id_y 1
		.amdhsa_system_sgpr_workgroup_id_z 1
		.amdhsa_system_sgpr_workgroup_info 0
		.amdhsa_system_vgpr_workitem_id 1
		.amdhsa_next_free_vgpr 85
		.amdhsa_next_free_sgpr 44
		.amdhsa_reserve_vcc 1
		.amdhsa_float_round_mode_32 0
		.amdhsa_float_round_mode_16_64 0
		.amdhsa_float_denorm_mode_32 3
		.amdhsa_float_denorm_mode_16_64 3
		.amdhsa_dx10_clamp 1
		.amdhsa_ieee_mode 1
		.amdhsa_fp16_overflow 0
		.amdhsa_workgroup_processor_mode 1
		.amdhsa_memory_ordered 1
		.amdhsa_forward_progress 0
		.amdhsa_shared_vgpr_count 0
		.amdhsa_exception_fp_ieee_invalid_op 0
		.amdhsa_exception_fp_denorm_src 0
		.amdhsa_exception_fp_ieee_div_zero 0
		.amdhsa_exception_fp_ieee_overflow 0
		.amdhsa_exception_fp_ieee_underflow 0
		.amdhsa_exception_fp_ieee_inexact 0
		.amdhsa_exception_int_div_zero 0
	.end_amdhsa_kernel
	.section	.text._ZL15flash_attn_tileILi80ELi80ELi4ELi2ELb0EEvPKcS1_S1_S1_S1_PKiPfP15HIP_vector_typeIfLj2EEffffjfiS5_IjLj3EEiiiiiiiiiiiliiliiiiil,"axG",@progbits,_ZL15flash_attn_tileILi80ELi80ELi4ELi2ELb0EEvPKcS1_S1_S1_S1_PKiPfP15HIP_vector_typeIfLj2EEffffjfiS5_IjLj3EEiiiiiiiiiiiliiliiiiil,comdat
.Lfunc_end43:
	.size	_ZL15flash_attn_tileILi80ELi80ELi4ELi2ELb0EEvPKcS1_S1_S1_S1_PKiPfP15HIP_vector_typeIfLj2EEffffjfiS5_IjLj3EEiiiiiiiiiiiliiliiiiil, .Lfunc_end43-_ZL15flash_attn_tileILi80ELi80ELi4ELi2ELb0EEvPKcS1_S1_S1_S1_PKiPfP15HIP_vector_typeIfLj2EEffffjfiS5_IjLj3EEiiiiiiiiiiiliiliiiiil
                                        ; -- End function
	.section	.AMDGPU.csdata,"",@progbits
; Kernel info:
; codeLenInByte = 5716
; NumSgprs: 46
; NumVgprs: 85
; ScratchSize: 0
; MemoryBound: 0
; FloatMode: 240
; IeeeMode: 1
; LDSByteSize: 5056 bytes/workgroup (compile time only)
; SGPRBlocks: 5
; VGPRBlocks: 10
; NumSGPRsForWavesPerEU: 46
; NumVGPRsForWavesPerEU: 85
; Occupancy: 16
; WaveLimiterHint : 1
; COMPUTE_PGM_RSRC2:SCRATCH_EN: 0
; COMPUTE_PGM_RSRC2:USER_SGPR: 13
; COMPUTE_PGM_RSRC2:TRAP_HANDLER: 0
; COMPUTE_PGM_RSRC2:TGID_X_EN: 1
; COMPUTE_PGM_RSRC2:TGID_Y_EN: 1
; COMPUTE_PGM_RSRC2:TGID_Z_EN: 1
; COMPUTE_PGM_RSRC2:TIDIG_COMP_CNT: 1
	.section	.text._ZL33flash_attn_stream_k_fixup_uniformILi80ELi4ELi2EEvPfPK15HIP_vector_typeIfLj2EEiiiiiiS1_IjLj3EES5_S5_,"axG",@progbits,_ZL33flash_attn_stream_k_fixup_uniformILi80ELi4ELi2EEvPfPK15HIP_vector_typeIfLj2EEiiiiiiS1_IjLj3EES5_S5_,comdat
	.globl	_ZL33flash_attn_stream_k_fixup_uniformILi80ELi4ELi2EEvPfPK15HIP_vector_typeIfLj2EEiiiiiiS1_IjLj3EES5_S5_ ; -- Begin function _ZL33flash_attn_stream_k_fixup_uniformILi80ELi4ELi2EEvPfPK15HIP_vector_typeIfLj2EEiiiiiiS1_IjLj3EES5_S5_
	.p2align	8
	.type	_ZL33flash_attn_stream_k_fixup_uniformILi80ELi4ELi2EEvPfPK15HIP_vector_typeIfLj2EEiiiiiiS1_IjLj3EES5_S5_,@function
_ZL33flash_attn_stream_k_fixup_uniformILi80ELi4ELi2EEvPfPK15HIP_vector_typeIfLj2EEiiiiiiS1_IjLj3EES5_S5_: ; @_ZL33flash_attn_stream_k_fixup_uniformILi80ELi4ELi2EEvPfPK15HIP_vector_typeIfLj2EEiiiiiiS1_IjLj3EES5_S5_
; %bb.0:
	s_clause 0x1
	s_load_b256 s[4:11], s[0:1], 0x1c
	s_load_b128 s[16:19], s[0:1], 0x3c
	s_waitcnt lgkmcnt(0)
	s_mul_hi_u32 s2, s7, s13
	s_delay_alu instid0(SALU_CYCLE_1) | instskip(NEXT) | instid1(SALU_CYCLE_1)
	s_add_i32 s2, s13, s2
	s_lshr_b32 s2, s2, s8
	s_delay_alu instid0(SALU_CYCLE_1) | instskip(SKIP_2) | instid1(SALU_CYCLE_1)
	s_mul_i32 s3, s2, s9
	s_load_b64 s[8:9], s[0:1], 0x10
	s_sub_i32 s3, s13, s3
	s_mul_hi_u32 s7, s3, s10
	s_delay_alu instid0(SALU_CYCLE_1) | instskip(NEXT) | instid1(SALU_CYCLE_1)
	s_add_i32 s7, s3, s7
	s_lshr_b32 s7, s7, s11
	s_delay_alu instid0(SALU_CYCLE_1) | instskip(NEXT) | instid1(SALU_CYCLE_1)
	s_mul_i32 s10, s7, s16
	s_sub_i32 s3, s3, s10
	s_delay_alu instid0(SALU_CYCLE_1) | instskip(NEXT) | instid1(SALU_CYCLE_1)
	s_mul_hi_u32 s10, s3, s17
	s_add_i32 s10, s3, s10
	s_delay_alu instid0(SALU_CYCLE_1) | instskip(NEXT) | instid1(SALU_CYCLE_1)
	s_lshr_b32 s11, s10, s18
	s_mul_i32 s10, s11, s19
	s_lshl_b32 s11, s11, 1
	s_sub_i32 s10, s3, s10
	s_delay_alu instid0(SALU_CYCLE_1) | instskip(NEXT) | instid1(SALU_CYCLE_1)
	s_lshl_b32 s3, s10, 2
	s_add_i32 s3, s3, s14
	s_waitcnt lgkmcnt(0)
	s_cmp_lt_i32 s3, s8
	s_cselect_b32 s3, -1, 0
	s_add_i32 s11, s11, s15
	s_delay_alu instid0(SALU_CYCLE_1) | instskip(SKIP_1) | instid1(SALU_CYCLE_1)
	s_cmp_lt_i32 s11, s5
	s_cselect_b32 s12, -1, 0
	s_and_b32 s3, s3, s12
	s_delay_alu instid0(SALU_CYCLE_1)
	s_and_not1_b32 vcc_lo, exec_lo, s3
	s_cbranch_vccnz .LBB44_6
; %bb.1:
	s_mul_i32 s8, s2, s8
	s_mul_i32 s7, s7, s5
	s_add_i32 s8, s8, s14
	s_add_i32 s5, s11, s7
	s_mul_i32 s8, s8, s9
	s_load_b128 s[0:3], s[0:1], 0x0
	s_mul_i32 s7, s9, s10
	s_add_i32 s5, s5, s8
	s_mulk_i32 s7, 0x140
	s_mulk_i32 s5, 0x50
	s_lshl_b32 s9, s14, 1
	v_add3_u32 v1, s5, s7, v0
	s_mul_i32 s5, s13, s6
	s_delay_alu instid0(SALU_CYCLE_1) | instskip(NEXT) | instid1(VALU_DEP_1)
	s_add_i32 s10, s5, s6
	v_ashrrev_i32_e32 v2, 31, v1
	s_delay_alu instid0(VALU_DEP_1) | instskip(SKIP_1) | instid1(VALU_DEP_1)
	v_lshlrev_b64 v[1:2], 2, v[1:2]
	s_waitcnt lgkmcnt(0)
	v_add_co_u32 v1, vcc_lo, s0, v1
	s_delay_alu instid0(VALU_DEP_2) | instskip(SKIP_4) | instid1(SALU_CYCLE_1)
	v_add_co_ci_u32_e32 v2, vcc_lo, s1, v2, vcc_lo
	s_add_i32 s0, s9, s15
	s_lshl_b32 s1, s10, 3
	global_load_b32 v5, v[1:2], off
	s_add_i32 s0, s0, s1
	s_add_i32 s0, s0, -8
	s_delay_alu instid0(SALU_CYCLE_1) | instskip(NEXT) | instid1(SALU_CYCLE_1)
	s_ashr_i32 s1, s0, 31
	s_lshl_b64 s[0:1], s[0:1], 3
	s_delay_alu instid0(SALU_CYCLE_1)
	s_add_u32 s0, s2, s0
	s_addc_u32 s1, s3, s1
	s_add_i32 s7, s10, -2
	s_load_b32 s11, s[0:1], 0x4
	s_cmp_lt_i32 s7, s5
	s_cbranch_scc1 .LBB44_4
; %bb.2:
	s_load_b32 s12, s[0:1], 0x0
	s_lshl_b32 s16, s4, 5
	s_mulk_i32 s14, 0xa0
	s_ashr_i32 s17, s16, 31
	s_waitcnt lgkmcnt(0)
	v_mov_b32_e32 v6, s11
	s_lshl_b64 s[0:1], s[16:17], 2
	s_delay_alu instid0(SALU_CYCLE_1)
	s_add_u32 s7, s2, s0
	s_addc_u32 s8, s3, s1
	s_add_i32 s13, s13, 1
	s_lshl_b32 s4, s4, 3
	s_mul_i32 s0, s6, s13
	s_mul_i32 s6, s15, 0x50
	s_lshl_b32 s1, s0, 3
	s_mulk_i32 s0, 0x280
	s_add_i32 s6, s6, s14
	s_add_i32 s1, s15, s1
	;; [unrolled: 1-line block ×4, first 2 shown]
	v_add3_u32 v3, s6, v0, 0xfffffb00
	v_mov_b32_e32 v0, s12
	s_add_i32 s0, s0, s9
	s_add_i32 s4, s10, -1
	s_add_i32 s0, s0, -16
.LBB44_3:                               ; =>This Inner Loop Header: Depth=1
	s_delay_alu instid0(VALU_DEP_2) | instskip(SKIP_1) | instid1(SALU_CYCLE_1)
	v_ashrrev_i32_e32 v4, 31, v3
	s_ashr_i32 s1, s0, 31
	s_lshl_b64 s[10:11], s[0:1], 3
	s_delay_alu instid0(SALU_CYCLE_1) | instskip(NEXT) | instid1(VALU_DEP_1)
	s_add_u32 s10, s2, s10
	v_lshlrev_b64 v[7:8], 2, v[3:4]
	s_addc_u32 s11, s3, s11
	s_add_i32 s4, s4, -1
	s_add_i32 s0, s0, -8
	s_cmp_le_i32 s4, s5
	s_load_b64 s[10:11], s[10:11], 0x0
	v_add_co_u32 v7, vcc_lo, s7, v7
	v_add_co_ci_u32_e32 v8, vcc_lo, s8, v8, vcc_lo
	global_load_b32 v4, v[7:8], off
	v_max_f32_e32 v7, v0, v0
	s_waitcnt lgkmcnt(0)
	v_max_f32_e64 v8, s10, s10
	s_delay_alu instid0(VALU_DEP_1) | instskip(NEXT) | instid1(VALU_DEP_1)
	v_max_f32_e32 v7, v7, v8
	v_sub_f32_e32 v8, s10, v7
	s_delay_alu instid0(VALU_DEP_1) | instskip(NEXT) | instid1(VALU_DEP_1)
	v_dual_sub_f32 v0, v0, v7 :: v_dual_mul_f32 v9, 0x3fb8aa3b, v8
	v_fma_f32 v10, 0x3fb8aa3b, v8, -v9
	v_rndne_f32_e32 v11, v9
	s_delay_alu instid0(VALU_DEP_3) | instskip(NEXT) | instid1(VALU_DEP_2)
	v_mul_f32_e32 v12, 0x3fb8aa3b, v0
	v_dual_fmac_f32 v10, 0x32a5705f, v8 :: v_dual_sub_f32 v9, v9, v11
	v_cvt_i32_f32_e32 v11, v11
	s_delay_alu instid0(VALU_DEP_3) | instskip(SKIP_1) | instid1(VALU_DEP_4)
	v_fma_f32 v13, 0x3fb8aa3b, v0, -v12
	v_rndne_f32_e32 v14, v12
	v_add_f32_e32 v9, v9, v10
	v_cmp_ngt_f32_e32 vcc_lo, 0xc2ce8ed0, v8
	s_delay_alu instid0(VALU_DEP_3) | instskip(NEXT) | instid1(VALU_DEP_3)
	v_sub_f32_e32 v10, v12, v14
	v_exp_f32_e32 v9, v9
	s_waitcnt_depctr 0xfff
	v_ldexp_f32 v9, v9, v11
	v_cvt_i32_f32_e32 v11, v14
	s_delay_alu instid0(VALU_DEP_2) | instskip(SKIP_1) | instid1(VALU_DEP_2)
	v_cndmask_b32_e32 v9, 0, v9, vcc_lo
	v_cmp_nlt_f32_e32 vcc_lo, 0x42b17218, v8
	v_cndmask_b32_e32 v9, 0x7f800000, v9, vcc_lo
	v_cmp_ngt_f32_e32 vcc_lo, 0xc2ce8ed0, v0
	v_fmac_f32_e32 v13, 0x32a5705f, v0
	s_delay_alu instid0(VALU_DEP_1) | instskip(NEXT) | instid1(VALU_DEP_1)
	v_add_f32_e32 v10, v10, v13
	v_exp_f32_e32 v10, v10
	s_waitcnt_depctr 0xfff
	v_ldexp_f32 v10, v10, v11
	s_delay_alu instid0(VALU_DEP_1)
	v_dual_mov_b32 v11, v6 :: v_dual_cndmask_b32 v10, 0, v10
	v_cmp_le_f32_e32 vcc_lo, 0xc1a00000, v8
	s_waitcnt vmcnt(1)
	v_dual_cndmask_b32 v8, 0, v9 :: v_dual_mov_b32 v9, v5
	v_cmp_nlt_f32_e32 vcc_lo, 0x42b17218, v0
	v_cndmask_b32_e32 v5, 0x7f800000, v10, vcc_lo
	s_delay_alu instid0(VALU_DEP_3) | instskip(SKIP_2) | instid1(VALU_DEP_3)
	v_mul_f32_e32 v10, s11, v8
	v_cmp_le_f32_e32 vcc_lo, 0xc1a00000, v0
	v_mov_b32_e32 v0, v7
	v_mov_b32_e32 v6, v10
	s_waitcnt vmcnt(0)
	v_dual_cndmask_b32 v12, 0, v5 :: v_dual_mul_f32 v5, v4, v8
	s_delay_alu instid0(VALU_DEP_1) | instskip(NEXT) | instid1(VALU_DEP_2)
	v_dual_fmac_f32 v6, v11, v12 :: v_dual_add_nc_u32 v3, 0xfffffd80, v3
	v_fmac_f32_e32 v5, v9, v12
	s_cbranch_scc0 .LBB44_3
	s_branch .LBB44_5
.LBB44_4:
	s_waitcnt lgkmcnt(0)
	v_mov_b32_e32 v6, s11
.LBB44_5:
	s_waitcnt vmcnt(0)
	s_delay_alu instid0(VALU_DEP_1) | instskip(NEXT) | instid1(VALU_DEP_1)
	v_div_scale_f32 v0, null, v6, v6, v5
	v_rcp_f32_e32 v3, v0
	s_waitcnt_depctr 0xfff
	v_fma_f32 v4, -v0, v3, 1.0
	s_delay_alu instid0(VALU_DEP_1) | instskip(SKIP_1) | instid1(VALU_DEP_1)
	v_fmac_f32_e32 v3, v4, v3
	v_div_scale_f32 v4, vcc_lo, v5, v6, v5
	v_mul_f32_e32 v7, v4, v3
	s_delay_alu instid0(VALU_DEP_1) | instskip(NEXT) | instid1(VALU_DEP_1)
	v_fma_f32 v8, -v0, v7, v4
	v_fmac_f32_e32 v7, v8, v3
	s_delay_alu instid0(VALU_DEP_1) | instskip(NEXT) | instid1(VALU_DEP_1)
	v_fma_f32 v0, -v0, v7, v4
	v_div_fmas_f32 v0, v0, v3, v7
	s_delay_alu instid0(VALU_DEP_1)
	v_div_fixup_f32 v0, v0, v6, v5
	global_store_b32 v[1:2], v0, off
.LBB44_6:
	s_nop 0
	s_sendmsg sendmsg(MSG_DEALLOC_VGPRS)
	s_endpgm
	.section	.rodata,"a",@progbits
	.p2align	6, 0x0
	.amdhsa_kernel _ZL33flash_attn_stream_k_fixup_uniformILi80ELi4ELi2EEvPfPK15HIP_vector_typeIfLj2EEiiiiiiS1_IjLj3EES5_S5_
		.amdhsa_group_segment_fixed_size 0
		.amdhsa_private_segment_fixed_size 0
		.amdhsa_kernarg_size 76
		.amdhsa_user_sgpr_count 13
		.amdhsa_user_sgpr_dispatch_ptr 0
		.amdhsa_user_sgpr_queue_ptr 0
		.amdhsa_user_sgpr_kernarg_segment_ptr 1
		.amdhsa_user_sgpr_dispatch_id 0
		.amdhsa_user_sgpr_private_segment_size 0
		.amdhsa_wavefront_size32 1
		.amdhsa_uses_dynamic_stack 0
		.amdhsa_enable_private_segment 0
		.amdhsa_system_sgpr_workgroup_id_x 1
		.amdhsa_system_sgpr_workgroup_id_y 1
		.amdhsa_system_sgpr_workgroup_id_z 1
		.amdhsa_system_sgpr_workgroup_info 0
		.amdhsa_system_vgpr_workitem_id 0
		.amdhsa_next_free_vgpr 15
		.amdhsa_next_free_sgpr 20
		.amdhsa_reserve_vcc 1
		.amdhsa_float_round_mode_32 0
		.amdhsa_float_round_mode_16_64 0
		.amdhsa_float_denorm_mode_32 3
		.amdhsa_float_denorm_mode_16_64 3
		.amdhsa_dx10_clamp 1
		.amdhsa_ieee_mode 1
		.amdhsa_fp16_overflow 0
		.amdhsa_workgroup_processor_mode 1
		.amdhsa_memory_ordered 1
		.amdhsa_forward_progress 0
		.amdhsa_shared_vgpr_count 0
		.amdhsa_exception_fp_ieee_invalid_op 0
		.amdhsa_exception_fp_denorm_src 0
		.amdhsa_exception_fp_ieee_div_zero 0
		.amdhsa_exception_fp_ieee_overflow 0
		.amdhsa_exception_fp_ieee_underflow 0
		.amdhsa_exception_fp_ieee_inexact 0
		.amdhsa_exception_int_div_zero 0
	.end_amdhsa_kernel
	.section	.text._ZL33flash_attn_stream_k_fixup_uniformILi80ELi4ELi2EEvPfPK15HIP_vector_typeIfLj2EEiiiiiiS1_IjLj3EES5_S5_,"axG",@progbits,_ZL33flash_attn_stream_k_fixup_uniformILi80ELi4ELi2EEvPfPK15HIP_vector_typeIfLj2EEiiiiiiS1_IjLj3EES5_S5_,comdat
.Lfunc_end44:
	.size	_ZL33flash_attn_stream_k_fixup_uniformILi80ELi4ELi2EEvPfPK15HIP_vector_typeIfLj2EEiiiiiiS1_IjLj3EES5_S5_, .Lfunc_end44-_ZL33flash_attn_stream_k_fixup_uniformILi80ELi4ELi2EEvPfPK15HIP_vector_typeIfLj2EEiiiiiiS1_IjLj3EES5_S5_
                                        ; -- End function
	.section	.AMDGPU.csdata,"",@progbits
; Kernel info:
; codeLenInByte = 992
; NumSgprs: 22
; NumVgprs: 15
; ScratchSize: 0
; MemoryBound: 0
; FloatMode: 240
; IeeeMode: 1
; LDSByteSize: 0 bytes/workgroup (compile time only)
; SGPRBlocks: 2
; VGPRBlocks: 1
; NumSGPRsForWavesPerEU: 22
; NumVGPRsForWavesPerEU: 15
; Occupancy: 16
; WaveLimiterHint : 0
; COMPUTE_PGM_RSRC2:SCRATCH_EN: 0
; COMPUTE_PGM_RSRC2:USER_SGPR: 13
; COMPUTE_PGM_RSRC2:TRAP_HANDLER: 0
; COMPUTE_PGM_RSRC2:TGID_X_EN: 1
; COMPUTE_PGM_RSRC2:TGID_Y_EN: 1
; COMPUTE_PGM_RSRC2:TGID_Z_EN: 1
; COMPUTE_PGM_RSRC2:TIDIG_COMP_CNT: 0
	.section	.text._ZL33flash_attn_stream_k_fixup_generalILi80ELi4ELi2EEvPfPK15HIP_vector_typeIfLj2EEiiiiS1_IjLj3EES5_S5_S5_,"axG",@progbits,_ZL33flash_attn_stream_k_fixup_generalILi80ELi4ELi2EEvPfPK15HIP_vector_typeIfLj2EEiiiiS1_IjLj3EES5_S5_S5_,comdat
	.globl	_ZL33flash_attn_stream_k_fixup_generalILi80ELi4ELi2EEvPfPK15HIP_vector_typeIfLj2EEiiiiS1_IjLj3EES5_S5_S5_ ; -- Begin function _ZL33flash_attn_stream_k_fixup_generalILi80ELi4ELi2EEvPfPK15HIP_vector_typeIfLj2EEiiiiS1_IjLj3EES5_S5_S5_
	.p2align	8
	.type	_ZL33flash_attn_stream_k_fixup_generalILi80ELi4ELi2EEvPfPK15HIP_vector_typeIfLj2EEiiiiS1_IjLj3EES5_S5_S5_,@function
_ZL33flash_attn_stream_k_fixup_generalILi80ELi4ELi2EEvPfPK15HIP_vector_typeIfLj2EEiiiiS1_IjLj3EES5_S5_S5_: ; @_ZL33flash_attn_stream_k_fixup_generalILi80ELi4ELi2EEvPfPK15HIP_vector_typeIfLj2EEiiiiS1_IjLj3EES5_S5_S5_
; %bb.0:
	s_clause 0x1
	s_load_b128 s[4:7], s[0:1], 0x10
	s_load_b32 s20, s[0:1], 0x50
	s_mov_b32 s2, 0
	s_waitcnt lgkmcnt(0)
	s_mul_hi_i32 s3, s7, s13
	s_mul_i32 s12, s7, s13
	s_cmp_lg_u64 s[2:3], 0
	s_cbranch_scc0 .LBB45_21
; %bb.1:
	v_cvt_f32_ubyte0_e32 v1, 0
	v_cvt_f32_u32_e32 v2, s20
	s_sub_u32 s10, 0, s20
	s_subb_u32 s11, 0, 0
	s_delay_alu instid0(VALU_DEP_1) | instskip(NEXT) | instid1(VALU_DEP_1)
	v_fmamk_f32 v1, v1, 0x4f800000, v2
	v_rcp_f32_e32 v1, v1
	s_waitcnt_depctr 0xfff
	v_mul_f32_e32 v1, 0x5f7ffffc, v1
	s_delay_alu instid0(VALU_DEP_1) | instskip(NEXT) | instid1(VALU_DEP_1)
	v_mul_f32_e32 v2, 0x2f800000, v1
	v_trunc_f32_e32 v2, v2
	s_delay_alu instid0(VALU_DEP_1) | instskip(SKIP_1) | instid1(VALU_DEP_2)
	v_fmamk_f32 v1, v2, 0xcf800000, v1
	v_cvt_u32_f32_e32 v2, v2
	v_cvt_u32_f32_e32 v1, v1
	s_delay_alu instid0(VALU_DEP_2) | instskip(NEXT) | instid1(VALU_DEP_2)
	v_readfirstlane_b32 s8, v2
	v_readfirstlane_b32 s9, v1
	s_delay_alu instid0(VALU_DEP_2) | instskip(NEXT) | instid1(VALU_DEP_1)
	s_mul_i32 s16, s10, s8
	s_mul_hi_u32 s18, s10, s9
	s_mul_i32 s17, s11, s9
	s_add_i32 s16, s18, s16
	s_mul_i32 s19, s10, s9
	s_add_i32 s16, s16, s17
	s_mul_hi_u32 s18, s9, s19
	s_mul_hi_u32 s21, s8, s19
	s_mul_i32 s17, s8, s19
	s_mul_hi_u32 s19, s9, s16
	s_mul_i32 s9, s9, s16
	s_mul_hi_u32 s22, s8, s16
	s_add_u32 s9, s18, s9
	s_addc_u32 s18, 0, s19
	s_add_u32 s9, s9, s17
	s_mul_i32 s16, s8, s16
	s_addc_u32 s9, s18, s21
	s_addc_u32 s17, s22, 0
	s_add_u32 s9, s9, s16
	s_addc_u32 s16, 0, s17
	v_add_co_u32 v1, s9, v1, s9
	s_delay_alu instid0(VALU_DEP_1) | instskip(SKIP_1) | instid1(VALU_DEP_1)
	s_cmp_lg_u32 s9, 0
	s_addc_u32 s8, s8, s16
	v_readfirstlane_b32 s9, v1
	s_mul_i32 s16, s10, s8
	s_delay_alu instid0(VALU_DEP_1)
	s_mul_hi_u32 s17, s10, s9
	s_mul_i32 s11, s11, s9
	s_add_i32 s16, s17, s16
	s_mul_i32 s10, s10, s9
	s_add_i32 s16, s16, s11
	s_mul_hi_u32 s17, s8, s10
	s_mul_i32 s18, s8, s10
	s_mul_hi_u32 s10, s9, s10
	s_mul_hi_u32 s19, s9, s16
	s_mul_i32 s9, s9, s16
	s_mul_hi_u32 s11, s8, s16
	s_add_u32 s9, s10, s9
	s_addc_u32 s10, 0, s19
	s_add_u32 s9, s9, s18
	s_mul_i32 s16, s8, s16
	s_addc_u32 s9, s10, s17
	s_addc_u32 s10, s11, 0
	s_add_u32 s9, s9, s16
	s_addc_u32 s10, 0, s10
	v_add_co_u32 v1, s9, v1, s9
	s_delay_alu instid0(VALU_DEP_1) | instskip(SKIP_2) | instid1(SALU_CYCLE_1)
	s_cmp_lg_u32 s9, 0
	s_addc_u32 s16, s8, s10
	s_ashr_i32 s8, s3, 31
	s_add_u32 s10, s12, s8
	s_addc_u32 s11, s3, s8
	v_readfirstlane_b32 s3, v1
	s_mov_b32 s9, s8
	s_delay_alu instid0(SALU_CYCLE_1) | instskip(NEXT) | instid1(SALU_CYCLE_1)
	s_xor_b64 s[10:11], s[10:11], s[8:9]
	s_mul_i32 s18, s10, s16
	s_delay_alu instid0(VALU_DEP_1)
	s_mul_hi_u32 s19, s10, s3
	s_mul_hi_u32 s17, s10, s16
	;; [unrolled: 1-line block ×3, first 2 shown]
	s_mul_i32 s3, s11, s3
	s_add_u32 s18, s19, s18
	s_addc_u32 s17, 0, s17
	s_mul_hi_u32 s21, s11, s16
	s_add_u32 s3, s18, s3
	s_mul_i32 s16, s11, s16
	s_addc_u32 s3, s17, s22
	s_addc_u32 s17, s21, 0
	s_add_u32 s3, s3, s16
	s_addc_u32 s16, 0, s17
	s_mul_i32 s18, s20, s3
	s_add_u32 s17, s3, 1
	v_sub_co_u32 v1, s10, s10, s18
	s_mul_hi_u32 s18, s20, s3
	s_addc_u32 s19, s16, 0
	s_mul_i32 s21, s20, s16
	s_delay_alu instid0(VALU_DEP_1)
	v_sub_co_u32 v2, s22, v1, s20
	s_add_u32 s23, s3, 2
	s_addc_u32 s24, s16, 0
	s_add_i32 s18, s18, s21
	s_cmp_lg_u32 s10, 0
	v_readfirstlane_b32 s10, v2
	s_subb_u32 s11, s11, s18
	s_cmp_lg_u32 s22, 0
	s_subb_u32 s18, s11, 0
	s_delay_alu instid0(VALU_DEP_1) | instskip(SKIP_4) | instid1(SALU_CYCLE_1)
	s_cmp_ge_u32 s10, s20
	s_cselect_b32 s10, -1, 0
	s_cmp_eq_u32 s18, 0
	v_readfirstlane_b32 s18, v1
	s_cselect_b32 s10, s10, -1
	s_cmp_lg_u32 s10, 0
	s_cselect_b32 s10, s23, s17
	s_cselect_b32 s17, s24, s19
	s_cmp_ge_u32 s18, s20
	s_cselect_b32 s18, -1, 0
	s_cmp_eq_u32 s11, 0
	s_cselect_b32 s11, s18, -1
	s_delay_alu instid0(SALU_CYCLE_1) | instskip(SKIP_2) | instid1(SALU_CYCLE_1)
	s_cmp_lg_u32 s11, 0
	s_cselect_b32 s11, s17, s16
	s_cselect_b32 s10, s10, s3
	s_xor_b64 s[10:11], s[10:11], s[8:9]
	s_delay_alu instid0(SALU_CYCLE_1)
	s_sub_u32 s16, s10, s8
	s_load_b128 s[8:11], s[0:1], 0x44
	s_and_not1_b32 vcc_lo, exec_lo, s2
	s_cbranch_vccnz .LBB45_3
.LBB45_2:
	v_cvt_f32_u32_e32 v1, s20
	s_sub_i32 s3, 0, s20
	s_delay_alu instid0(VALU_DEP_1) | instskip(SKIP_2) | instid1(VALU_DEP_1)
	v_rcp_iflag_f32_e32 v1, v1
	s_waitcnt_depctr 0xfff
	v_mul_f32_e32 v1, 0x4f7ffffe, v1
	v_cvt_u32_f32_e32 v1, v1
	s_delay_alu instid0(VALU_DEP_1) | instskip(NEXT) | instid1(VALU_DEP_1)
	v_readfirstlane_b32 s2, v1
	s_mul_i32 s3, s3, s2
	s_delay_alu instid0(SALU_CYCLE_1) | instskip(NEXT) | instid1(SALU_CYCLE_1)
	s_mul_hi_u32 s3, s2, s3
	s_add_i32 s2, s2, s3
	s_delay_alu instid0(SALU_CYCLE_1) | instskip(NEXT) | instid1(SALU_CYCLE_1)
	s_mul_hi_u32 s2, s12, s2
	s_mul_i32 s3, s2, s20
	s_waitcnt lgkmcnt(0)
	s_add_i32 s11, s2, 1
	s_sub_i32 s3, s12, s3
	s_delay_alu instid0(SALU_CYCLE_1)
	s_sub_i32 s12, s3, s20
	s_cmp_ge_u32 s3, s20
	s_cselect_b32 s2, s11, s2
	s_cselect_b32 s3, s12, s3
	s_add_i32 s11, s2, 1
	s_cmp_ge_u32 s3, s20
	s_cselect_b32 s16, s11, s2
.LBB45_3:
	s_waitcnt lgkmcnt(0)
	s_add_i32 s11, s13, 1
	s_mov_b32 s2, 0
	s_mul_hi_i32 s3, s7, s11
	s_mul_i32 s11, s7, s11
	s_cmp_lg_u64 s[2:3], 0
	s_cbranch_scc0 .LBB45_22
; %bb.4:
	v_cvt_f32_ubyte0_e32 v1, 0
	v_cvt_f32_u32_e32 v2, s20
	s_sub_u32 s18, 0, s20
	s_subb_u32 s19, 0, 0
	s_delay_alu instid0(VALU_DEP_1) | instskip(NEXT) | instid1(VALU_DEP_1)
	v_fmamk_f32 v1, v1, 0x4f800000, v2
	v_rcp_f32_e32 v1, v1
	s_waitcnt_depctr 0xfff
	v_mul_f32_e32 v1, 0x5f7ffffc, v1
	s_delay_alu instid0(VALU_DEP_1) | instskip(NEXT) | instid1(VALU_DEP_1)
	v_mul_f32_e32 v2, 0x2f800000, v1
	v_trunc_f32_e32 v2, v2
	s_delay_alu instid0(VALU_DEP_1) | instskip(SKIP_1) | instid1(VALU_DEP_2)
	v_fmamk_f32 v1, v2, 0xcf800000, v1
	v_cvt_u32_f32_e32 v2, v2
	v_cvt_u32_f32_e32 v1, v1
	s_delay_alu instid0(VALU_DEP_2) | instskip(NEXT) | instid1(VALU_DEP_2)
	v_readfirstlane_b32 s12, v2
	v_readfirstlane_b32 s17, v1
	s_delay_alu instid0(VALU_DEP_2) | instskip(NEXT) | instid1(VALU_DEP_1)
	s_mul_i32 s21, s18, s12
	s_mul_hi_u32 s23, s18, s17
	s_mul_i32 s22, s19, s17
	s_add_i32 s21, s23, s21
	s_mul_i32 s24, s18, s17
	s_add_i32 s21, s21, s22
	s_mul_hi_u32 s23, s17, s24
	s_mul_hi_u32 s25, s12, s24
	s_mul_i32 s22, s12, s24
	s_mul_hi_u32 s24, s17, s21
	s_mul_i32 s17, s17, s21
	s_mul_hi_u32 s26, s12, s21
	s_add_u32 s17, s23, s17
	s_addc_u32 s23, 0, s24
	s_add_u32 s17, s17, s22
	s_mul_i32 s21, s12, s21
	s_addc_u32 s17, s23, s25
	s_addc_u32 s22, s26, 0
	s_add_u32 s17, s17, s21
	s_addc_u32 s21, 0, s22
	v_add_co_u32 v1, s17, v1, s17
	s_delay_alu instid0(VALU_DEP_1) | instskip(SKIP_1) | instid1(VALU_DEP_1)
	s_cmp_lg_u32 s17, 0
	s_addc_u32 s12, s12, s21
	v_readfirstlane_b32 s17, v1
	s_mul_i32 s21, s18, s12
	s_delay_alu instid0(VALU_DEP_1)
	s_mul_hi_u32 s22, s18, s17
	s_mul_i32 s19, s19, s17
	s_add_i32 s21, s22, s21
	s_mul_i32 s18, s18, s17
	s_add_i32 s21, s21, s19
	s_mul_hi_u32 s22, s12, s18
	s_mul_i32 s23, s12, s18
	s_mul_hi_u32 s18, s17, s18
	s_mul_hi_u32 s24, s17, s21
	s_mul_i32 s17, s17, s21
	s_mul_hi_u32 s19, s12, s21
	s_add_u32 s17, s18, s17
	s_addc_u32 s18, 0, s24
	s_add_u32 s17, s17, s23
	s_mul_i32 s21, s12, s21
	s_addc_u32 s17, s18, s22
	s_addc_u32 s18, s19, 0
	s_add_u32 s17, s17, s21
	s_addc_u32 s18, 0, s18
	v_add_co_u32 v1, s17, v1, s17
	s_delay_alu instid0(VALU_DEP_1) | instskip(SKIP_2) | instid1(SALU_CYCLE_1)
	s_cmp_lg_u32 s17, 0
	s_addc_u32 s12, s12, s18
	s_ashr_i32 s18, s3, 31
	s_add_u32 s22, s11, s18
	s_addc_u32 s23, s3, s18
	v_readfirstlane_b32 s3, v1
	s_mov_b32 s19, s18
	s_delay_alu instid0(SALU_CYCLE_1) | instskip(NEXT) | instid1(SALU_CYCLE_1)
	s_xor_b64 s[22:23], s[22:23], s[18:19]
	s_mul_i32 s21, s22, s12
	s_delay_alu instid0(VALU_DEP_1)
	s_mul_hi_u32 s24, s22, s3
	s_mul_hi_u32 s17, s22, s12
	;; [unrolled: 1-line block ×3, first 2 shown]
	s_mul_i32 s3, s23, s3
	s_add_u32 s21, s24, s21
	s_addc_u32 s17, 0, s17
	s_mul_hi_u32 s25, s23, s12
	s_add_u32 s3, s21, s3
	s_mul_i32 s12, s23, s12
	s_addc_u32 s3, s17, s26
	s_addc_u32 s17, s25, 0
	s_add_u32 s3, s3, s12
	s_addc_u32 s12, 0, s17
	s_mul_i32 s21, s20, s3
	s_add_u32 s17, s3, 1
	v_sub_co_u32 v1, s21, s22, s21
	s_mul_hi_u32 s22, s20, s3
	s_addc_u32 s24, s12, 0
	s_mul_i32 s25, s20, s12
	s_delay_alu instid0(VALU_DEP_1)
	v_sub_co_u32 v2, s26, v1, s20
	s_add_u32 s27, s3, 2
	s_addc_u32 s28, s12, 0
	s_add_i32 s22, s22, s25
	s_cmp_lg_u32 s21, 0
	v_readfirstlane_b32 s21, v2
	s_subb_u32 s22, s23, s22
	s_cmp_lg_u32 s26, 0
	s_subb_u32 s23, s22, 0
	s_delay_alu instid0(VALU_DEP_1) | instskip(SKIP_4) | instid1(SALU_CYCLE_1)
	s_cmp_ge_u32 s21, s20
	s_cselect_b32 s21, -1, 0
	s_cmp_eq_u32 s23, 0
	v_readfirstlane_b32 s23, v1
	s_cselect_b32 s21, s21, -1
	s_cmp_lg_u32 s21, 0
	s_cselect_b32 s17, s27, s17
	s_cselect_b32 s21, s28, s24
	s_cmp_ge_u32 s23, s20
	s_cselect_b32 s23, -1, 0
	s_cmp_eq_u32 s22, 0
	s_cselect_b32 s22, s23, -1
	s_delay_alu instid0(SALU_CYCLE_1) | instskip(SKIP_2) | instid1(SALU_CYCLE_1)
	s_cmp_lg_u32 s22, 0
	s_cselect_b32 s23, s21, s12
	s_cselect_b32 s22, s17, s3
	s_xor_b64 s[22:23], s[22:23], s[18:19]
	s_delay_alu instid0(SALU_CYCLE_1)
	s_sub_u32 s18, s22, s18
	s_and_not1_b32 vcc_lo, exec_lo, s2
	s_cbranch_vccnz .LBB45_6
.LBB45_5:
	v_cvt_f32_u32_e32 v1, s20
	s_sub_i32 s3, 0, s20
	s_delay_alu instid0(VALU_DEP_1) | instskip(SKIP_2) | instid1(VALU_DEP_1)
	v_rcp_iflag_f32_e32 v1, v1
	s_waitcnt_depctr 0xfff
	v_mul_f32_e32 v1, 0x4f7ffffe, v1
	v_cvt_u32_f32_e32 v1, v1
	s_delay_alu instid0(VALU_DEP_1) | instskip(NEXT) | instid1(VALU_DEP_1)
	v_readfirstlane_b32 s2, v1
	s_mul_i32 s3, s3, s2
	s_delay_alu instid0(SALU_CYCLE_1) | instskip(NEXT) | instid1(SALU_CYCLE_1)
	s_mul_hi_u32 s3, s2, s3
	s_add_i32 s2, s2, s3
	s_delay_alu instid0(SALU_CYCLE_1) | instskip(NEXT) | instid1(SALU_CYCLE_1)
	s_mul_hi_u32 s2, s11, s2
	s_mul_i32 s3, s2, s20
	s_delay_alu instid0(SALU_CYCLE_1)
	s_sub_i32 s3, s11, s3
	s_add_i32 s11, s2, 1
	s_sub_i32 s12, s3, s20
	s_cmp_ge_u32 s3, s20
	s_cselect_b32 s2, s11, s2
	s_cselect_b32 s3, s12, s3
	s_add_i32 s11, s2, 1
	s_cmp_ge_u32 s3, s20
	s_cselect_b32 s18, s11, s2
.LBB45_6:
	s_delay_alu instid0(SALU_CYCLE_1) | instskip(SKIP_3) | instid1(SALU_CYCLE_1)
	s_cmp_eq_u32 s16, s18
	s_mul_hi_u32 s2, s16, s8
	s_cselect_b32 s3, -1, 0
	s_add_i32 s2, s2, s16
	s_lshr_b32 s11, s2, s9
	s_delay_alu instid0(SALU_CYCLE_1) | instskip(NEXT) | instid1(SALU_CYCLE_1)
	s_mul_i32 s2, s11, s10
	s_cmp_eq_u32 s2, s16
	s_mul_hi_u32 s2, s18, s8
	s_cselect_b32 s12, -1, 0
	s_add_i32 s2, s2, s18
	s_delay_alu instid0(SALU_CYCLE_1) | instskip(NEXT) | instid1(SALU_CYCLE_1)
	s_lshr_b32 s2, s2, s9
	s_cmp_eq_u32 s11, s2
	s_mul_i32 s2, s2, s10
	s_cselect_b32 s17, -1, 0
	s_cmp_lg_u32 s2, s18
	s_cselect_b32 s2, -1, 0
	s_or_b32 s3, s3, s12
	s_and_b32 s2, s17, s2
	s_delay_alu instid0(SALU_CYCLE_1) | instskip(NEXT) | instid1(SALU_CYCLE_1)
	s_or_b32 s2, s3, s2
	s_and_b32 vcc_lo, exec_lo, s2
	s_cbranch_vccnz .LBB45_24
; %bb.7:
	s_load_b256 s[24:31], s[0:1], 0x20
	s_waitcnt lgkmcnt(0)
	s_mul_hi_u32 s2, s16, s24
	s_delay_alu instid0(SALU_CYCLE_1) | instskip(NEXT) | instid1(SALU_CYCLE_1)
	s_add_i32 s2, s2, s16
	s_lshr_b32 s17, s2, s25
	s_load_b32 s2, s[0:1], 0x40
	s_mul_i32 s3, s17, s26
	s_delay_alu instid0(SALU_CYCLE_1) | instskip(NEXT) | instid1(SALU_CYCLE_1)
	s_sub_i32 s3, s16, s3
	s_mul_hi_u32 s12, s3, s27
	s_delay_alu instid0(SALU_CYCLE_1) | instskip(NEXT) | instid1(SALU_CYCLE_1)
	s_add_i32 s12, s3, s12
	s_lshr_b32 s19, s12, s28
	s_delay_alu instid0(SALU_CYCLE_1) | instskip(NEXT) | instid1(SALU_CYCLE_1)
	s_mul_i32 s12, s19, s29
	s_sub_i32 s3, s3, s12
	s_delay_alu instid0(SALU_CYCLE_1) | instskip(NEXT) | instid1(SALU_CYCLE_1)
	s_mul_hi_u32 s12, s3, s30
	s_add_i32 s12, s3, s12
	s_delay_alu instid0(SALU_CYCLE_1)
	s_lshr_b32 s12, s12, s31
	s_waitcnt lgkmcnt(0)
	s_mul_i32 s2, s12, s2
	s_lshl_b32 s21, s12, 1
	s_sub_i32 s2, s3, s2
	s_mov_b32 s12, 0
	s_mul_hi_u32 s3, s2, s8
	s_delay_alu instid0(SALU_CYCLE_1) | instskip(NEXT) | instid1(SALU_CYCLE_1)
	s_add_i32 s2, s2, s3
	s_lshr_b32 s18, s2, s9
	s_delay_alu instid0(SALU_CYCLE_1) | instskip(NEXT) | instid1(SALU_CYCLE_1)
	s_lshl_b32 s2, s18, 2
	s_add_i32 s2, s2, s14
	s_delay_alu instid0(SALU_CYCLE_1) | instskip(SKIP_2) | instid1(SALU_CYCLE_1)
	s_cmp_lt_i32 s2, s4
	s_cselect_b32 s2, -1, 0
	s_add_i32 s21, s21, s15
	s_cmp_lt_i32 s21, s6
	s_cselect_b32 s3, -1, 0
	s_delay_alu instid0(SALU_CYCLE_1) | instskip(NEXT) | instid1(SALU_CYCLE_1)
	s_and_b32 s2, s2, s3
	s_and_not1_b32 vcc_lo, exec_lo, s2
	s_cbranch_vccnz .LBB45_24
; %bb.8:
	s_load_b128 s[0:3], s[0:1], 0x0
	s_lshl_b32 s22, s20, 5
	s_mov_b32 s23, s12
	s_lshl_b32 s24, s14, 1
	s_lshl_b64 s[22:23], s[22:23], 2
	s_mul_i32 s19, s19, s6
	s_mul_i32 s4, s17, s4
	s_add_i32 s6, s24, s15
	v_cvt_f32_ubyte0_e32 v3, 0
	v_cvt_f32_u32_e32 v4, s20
	s_waitcnt lgkmcnt(0)
	s_add_u32 s15, s2, s22
	s_addc_u32 s17, s3, s23
	s_add_i32 s4, s4, s14
	s_add_i32 s14, s21, s19
	s_mul_i32 s4, s4, s5
	s_mul_i32 s5, s5, s18
	s_add_i32 s4, s14, s4
	s_mulk_i32 s5, 0x140
	s_mulk_i32 s4, 0x50
	s_delay_alu instid0(SALU_CYCLE_1) | instskip(NEXT) | instid1(VALU_DEP_1)
	v_add3_u32 v1, s5, s4, v0
	v_ashrrev_i32_e32 v2, 31, v1
	s_delay_alu instid0(VALU_DEP_1) | instskip(NEXT) | instid1(VALU_DEP_1)
	v_lshlrev_b64 v[1:2], 2, v[1:2]
	v_add_co_u32 v1, vcc_lo, s0, v1
	s_delay_alu instid0(VALU_DEP_2) | instskip(SKIP_1) | instid1(SALU_CYCLE_1)
	v_add_co_ci_u32_e32 v2, vcc_lo, s1, v2, vcc_lo
	s_lshl_b32 s0, s13, 3
	s_add_i32 s0, s6, s0
	global_load_b32 v5, v[1:2], off
	s_ashr_i32 s1, s0, 31
	s_delay_alu instid0(SALU_CYCLE_1) | instskip(NEXT) | instid1(SALU_CYCLE_1)
	s_lshl_b64 s[0:1], s[0:1], 3
	s_add_u32 s0, s2, s0
	s_addc_u32 s1, s3, s1
	s_add_i32 s18, s13, -1
	s_load_b64 s[0:1], s[0:1], 0x0
	v_fmac_f32_e32 v4, 0x4f800000, v3
	s_sub_i32 s14, 0, s20
	s_delay_alu instid0(VALU_DEP_1)
	v_rcp_f32_e32 v3, v4
	s_waitcnt_depctr 0xfff
	v_mul_f32_e32 v6, 0x5f7ffffc, v3
	v_cvt_f32_u32_e32 v3, s20
	s_waitcnt lgkmcnt(0)
	v_mov_b32_e32 v8, s0
	s_delay_alu instid0(VALU_DEP_3) | instskip(NEXT) | instid1(VALU_DEP_3)
	v_mul_f32_e32 v4, 0x2f800000, v6
	v_rcp_iflag_f32_e32 v7, v3
	s_delay_alu instid0(VALU_DEP_1) | instskip(SKIP_1) | instid1(VALU_DEP_2)
	v_trunc_f32_e32 v9, v4
	v_mad_u64_u32 v[3:4], null, 0x50, s6, v[0:1]
	v_fmac_f32_e32 v6, 0xcf800000, v9
	s_waitcnt_depctr 0xfff
	v_dual_mul_f32 v10, 0x4f7ffffe, v7 :: v_dual_mov_b32 v7, s1
	v_cvt_u32_f32_e32 v4, v9
	v_cvt_u32_f32_e32 v0, v6
	s_delay_alu instid0(VALU_DEP_3)
	v_cvt_u32_f32_e32 v6, v10
.LBB45_9:                               ; =>This Inner Loop Header: Depth=1
	s_mul_hi_i32 s13, s18, s7
	s_mul_i32 s4, s18, s7
	s_cmp_lg_u64 s[12:13], 0
	s_mov_b32 s5, -1
                                        ; implicit-def: $sgpr0_sgpr1
	s_cbranch_scc0 .LBB45_11
; %bb.10:                               ;   in Loop: Header=BB45_9 Depth=1
	v_readfirstlane_b32 s0, v0
	v_readfirstlane_b32 s1, v4
	s_sub_u32 s5, 0, s20
	s_subb_u32 s19, 0, 0
	s_delay_alu instid0(VALU_DEP_2) | instskip(NEXT) | instid1(VALU_DEP_1)
	s_mul_hi_u32 s21, s5, s0
	s_mul_i32 s22, s5, s1
	s_mul_i32 s23, s19, s0
	s_add_i32 s21, s21, s22
	s_mul_i32 s22, s5, s0
	s_add_i32 s21, s21, s23
	s_mul_hi_u32 s23, s0, s22
	s_mul_i32 s24, s0, s21
	s_mul_hi_u32 s0, s0, s21
	s_add_u32 s23, s23, s24
	s_mul_i32 s25, s1, s22
	s_addc_u32 s0, 0, s0
	s_mul_hi_u32 s22, s1, s22
	s_mul_hi_u32 s24, s1, s21
	s_add_u32 s23, s23, s25
	s_addc_u32 s0, s0, s22
	s_mul_i32 s21, s1, s21
	s_addc_u32 s22, s24, 0
	s_add_u32 s0, s0, s21
	s_addc_u32 s21, 0, s22
	v_add_co_u32 v9, s0, v0, s0
	s_delay_alu instid0(VALU_DEP_1) | instskip(SKIP_1) | instid1(VALU_DEP_1)
	s_cmp_lg_u32 s0, 0
	s_addc_u32 s1, s1, s21
	v_readfirstlane_b32 s0, v9
	s_mul_i32 s21, s5, s1
	s_delay_alu instid0(VALU_DEP_1)
	s_mul_hi_u32 s22, s5, s0
	s_mul_i32 s19, s19, s0
	s_add_i32 s21, s22, s21
	s_mul_i32 s5, s5, s0
	s_add_i32 s21, s21, s19
	s_mul_hi_u32 s19, s1, s5
	s_mul_i32 s23, s1, s5
	s_mul_i32 s24, s0, s21
	s_mul_hi_u32 s5, s0, s5
	s_mul_hi_u32 s0, s0, s21
	s_add_u32 s5, s5, s24
	s_addc_u32 s0, 0, s0
	s_mul_hi_u32 s22, s1, s21
	s_add_u32 s5, s5, s23
	s_addc_u32 s0, s0, s19
	s_mul_i32 s5, s1, s21
	s_addc_u32 s19, s22, 0
	s_add_u32 s0, s0, s5
	s_addc_u32 s5, 0, s19
	v_add_co_u32 v9, s0, v9, s0
	s_delay_alu instid0(VALU_DEP_1) | instskip(SKIP_2) | instid1(SALU_CYCLE_1)
	s_cmp_lg_u32 s0, 0
	s_addc_u32 s5, s1, s5
	s_ashr_i32 s0, s13, 31
	s_add_u32 s22, s4, s0
	s_addc_u32 s23, s13, s0
	v_readfirstlane_b32 s13, v9
	s_mov_b32 s1, s0
	s_delay_alu instid0(SALU_CYCLE_1) | instskip(NEXT) | instid1(SALU_CYCLE_1)
	s_xor_b64 s[22:23], s[22:23], s[0:1]
	s_mul_i32 s19, s22, s5
	s_delay_alu instid0(VALU_DEP_1)
	s_mul_hi_u32 s21, s22, s13
	s_mul_hi_u32 s24, s22, s5
	s_add_u32 s19, s21, s19
	s_mul_i32 s25, s23, s13
	s_addc_u32 s21, 0, s24
	s_mul_hi_u32 s13, s23, s13
	s_mul_hi_u32 s24, s23, s5
	s_add_u32 s19, s19, s25
	s_addc_u32 s13, s21, s13
	s_mul_i32 s5, s23, s5
	s_addc_u32 s19, s24, 0
	s_add_u32 s5, s13, s5
	s_addc_u32 s13, 0, s19
	s_mul_i32 s21, s20, s5
	s_add_u32 s19, s5, 1
	v_sub_co_u32 v9, s21, s22, s21
	s_addc_u32 s22, s13, 0
	s_mul_i32 s25, s20, s13
	s_mul_hi_u32 s27, s20, s5
	s_delay_alu instid0(VALU_DEP_1)
	v_sub_co_u32 v10, s26, v9, s20
	s_add_u32 s24, s5, 2
	s_addc_u32 s28, s13, 0
	s_add_i32 s27, s27, s25
	s_cmp_lg_u32 s21, 0
	v_readfirstlane_b32 s21, v10
	s_subb_u32 s23, s23, s27
	s_cmp_lg_u32 s26, 0
	s_subb_u32 s25, s23, 0
	s_delay_alu instid0(VALU_DEP_1) | instskip(SKIP_4) | instid1(SALU_CYCLE_1)
	s_cmp_ge_u32 s21, s20
	s_cselect_b32 s21, -1, 0
	s_cmp_eq_u32 s25, 0
	v_readfirstlane_b32 s25, v9
	s_cselect_b32 s21, s21, -1
	s_cmp_lg_u32 s21, 0
	s_cselect_b32 s19, s24, s19
	s_cselect_b32 s21, s28, s22
	s_cmp_ge_u32 s25, s20
	s_cselect_b32 s22, -1, 0
	s_cmp_eq_u32 s23, 0
	s_cselect_b32 s22, s22, -1
	s_delay_alu instid0(SALU_CYCLE_1) | instskip(SKIP_4) | instid1(SALU_CYCLE_1)
	s_cmp_lg_u32 s22, 0
	s_cselect_b32 s23, s21, s13
	s_cselect_b32 s22, s19, s5
	s_mov_b32 s5, 0
	s_xor_b64 s[22:23], s[22:23], s[0:1]
	s_sub_u32 s0, s22, s0
.LBB45_11:                              ;   in Loop: Header=BB45_9 Depth=1
	s_and_not1_b32 vcc_lo, exec_lo, s5
	s_cbranch_vccnz .LBB45_13
; %bb.12:                               ;   in Loop: Header=BB45_9 Depth=1
	v_readfirstlane_b32 s0, v6
	s_delay_alu instid0(VALU_DEP_1) | instskip(NEXT) | instid1(SALU_CYCLE_1)
	s_mul_i32 s1, s14, s0
	s_mul_hi_u32 s1, s0, s1
	s_delay_alu instid0(SALU_CYCLE_1) | instskip(NEXT) | instid1(SALU_CYCLE_1)
	s_add_i32 s0, s0, s1
	s_mul_hi_u32 s0, s4, s0
	s_delay_alu instid0(SALU_CYCLE_1) | instskip(NEXT) | instid1(SALU_CYCLE_1)
	s_mul_i32 s1, s0, s20
	s_sub_i32 s1, s4, s1
	s_add_i32 s4, s0, 1
	s_sub_i32 s5, s1, s20
	s_cmp_ge_u32 s1, s20
	s_cselect_b32 s0, s4, s0
	s_cselect_b32 s1, s5, s1
	s_add_i32 s4, s0, 1
	s_cmp_ge_u32 s1, s20
	s_cselect_b32 s0, s4, s0
.LBB45_13:                              ;   in Loop: Header=BB45_9 Depth=1
	s_delay_alu instid0(SALU_CYCLE_1)
	s_cmp_lg_u32 s16, s0
	s_cbranch_scc0 .LBB45_17
; %bb.14:                               ;   in Loop: Header=BB45_9 Depth=1
	s_add_i32 s1, s18, s20
	s_mov_b32 s5, s12
	s_lshl_b32 s1, s1, 3
	s_mov_b32 s19, s16
	s_add_i32 s4, s1, s6
	s_mul_hi_u32 s1, s0, s8
	s_lshl_b64 s[4:5], s[4:5], 3
	s_delay_alu instid0(SALU_CYCLE_1) | instskip(SKIP_2) | instid1(SALU_CYCLE_1)
	s_add_u32 s4, s2, s4
	s_addc_u32 s5, s3, s5
	s_add_i32 s1, s1, s0
	s_lshr_b32 s1, s1, s9
	s_delay_alu instid0(SALU_CYCLE_1) | instskip(NEXT) | instid1(SALU_CYCLE_1)
	s_mul_i32 s13, s1, s10
	s_cmp_eq_u32 s13, s0
	s_cselect_b32 s13, -1, 0
	s_cmp_lt_u32 s1, s11
	s_cselect_b32 s1, -1, 0
	s_delay_alu instid0(SALU_CYCLE_1)
	s_or_b32 s1, s1, s13
	s_mov_b32 s13, -1
	s_and_b32 vcc_lo, exec_lo, s1
	s_mov_b32 s1, s18
	s_cbranch_vccnz .LBB45_16
; %bb.15:                               ;   in Loop: Header=BB45_9 Depth=1
	s_add_i32 s1, s18, -1
	s_mov_b32 s13, 0
	s_mov_b32 s19, s0
.LBB45_16:                              ;   in Loop: Header=BB45_9 Depth=1
	v_mad_u64_u32 v[9:10], null, 0x280, s18, v[3:4]
	s_load_b64 s[4:5], s[4:5], 0x0
	s_delay_alu instid0(VALU_DEP_1) | instskip(NEXT) | instid1(VALU_DEP_1)
	v_ashrrev_i32_e32 v10, 31, v9
	v_lshlrev_b64 v[9:10], 2, v[9:10]
	s_delay_alu instid0(VALU_DEP_1) | instskip(NEXT) | instid1(VALU_DEP_2)
	v_add_co_u32 v9, vcc_lo, s15, v9
	v_add_co_ci_u32_e32 v10, vcc_lo, s17, v10, vcc_lo
	s_waitcnt lgkmcnt(0)
	v_max_f32_e64 v11, s4, s4
	global_load_b32 v10, v[9:10], off
	v_max_f32_e32 v9, v8, v8
	s_delay_alu instid0(VALU_DEP_1) | instskip(NEXT) | instid1(VALU_DEP_1)
	v_max_f32_e32 v9, v9, v11
	v_sub_f32_e32 v12, v8, v9
	s_delay_alu instid0(VALU_DEP_1) | instskip(NEXT) | instid1(VALU_DEP_1)
	v_dual_mul_f32 v14, 0x3fb8aa3b, v12 :: v_dual_sub_f32 v11, s4, v9
	v_rndne_f32_e32 v18, v14
	s_delay_alu instid0(VALU_DEP_2) | instskip(SKIP_2) | instid1(VALU_DEP_4)
	v_mul_f32_e32 v13, 0x3fb8aa3b, v11
	v_fma_f32 v17, 0x3fb8aa3b, v12, -v14
	v_cmp_ngt_f32_e32 vcc_lo, 0xc2ce8ed0, v11
	v_sub_f32_e32 v14, v14, v18
	s_delay_alu instid0(VALU_DEP_4) | instskip(SKIP_2) | instid1(VALU_DEP_3)
	v_fma_f32 v15, 0x3fb8aa3b, v11, -v13
	v_rndne_f32_e32 v16, v13
	v_fmac_f32_e32 v17, 0x32a5705f, v12
	v_fmac_f32_e32 v15, 0x32a5705f, v11
	s_delay_alu instid0(VALU_DEP_2) | instskip(NEXT) | instid1(VALU_DEP_1)
	v_dual_sub_f32 v13, v13, v16 :: v_dual_add_f32 v14, v14, v17
	v_add_f32_e32 v13, v13, v15
	s_delay_alu instid0(VALU_DEP_2) | instskip(SKIP_2) | instid1(VALU_DEP_3)
	v_exp_f32_e32 v14, v14
	v_cvt_i32_f32_e32 v15, v16
	v_cvt_i32_f32_e32 v16, v18
	v_exp_f32_e32 v13, v13
	s_waitcnt_depctr 0xfff
	v_ldexp_f32 v14, v14, v16
	v_ldexp_f32 v13, v13, v15
	s_delay_alu instid0(VALU_DEP_1) | instskip(SKIP_1) | instid1(VALU_DEP_4)
	v_cndmask_b32_e32 v13, 0, v13, vcc_lo
	v_cmp_ngt_f32_e32 vcc_lo, 0xc2ce8ed0, v12
	v_cndmask_b32_e32 v14, 0, v14, vcc_lo
	v_cmp_nlt_f32_e32 vcc_lo, 0x42b17218, v11
	s_delay_alu instid0(VALU_DEP_4) | instskip(SKIP_1) | instid1(VALU_DEP_4)
	v_cndmask_b32_e32 v13, 0x7f800000, v13, vcc_lo
	v_cmp_nlt_f32_e32 vcc_lo, 0x42b17218, v12
	v_cndmask_b32_e32 v14, 0x7f800000, v14, vcc_lo
	v_cmp_le_f32_e32 vcc_lo, 0xc1a00000, v11
	s_delay_alu instid0(VALU_DEP_4) | instskip(SKIP_1) | instid1(VALU_DEP_4)
	v_cndmask_b32_e32 v11, 0, v13, vcc_lo
	v_cmp_le_f32_e32 vcc_lo, 0xc1a00000, v12
	v_cndmask_b32_e32 v12, 0, v14, vcc_lo
	s_waitcnt vmcnt(0)
	s_delay_alu instid0(VALU_DEP_3) | instskip(NEXT) | instid1(VALU_DEP_1)
	v_mul_f32_e32 v10, v10, v11
	v_dual_mul_f32 v11, s5, v11 :: v_dual_fmac_f32 v10, v5, v12
	s_delay_alu instid0(VALU_DEP_1)
	v_fmac_f32_e32 v11, v7, v12
	s_cbranch_execz .LBB45_18
	s_branch .LBB45_19
.LBB45_17:                              ;   in Loop: Header=BB45_9 Depth=1
                                        ; implicit-def: $sgpr13
                                        ; implicit-def: $vgpr10
                                        ; implicit-def: $vgpr9
                                        ; implicit-def: $vgpr11
                                        ; implicit-def: $sgpr1
                                        ; implicit-def: $sgpr19
.LBB45_18:                              ;   in Loop: Header=BB45_9 Depth=1
	s_waitcnt vmcnt(0)
	v_dual_mov_b32 v11, v7 :: v_dual_mov_b32 v10, v5
	v_mov_b32_e32 v9, v8
	s_add_i32 s1, s18, -1
	s_mov_b32 s13, 0
	s_mov_b32 s19, s16
.LBB45_19:                              ;   in Loop: Header=BB45_9 Depth=1
	s_and_not1_b32 vcc_lo, exec_lo, s13
	s_cbranch_vccz .LBB45_23
; %bb.20:                               ;   in Loop: Header=BB45_9 Depth=1
	v_dual_mov_b32 v7, v11 :: v_dual_mov_b32 v8, v9
	s_waitcnt vmcnt(0)
	v_mov_b32_e32 v5, v10
	s_mov_b32 s16, s19
	s_mov_b32 s18, s1
	s_branch .LBB45_9
.LBB45_21:
                                        ; implicit-def: $sgpr16_sgpr17
	s_load_b128 s[8:11], s[0:1], 0x44
	s_branch .LBB45_2
.LBB45_22:
                                        ; implicit-def: $sgpr18_sgpr19
	s_branch .LBB45_5
.LBB45_23:
	v_div_scale_f32 v0, null, v11, v11, v10
	s_delay_alu instid0(VALU_DEP_1) | instskip(SKIP_2) | instid1(VALU_DEP_1)
	v_rcp_f32_e32 v3, v0
	s_waitcnt_depctr 0xfff
	v_fma_f32 v4, -v0, v3, 1.0
	v_fmac_f32_e32 v3, v4, v3
	v_div_scale_f32 v4, vcc_lo, v10, v11, v10
	s_waitcnt vmcnt(0)
	s_delay_alu instid0(VALU_DEP_1) | instskip(NEXT) | instid1(VALU_DEP_1)
	v_mul_f32_e32 v5, v4, v3
	v_fma_f32 v6, -v0, v5, v4
	s_delay_alu instid0(VALU_DEP_1) | instskip(NEXT) | instid1(VALU_DEP_1)
	v_fmac_f32_e32 v5, v6, v3
	v_fma_f32 v0, -v0, v5, v4
	s_delay_alu instid0(VALU_DEP_1) | instskip(NEXT) | instid1(VALU_DEP_1)
	v_div_fmas_f32 v0, v0, v3, v5
	v_div_fixup_f32 v0, v0, v11, v10
	global_store_b32 v[1:2], v0, off
.LBB45_24:
	s_nop 0
	s_sendmsg sendmsg(MSG_DEALLOC_VGPRS)
	s_endpgm
	.section	.rodata,"a",@progbits
	.p2align	6, 0x0
	.amdhsa_kernel _ZL33flash_attn_stream_k_fixup_generalILi80ELi4ELi2EEvPfPK15HIP_vector_typeIfLj2EEiiiiS1_IjLj3EES5_S5_S5_
		.amdhsa_group_segment_fixed_size 0
		.amdhsa_private_segment_fixed_size 0
		.amdhsa_kernarg_size 336
		.amdhsa_user_sgpr_count 13
		.amdhsa_user_sgpr_dispatch_ptr 0
		.amdhsa_user_sgpr_queue_ptr 0
		.amdhsa_user_sgpr_kernarg_segment_ptr 1
		.amdhsa_user_sgpr_dispatch_id 0
		.amdhsa_user_sgpr_private_segment_size 0
		.amdhsa_wavefront_size32 1
		.amdhsa_uses_dynamic_stack 0
		.amdhsa_enable_private_segment 0
		.amdhsa_system_sgpr_workgroup_id_x 1
		.amdhsa_system_sgpr_workgroup_id_y 1
		.amdhsa_system_sgpr_workgroup_id_z 1
		.amdhsa_system_sgpr_workgroup_info 0
		.amdhsa_system_vgpr_workitem_id 0
		.amdhsa_next_free_vgpr 19
		.amdhsa_next_free_sgpr 32
		.amdhsa_reserve_vcc 1
		.amdhsa_float_round_mode_32 0
		.amdhsa_float_round_mode_16_64 0
		.amdhsa_float_denorm_mode_32 3
		.amdhsa_float_denorm_mode_16_64 3
		.amdhsa_dx10_clamp 1
		.amdhsa_ieee_mode 1
		.amdhsa_fp16_overflow 0
		.amdhsa_workgroup_processor_mode 1
		.amdhsa_memory_ordered 1
		.amdhsa_forward_progress 0
		.amdhsa_shared_vgpr_count 0
		.amdhsa_exception_fp_ieee_invalid_op 0
		.amdhsa_exception_fp_denorm_src 0
		.amdhsa_exception_fp_ieee_div_zero 0
		.amdhsa_exception_fp_ieee_overflow 0
		.amdhsa_exception_fp_ieee_underflow 0
		.amdhsa_exception_fp_ieee_inexact 0
		.amdhsa_exception_int_div_zero 0
	.end_amdhsa_kernel
	.section	.text._ZL33flash_attn_stream_k_fixup_generalILi80ELi4ELi2EEvPfPK15HIP_vector_typeIfLj2EEiiiiS1_IjLj3EES5_S5_S5_,"axG",@progbits,_ZL33flash_attn_stream_k_fixup_generalILi80ELi4ELi2EEvPfPK15HIP_vector_typeIfLj2EEiiiiS1_IjLj3EES5_S5_S5_,comdat
.Lfunc_end45:
	.size	_ZL33flash_attn_stream_k_fixup_generalILi80ELi4ELi2EEvPfPK15HIP_vector_typeIfLj2EEiiiiS1_IjLj3EES5_S5_S5_, .Lfunc_end45-_ZL33flash_attn_stream_k_fixup_generalILi80ELi4ELi2EEvPfPK15HIP_vector_typeIfLj2EEiiiiS1_IjLj3EES5_S5_S5_
                                        ; -- End function
	.section	.AMDGPU.csdata,"",@progbits
; Kernel info:
; codeLenInByte = 3224
; NumSgprs: 34
; NumVgprs: 19
; ScratchSize: 0
; MemoryBound: 0
; FloatMode: 240
; IeeeMode: 1
; LDSByteSize: 0 bytes/workgroup (compile time only)
; SGPRBlocks: 4
; VGPRBlocks: 2
; NumSGPRsForWavesPerEU: 34
; NumVGPRsForWavesPerEU: 19
; Occupancy: 16
; WaveLimiterHint : 0
; COMPUTE_PGM_RSRC2:SCRATCH_EN: 0
; COMPUTE_PGM_RSRC2:USER_SGPR: 13
; COMPUTE_PGM_RSRC2:TRAP_HANDLER: 0
; COMPUTE_PGM_RSRC2:TGID_X_EN: 1
; COMPUTE_PGM_RSRC2:TGID_Y_EN: 1
; COMPUTE_PGM_RSRC2:TGID_Z_EN: 1
; COMPUTE_PGM_RSRC2:TIDIG_COMP_CNT: 0
	.section	.text._ZL15flash_attn_tileILi80ELi80ELi2ELi2ELb0EEvPKcS1_S1_S1_S1_PKiPfP15HIP_vector_typeIfLj2EEffffjfiS5_IjLj3EEiiiiiiiiiiiliiliiiiil,"axG",@progbits,_ZL15flash_attn_tileILi80ELi80ELi2ELi2ELb0EEvPKcS1_S1_S1_S1_PKiPfP15HIP_vector_typeIfLj2EEffffjfiS5_IjLj3EEiiiiiiiiiiiliiliiiiil,comdat
	.globl	_ZL15flash_attn_tileILi80ELi80ELi2ELi2ELb0EEvPKcS1_S1_S1_S1_PKiPfP15HIP_vector_typeIfLj2EEffffjfiS5_IjLj3EEiiiiiiiiiiiliiliiiiil ; -- Begin function _ZL15flash_attn_tileILi80ELi80ELi2ELi2ELb0EEvPKcS1_S1_S1_S1_PKiPfP15HIP_vector_typeIfLj2EEffffjfiS5_IjLj3EEiiiiiiiiiiiliiliiiiil
	.p2align	8
	.type	_ZL15flash_attn_tileILi80ELi80ELi2ELi2ELb0EEvPKcS1_S1_S1_S1_PKiPfP15HIP_vector_typeIfLj2EEffffjfiS5_IjLj3EEiiiiiiiiiiiliiliiiiil,@function
_ZL15flash_attn_tileILi80ELi80ELi2ELi2ELb0EEvPKcS1_S1_S1_S1_PKiPfP15HIP_vector_typeIfLj2EEffffjfiS5_IjLj3EEiiiiiiiiiiiliiliiiiil: ; @_ZL15flash_attn_tileILi80ELi80ELi2ELi2ELb0EEvPKcS1_S1_S1_S1_PKiPfP15HIP_vector_typeIfLj2EEffffjfiS5_IjLj3EEiiiiiiiiiiiliiliiiiil
; %bb.0:
	s_clause 0x1
	s_load_b128 s[8:11], s[0:1], 0x5c
	s_load_b64 s[34:35], s[0:1], 0x80
	s_mov_b64 s[36:37], 0
	s_waitcnt lgkmcnt(0)
	s_lshr_b32 s2, s11, 31
	s_delay_alu instid0(SALU_CYCLE_1) | instskip(NEXT) | instid1(SALU_CYCLE_1)
	s_add_i32 s2, s11, s2
	s_ashr_i32 s2, s2, 1
	s_delay_alu instid0(SALU_CYCLE_1) | instskip(SKIP_1) | instid1(VALU_DEP_1)
	v_cvt_f32_u32_e32 v1, s2
	s_sub_i32 s4, 0, s2
	v_rcp_iflag_f32_e32 v1, v1
	s_waitcnt_depctr 0xfff
	v_mul_f32_e32 v1, 0x4f7ffffe, v1
	s_delay_alu instid0(VALU_DEP_1) | instskip(NEXT) | instid1(VALU_DEP_1)
	v_cvt_u32_f32_e32 v1, v1
	v_readfirstlane_b32 s3, v1
	s_delay_alu instid0(VALU_DEP_1) | instskip(NEXT) | instid1(SALU_CYCLE_1)
	s_mul_i32 s4, s4, s3
	s_mul_hi_u32 s4, s3, s4
	s_delay_alu instid0(SALU_CYCLE_1) | instskip(NEXT) | instid1(SALU_CYCLE_1)
	s_add_i32 s3, s3, s4
	s_mul_hi_u32 s3, s15, s3
	s_delay_alu instid0(SALU_CYCLE_1) | instskip(SKIP_2) | instid1(SALU_CYCLE_1)
	s_mul_i32 s4, s3, s2
	s_add_i32 s5, s3, 1
	s_sub_i32 s4, s15, s4
	s_sub_i32 s6, s4, s2
	s_cmp_ge_u32 s4, s2
	s_cselect_b32 s3, s5, s3
	s_cselect_b32 s4, s6, s4
	s_add_i32 s5, s3, 1
	s_cmp_ge_u32 s4, s2
	s_cselect_b32 s12, s5, s3
	s_abs_i32 s2, s35
	s_abs_i32 s5, s11
	v_cvt_f32_u32_e32 v1, s2
	s_sub_i32 s4, 0, s2
	s_xor_b32 s6, s11, s35
	s_delay_alu instid0(SALU_CYCLE_1) | instskip(NEXT) | instid1(VALU_DEP_1)
	s_ashr_i32 s6, s6, 31
	v_rcp_iflag_f32_e32 v1, v1
	s_waitcnt_depctr 0xfff
	v_mul_f32_e32 v1, 0x4f7ffffe, v1
	s_delay_alu instid0(VALU_DEP_1) | instskip(NEXT) | instid1(VALU_DEP_1)
	v_cvt_u32_f32_e32 v1, v1
	v_readfirstlane_b32 s3, v1
	s_delay_alu instid0(VALU_DEP_1) | instskip(NEXT) | instid1(SALU_CYCLE_1)
	s_mul_i32 s4, s4, s3
	s_mul_hi_u32 s4, s3, s4
	s_delay_alu instid0(SALU_CYCLE_1) | instskip(SKIP_2) | instid1(SALU_CYCLE_1)
	s_add_i32 s3, s3, s4
	s_lshl_b32 s4, s15, 1
	s_mul_hi_u32 s3, s5, s3
	s_mul_i32 s7, s3, s2
	s_delay_alu instid0(SALU_CYCLE_1)
	s_sub_i32 s5, s5, s7
	s_add_i32 s7, s3, 1
	s_sub_i32 s15, s5, s2
	s_cmp_ge_u32 s5, s2
	s_cselect_b32 s3, s7, s3
	s_cselect_b32 s5, s15, s5
	s_add_i32 s7, s3, 1
	s_cmp_ge_u32 s5, s2
	s_mul_i32 s5, s12, s11
	s_cselect_b32 s2, s7, s3
	s_delay_alu instid0(SALU_CYCLE_1) | instskip(NEXT) | instid1(SALU_CYCLE_1)
	s_xor_b32 s2, s2, s6
	s_sub_i32 s35, s2, s6
	s_clause 0x1
	s_load_b512 s[16:31], s[0:1], 0x0
	s_load_b64 s[2:3], s[0:1], 0xb8
	s_abs_i32 s33, s35
	s_delay_alu instid0(SALU_CYCLE_1) | instskip(NEXT) | instid1(VALU_DEP_1)
	v_cvt_f32_u32_e32 v1, s33
	v_rcp_iflag_f32_e32 v1, v1
	s_waitcnt_depctr 0xfff
	v_mul_f32_e32 v1, 0x4f7ffffe, v1
	s_waitcnt lgkmcnt(0)
	s_cmp_eq_u64 s[22:23], 0
	s_delay_alu instid0(VALU_DEP_1) | instskip(NEXT) | instid1(VALU_DEP_1)
	v_cvt_u32_f32_e32 v1, v1
	v_readfirstlane_b32 s38, v1
	s_cbranch_scc1 .LBB46_2
; %bb.1:
	s_abs_i32 s2, s2
	s_abs_i32 s15, s12
	v_cvt_f32_u32_e32 v1, s2
	s_sub_i32 s7, 0, s2
	s_delay_alu instid0(VALU_DEP_1) | instskip(SKIP_2) | instid1(VALU_DEP_1)
	v_rcp_iflag_f32_e32 v1, v1
	s_waitcnt_depctr 0xfff
	v_mul_f32_e32 v1, 0x4f7ffffe, v1
	v_cvt_u32_f32_e32 v1, v1
	s_delay_alu instid0(VALU_DEP_1) | instskip(NEXT) | instid1(VALU_DEP_1)
	v_readfirstlane_b32 s6, v1
	s_mul_i32 s7, s7, s6
	s_delay_alu instid0(SALU_CYCLE_1) | instskip(NEXT) | instid1(SALU_CYCLE_1)
	s_mul_hi_u32 s7, s6, s7
	s_add_i32 s36, s6, s7
	s_load_b64 s[6:7], s[0:1], 0xc8
	s_mul_hi_u32 s36, s15, s36
	s_delay_alu instid0(SALU_CYCLE_1) | instskip(NEXT) | instid1(SALU_CYCLE_1)
	s_mul_i32 s36, s36, s2
	s_sub_i32 s15, s15, s36
	s_ashr_i32 s36, s12, 31
	s_sub_i32 s37, s15, s2
	s_cmp_ge_u32 s15, s2
	s_cselect_b32 s15, s37, s15
	s_delay_alu instid0(SALU_CYCLE_1) | instskip(SKIP_2) | instid1(SALU_CYCLE_1)
	s_sub_i32 s37, s15, s2
	s_cmp_ge_u32 s15, s2
	s_cselect_b32 s2, s37, s15
	s_xor_b32 s2, s2, s36
	s_delay_alu instid0(SALU_CYCLE_1)
	s_sub_i32 s2, s2, s36
	s_waitcnt lgkmcnt(0)
	s_mul_i32 s7, s2, s7
	s_mul_hi_u32 s15, s2, s6
	s_ashr_i32 s36, s2, 31
	s_add_i32 s7, s15, s7
	s_mul_i32 s36, s36, s6
	s_mul_i32 s2, s2, s6
	s_add_i32 s7, s7, s36
	s_add_u32 s36, s22, s2
	s_addc_u32 s37, s23, s7
.LBB46_2:
	v_bfe_u32 v1, v0, 10, 10
	s_lshl_b32 s2, s13, 1
	v_and_b32_e32 v40, 0x3ff, v0
	s_sub_i32 s15, s4, s5
	s_delay_alu instid0(VALU_DEP_2) | instskip(SKIP_1) | instid1(VALU_DEP_2)
	v_lshrrev_b32_e32 v2, 1, v1
	v_and_b32_e32 v53, 1, v1
	v_add_nc_u32_e32 v41, s2, v2
	v_cmp_gt_u32_e64 s2, 20, v40
	s_delay_alu instid0(VALU_DEP_2) | instskip(NEXT) | instid1(VALU_DEP_2)
	v_mul_hi_u32 v0, s8, v41
	s_and_saveexec_b32 s4, s2
	s_cbranch_execz .LBB46_4
; %bb.3:
	s_load_b128 s[40:43], s[0:1], 0x70
	s_delay_alu instid0(VALU_DEP_1) | instskip(SKIP_1) | instid1(VALU_DEP_2)
	v_add_nc_u32_e32 v2, v41, v0
	v_lshlrev_b32_e32 v9, 1, v40
	v_lshrrev_b32_e32 v2, s9, v2
	s_delay_alu instid0(VALU_DEP_1) | instskip(NEXT) | instid1(VALU_DEP_1)
	v_mul_lo_u32 v2, v2, s10
	v_sub_nc_u32_e32 v4, v41, v2
	s_waitcnt lgkmcnt(0)
	s_mul_i32 s5, s12, s42
	s_mul_i32 s6, s15, s41
	s_ashr_i32 s7, s5, 31
	s_add_u32 s5, s16, s5
	s_addc_u32 s7, s17, s7
	s_ashr_i32 s8, s6, 31
	s_add_u32 s5, s5, s6
	s_addc_u32 s6, s7, s8
	s_ashr_i32 s7, s40, 31
	s_ashr_i32 s8, s41, 31
	v_alignbit_b32 v5, s7, s40, 2
	v_alignbit_b32 v8, s8, s41, 2
	s_lshr_b32 s8, s8, 2
	s_lshr_b32 s7, s7, 2
	s_delay_alu instid0(VALU_DEP_2) | instskip(SKIP_1) | instid1(VALU_DEP_2)
	v_mad_u64_u32 v[2:3], null, v5, v4, 0
	v_mul_lo_u32 v5, s8, v53
	v_mad_u64_u32 v[6:7], null, s7, v4, v[3:4]
	v_mul_lo_u32 v4, v8, v53
	v_mul_u32_u24_e32 v8, 40, v1
	s_delay_alu instid0(VALU_DEP_3) | instskip(NEXT) | instid1(VALU_DEP_3)
	v_dual_mov_b32 v3, v6 :: v_dual_lshlrev_b32 v6, 4, v40
	v_lshlrev_b64 v[4:5], 2, v[4:5]
	s_delay_alu instid0(VALU_DEP_2) | instskip(NEXT) | instid1(VALU_DEP_2)
	v_lshlrev_b64 v[2:3], 2, v[2:3]
	v_add_co_u32 v4, vcc_lo, s5, v4
	s_delay_alu instid0(VALU_DEP_3) | instskip(SKIP_1) | instid1(VALU_DEP_2)
	v_add_co_ci_u32_e32 v5, vcc_lo, s6, v5, vcc_lo
	s_load_b32 s5, s[0:1], 0x40
	v_add_co_u32 v2, vcc_lo, v4, v2
	s_delay_alu instid0(VALU_DEP_2) | instskip(NEXT) | instid1(VALU_DEP_2)
	v_add_co_ci_u32_e32 v3, vcc_lo, v5, v3, vcc_lo
	v_add_co_u32 v2, vcc_lo, v2, v6
	s_delay_alu instid0(VALU_DEP_2)
	v_add_co_ci_u32_e32 v3, vcc_lo, 0, v3, vcc_lo
	global_load_b128 v[2:5], v[2:3], off
	s_waitcnt vmcnt(0) lgkmcnt(0)
	v_fma_mixlo_f16 v7, v4, s5, 0
	v_fma_mixlo_f16 v6, v2, s5, 0
	v_add_lshl_u32 v2, v8, v9, 2
	s_delay_alu instid0(VALU_DEP_3) | instskip(NEXT) | instid1(VALU_DEP_3)
	v_fma_mixhi_f16 v7, v5, s5, 0
	v_fma_mixhi_f16 v6, v3, s5, 0
	ds_store_b64 v2, v[6:7] offset:3264
.LBB46_4:
	s_or_b32 exec_lo, exec_lo, s4
	s_cmp_eq_u64 s[26:27], 0
	s_waitcnt lgkmcnt(0)
	s_barrier
	buffer_gl0_inv
	s_cbranch_scc1 .LBB46_6
; %bb.5:
	s_load_b32 s4, s[0:1], 0xd0
	s_mov_b32 s5, 0
	s_waitcnt lgkmcnt(0)
	s_mul_i32 s4, s4, s12
	s_delay_alu instid0(SALU_CYCLE_1) | instskip(NEXT) | instid1(SALU_CYCLE_1)
	s_add_i32 s4, s4, s13
	s_lshl_b64 s[4:5], s[4:5], 2
	s_delay_alu instid0(SALU_CYCLE_1)
	s_add_u32 s4, s26, s4
	s_addc_u32 s5, s27, s5
	s_load_b32 s34, s[4:5], 0x0
.LBB46_6:
	v_mbcnt_lo_u32_b32 v52, -1, 0
	s_lshl_b32 s13, s14, 5
	s_waitcnt lgkmcnt(0)
	s_cmp_lt_i32 s13, s34
	s_cbranch_scc1 .LBB46_8
; %bb.7:
	v_mbcnt_lo_u32_b32 v2, -1, 0
	v_mov_b32_e32 v55, 32
	s_mov_b32 s4, 0
	s_mov_b32 s5, 0xfeffffff
	s_delay_alu instid0(VALU_DEP_2)
	v_xor_b32_e32 v70, 16, v2
	v_xor_b32_e32 v71, 8, v2
	;; [unrolled: 1-line block ×5, first 2 shown]
	s_branch .LBB46_9
.LBB46_8:
	s_mov_b32 s4, -1
                                        ; implicit-def: $sgpr5
                                        ; implicit-def: $vgpr2
                                        ; implicit-def: $vgpr55
                                        ; implicit-def: $vgpr70
                                        ; implicit-def: $vgpr71
                                        ; implicit-def: $vgpr72
                                        ; implicit-def: $vgpr73
                                        ; implicit-def: $vgpr74
.LBB46_9:
	s_delay_alu instid0(SALU_CYCLE_1) | instskip(SKIP_3) | instid1(VALU_DEP_4)
	v_cndmask_b32_e64 v3, 0, 1, s4
	v_dual_mov_b32 v56, s4 :: v_dual_mov_b32 v51, s5
	v_mov_b32_e32 v76, s4
	v_mov_b32_e32 v54, s4
	v_cmp_ne_u32_e32 vcc_lo, 1, v3
	s_cbranch_vccnz .LBB46_22
; %bb.10:
	s_clause 0x1
	s_load_b128 s[4:7], s[0:1], 0x98
	s_load_b64 s[22:23], s[0:1], 0x8c
	s_sub_i32 s8, 0, s33
	v_dual_mov_b32 v69, 0 :: v_dual_add_nc_u32 v0, v41, v0
	s_mul_i32 s8, s8, s38
	s_abs_i32 s39, s15
	s_mul_hi_u32 s8, s38, s8
	s_delay_alu instid0(VALU_DEP_1)
	v_lshrrev_b32_e32 v0, s9, v0
	s_add_i32 s38, s38, s8
	v_dual_mov_b32 v75, 0xfeffffff :: v_dual_lshlrev_b32 v6, 2, v40
	s_mul_hi_u32 s8, s39, s38
	s_ashr_i32 s38, s12, 31
	s_ashr_i32 s40, s15, 31
	;; [unrolled: 1-line block ×3, first 2 shown]
	s_load_b64 s[26:27], s[0:1], 0xa8
	s_ashr_i32 s3, s3, 1
	s_mul_i32 s41, s8, s33
	v_mul_lo_u32 v0, v0, s10
	s_waitcnt lgkmcnt(0)
	s_ashr_i32 s16, s6, 2
	s_mul_i32 s5, s12, s5
	s_mul_hi_u32 s6, s12, s4
	s_ashr_i32 s17, s22, 2
	s_mul_i32 s22, s38, s4
	s_add_i32 s5, s6, s5
	s_mul_i32 s4, s12, s4
	s_add_i32 s5, s5, s22
	s_add_u32 s4, s18, s4
	s_addc_u32 s5, s19, s5
	s_sub_i32 s18, s39, s41
	v_lshrrev_b32_e32 v2, 2, v40
	v_dual_mov_b32 v55, 32 :: v_dual_and_b32 v8, 12, v6
	v_lshrrev_b32_e32 v7, 3, v40
	v_lshrrev_b32_e32 v9, 1, v40
	s_xor_b32 s6, s40, s35
	s_add_i32 s19, s8, 1
	s_sub_i32 s22, s18, s33
	s_cmp_ge_u32 s18, s33
	v_lshl_add_u32 v3, v1, 3, v2
	s_cselect_b32 s8, s19, s8
	s_cselect_b32 s18, s22, s18
	v_lshl_add_u32 v5, v1, 5, v40
	v_lshlrev_b32_e32 v4, 2, v8
	v_lshl_add_u32 v10, v1, 2, v7
	v_lshl_add_u32 v7, v1, 4, v9
	v_sub_nc_u32_e32 v9, v41, v0
	s_add_i32 s19, s8, 1
	s_cmp_ge_u32 s18, s33
	v_mul_lo_u32 v2, s17, v3
	s_cselect_b32 s8, s19, s8
	v_mov_b32_e32 v54, 0
	v_mad_u32_u24 v57, 0x60, v3, v4
	v_mul_lo_u32 v4, s17, v5
	v_mul_lo_u32 v0, s16, v10
	v_and_b32_e32 v62, 4, v6
	v_mad_u64_u32 v[42:43], null, v9, s3, v[40:41]
	v_and_b32_e32 v9, 28, v6
	v_mul_lo_u32 v6, s16, v7
	s_xor_b32 s8, s8, s6
	v_mul_u32_u24_e32 v59, 0xa0, v1
	s_sub_i32 s6, s8, s6
	v_lshl_add_u32 v61, v1, 6, 0xf40
	v_mul_u32_u24_e32 v1, 0xa0, v7
	s_mul_i32 s18, s6, s23
	s_mul_i32 s22, s12, s27
	s_mul_hi_u32 s8, s12, s26
	s_ashr_i32 s19, s18, 31
	s_add_u32 s18, s4, s18
	v_cmp_gt_u32_e32 vcc_lo, 32, v5
	v_ashrrev_i32_e32 v3, 31, v2
	v_mad_u32_u24 v60, 0x60, v5, 64
	v_ashrrev_i32_e32 v5, 31, v4
	v_lshl_or_b32 v11, v62, 2, v1
	v_cmp_gt_u32_e64 s3, 16, v7
	v_ashrrev_i32_e32 v1, 31, v0
	v_ashrrev_i32_e32 v7, 31, v6
	s_mul_i32 s38, s38, s26
	s_addc_u32 s19, s5, s19
	s_add_i32 s4, s8, s22
	v_lshlrev_b32_e32 v12, 2, v9
	s_mul_i32 s5, s12, s26
	s_add_i32 s4, s4, s38
	s_mul_i32 s6, s6, s7
	s_add_u32 s5, s20, s5
	s_addc_u32 s4, s21, s4
	s_ashr_i32 s8, s6, 31
	v_lshlrev_b64 v[43:44], 2, v[4:5]
	v_lshlrev_b64 v[45:46], 2, v[2:3]
	;; [unrolled: 1-line block ×4, first 2 shown]
	s_add_u32 s7, s5, s6
	v_mul_u32_u24_e32 v58, 0x60, v40
	v_lshl_add_u32 v63, v40, 1, v61
	v_lshlrev_b32_e32 v64, 3, v40
	v_dual_mov_b32 v56, 0 :: v_dual_add_nc_u32 v65, 0x80, v11
	v_mad_u32_u24 v66, 0xa0, v10, v12
	v_lshlrev_b32_e32 v67, 2, v8
	v_lshlrev_b32_e32 v68, 2, v9
	s_addc_u32 s20, s4, s8
	s_add_u32 s8, s0, 0xd0
	s_addc_u32 s9, s1, 0
.LBB46_11:                              ; =>This Inner Loop Header: Depth=1
	s_mul_hi_i32 s5, s13, s17
	s_mul_i32 s4, s13, s17
	s_delay_alu instid0(SALU_CYCLE_1) | instskip(NEXT) | instid1(SALU_CYCLE_1)
	s_lshl_b64 s[22:23], s[4:5], 2
	s_add_u32 s5, s18, s22
	s_addc_u32 s6, s19, s23
	s_and_saveexec_b32 s21, vcc_lo
	s_cbranch_execz .LBB46_13
; %bb.12:                               ;   in Loop: Header=BB46_11 Depth=1
	v_add_co_u32 v0, s4, s5, v43
	s_delay_alu instid0(VALU_DEP_1)
	v_add_co_ci_u32_e64 v1, s4, s6, v44, s4
	global_load_b128 v[0:3], v[0:1], off offset:64
	s_waitcnt vmcnt(0)
	ds_store_b128 v60, v[0:3]
.LBB46_13:                              ;   in Loop: Header=BB46_11 Depth=1
	s_or_b32 exec_lo, exec_lo, s21
	v_add_co_u32 v0, s4, s5, v45
	s_delay_alu instid0(VALU_DEP_1) | instskip(NEXT) | instid1(VALU_DEP_2)
	v_add_co_ci_u32_e64 v1, s4, s6, v46, s4
	v_add_co_u32 v0, s4, v0, v67
	s_delay_alu instid0(VALU_DEP_1)
	v_add_co_ci_u32_e64 v1, s4, 0, v1, s4
	global_load_b128 v[2:5], v[0:1], off
	s_waitcnt vmcnt(0)
	ds_store_b128 v57, v[2:5]
	s_waitcnt lgkmcnt(0)
	s_barrier
	buffer_gl0_inv
	ds_load_b128 v[3:6], v58
	ds_load_b128 v[7:10], v59 offset:3264
	v_mov_b32_e32 v2, 0
	s_waitcnt lgkmcnt(0)
	;;#ASMSTART
	v_dot2_f32_f16 v2, v3, v7, v2
	;;#ASMEND
	;;#ASMSTART
	v_dot2_f32_f16 v2, v4, v8, v2
	;;#ASMEND
	;;#ASMSTART
	v_dot2_f32_f16 v2, v5, v9, v2
	;;#ASMEND
	;;#ASMSTART
	v_dot2_f32_f16 v2, v6, v10, v2
	;;#ASMEND
	ds_load_b128 v[3:6], v58 offset:16
	ds_load_b128 v[7:10], v59 offset:3280
	s_waitcnt lgkmcnt(0)
	;;#ASMSTART
	v_dot2_f32_f16 v2, v3, v7, v2
	;;#ASMEND
	;;#ASMSTART
	v_dot2_f32_f16 v2, v4, v8, v2
	;;#ASMEND
	;;#ASMSTART
	v_dot2_f32_f16 v2, v5, v9, v2
	;;#ASMEND
	;;#ASMSTART
	v_dot2_f32_f16 v2, v6, v10, v2
	;;#ASMEND
	ds_load_b128 v[3:6], v58 offset:32
	ds_load_b128 v[7:10], v59 offset:3296
	;; [unrolled: 15-line block ×4, first 2 shown]
	s_waitcnt lgkmcnt(0)
	;;#ASMSTART
	v_dot2_f32_f16 v2, v3, v7, v2
	;;#ASMEND
	;;#ASMSTART
	v_dot2_f32_f16 v2, v4, v8, v2
	;;#ASMEND
	;; [unrolled: 3-line block ×4, first 2 shown]
	s_barrier
	buffer_gl0_inv
	s_and_saveexec_b32 s21, vcc_lo
	s_cbranch_execz .LBB46_15
; %bb.14:                               ;   in Loop: Header=BB46_11 Depth=1
	v_add_co_u32 v3, s4, s5, v43
	s_delay_alu instid0(VALU_DEP_1)
	v_add_co_ci_u32_e64 v4, s4, s6, v44, s4
	global_load_b128 v[3:6], v[3:4], off offset:144
	s_waitcnt vmcnt(0)
	ds_store_b128 v60, v[3:6]
.LBB46_15:                              ;   in Loop: Header=BB46_11 Depth=1
	s_or_b32 exec_lo, exec_lo, s21
	global_load_b128 v[3:6], v[0:1], off offset:80
	v_add_nc_u32_e32 v0, s13, v42
	v_xor_b32_e32 v70, 16, v52
	v_xor_b32_e32 v71, 8, v52
	;; [unrolled: 1-line block ×4, first 2 shown]
	v_ashrrev_i32_e32 v1, 31, v0
	v_xor_b32_e32 v74, 1, v52
	s_mul_hi_i32 s5, s13, s16
	v_lshlrev_b32_e32 v79, 2, v62
	s_delay_alu instid0(VALU_DEP_3) | instskip(NEXT) | instid1(VALU_DEP_1)
	v_lshlrev_b64 v[0:1], 1, v[0:1]
	v_add_co_u32 v0, s4, s36, v0
	s_delay_alu instid0(VALU_DEP_1)
	v_add_co_ci_u32_e64 v1, s4, s37, v1, s4
	v_cmp_gt_i32_e64 s4, 32, v70
	s_waitcnt vmcnt(0)
	ds_store_b128 v57, v[3:6]
	s_waitcnt lgkmcnt(0)
	s_barrier
	buffer_gl0_inv
	ds_load_b128 v[3:6], v58
	ds_load_b128 v[7:10], v59 offset:3344
	s_waitcnt lgkmcnt(0)
	;;#ASMSTART
	v_dot2_f32_f16 v2, v3, v7, v2
	;;#ASMEND
	;;#ASMSTART
	v_dot2_f32_f16 v2, v4, v8, v2
	;;#ASMEND
	;;#ASMSTART
	v_dot2_f32_f16 v2, v5, v9, v2
	;;#ASMEND
	;;#ASMSTART
	v_dot2_f32_f16 v2, v6, v10, v2
	;;#ASMEND
	ds_load_b128 v[3:6], v58 offset:16
	ds_load_b128 v[7:10], v59 offset:3360
	s_waitcnt lgkmcnt(0)
	;;#ASMSTART
	v_dot2_f32_f16 v2, v3, v7, v2
	;;#ASMEND
	;;#ASMSTART
	v_dot2_f32_f16 v2, v4, v8, v2
	;;#ASMEND
	;;#ASMSTART
	v_dot2_f32_f16 v2, v5, v9, v2
	;;#ASMEND
	;;#ASMSTART
	v_dot2_f32_f16 v2, v6, v10, v2
	;;#ASMEND
	ds_load_b128 v[3:6], v58 offset:32
	;; [unrolled: 15-line block ×4, first 2 shown]
	ds_load_b128 v[7:10], v59 offset:3408
	s_waitcnt lgkmcnt(0)
	;;#ASMSTART
	v_dot2_f32_f16 v2, v3, v7, v2
	;;#ASMEND
	;;#ASMSTART
	v_dot2_f32_f16 v2, v4, v8, v2
	;;#ASMEND
	;;#ASMSTART
	v_dot2_f32_f16 v2, v5, v9, v2
	;;#ASMEND
	;;#ASMSTART
	v_dot2_f32_f16 v2, v6, v10, v2
	;;#ASMEND
	flat_load_u16 v0, v[0:1]
	v_max_f32_e32 v1, v75, v75
	s_waitcnt vmcnt(0) lgkmcnt(0)
	s_barrier
	buffer_gl0_inv
	v_cvt_f32_f16_e32 v0, v0
	s_delay_alu instid0(VALU_DEP_1) | instskip(SKIP_2) | instid1(VALU_DEP_2)
	v_add_f32_e32 v0, v2, v0
	v_cndmask_b32_e64 v2, v52, v70, s4
	v_cmp_gt_i32_e64 s4, 32, v71
	v_dual_add_f32 v3, 0x40051340, v0 :: v_dual_lshlrev_b32 v2, 2, v2
	s_delay_alu instid0(VALU_DEP_1) | instskip(NEXT) | instid1(VALU_DEP_3)
	v_max_f32_e32 v1, v1, v3
	v_cndmask_b32_e64 v3, v52, v71, s4
	v_cmp_gt_i32_e64 s4, 32, v72
	ds_bpermute_b32 v2, v2, v1
	s_waitcnt lgkmcnt(0)
	v_dual_max_f32 v2, v2, v2 :: v_dual_lshlrev_b32 v3, 2, v3
	s_delay_alu instid0(VALU_DEP_1) | instskip(SKIP_4) | instid1(VALU_DEP_2)
	v_max_f32_e32 v1, v1, v2
	ds_bpermute_b32 v2, v3, v1
	v_cndmask_b32_e64 v3, v52, v72, s4
	v_cmp_gt_i32_e64 s4, 32, v73
	s_waitcnt lgkmcnt(0)
	v_dual_max_f32 v2, v2, v2 :: v_dual_lshlrev_b32 v3, 2, v3
	s_delay_alu instid0(VALU_DEP_1) | instskip(SKIP_4) | instid1(VALU_DEP_2)
	v_max_f32_e32 v1, v1, v2
	ds_bpermute_b32 v2, v3, v1
	v_cndmask_b32_e64 v3, v52, v73, s4
	v_cmp_gt_i32_e64 s4, 32, v74
	s_waitcnt lgkmcnt(0)
	v_dual_max_f32 v2, v2, v2 :: v_dual_lshlrev_b32 v3, 2, v3
	s_delay_alu instid0(VALU_DEP_1) | instskip(SKIP_3) | instid1(VALU_DEP_1)
	v_max_f32_e32 v1, v1, v2
	ds_bpermute_b32 v2, v3, v1
	v_cndmask_b32_e64 v3, v52, v74, s4
	s_waitcnt lgkmcnt(0)
	v_dual_max_f32 v2, v2, v2 :: v_dual_lshlrev_b32 v3, 2, v3
	s_delay_alu instid0(VALU_DEP_1) | instskip(SKIP_3) | instid1(VALU_DEP_1)
	v_max_f32_e32 v1, v1, v2
	ds_bpermute_b32 v2, v3, v1
	s_waitcnt lgkmcnt(0)
	v_max_f32_e32 v2, v2, v2
	v_max_f32_e32 v51, v1, v2
	s_delay_alu instid0(VALU_DEP_1) | instskip(NEXT) | instid1(VALU_DEP_1)
	v_sub_f32_e32 v0, v0, v51
	v_mul_f32_e32 v1, 0x3fb8aa3b, v0
	v_cmp_ngt_f32_e64 s4, 0xc2ce8ed0, v0
	s_delay_alu instid0(VALU_DEP_2) | instskip(SKIP_1) | instid1(VALU_DEP_1)
	v_fma_f32 v2, 0x3fb8aa3b, v0, -v1
	v_rndne_f32_e32 v3, v1
	v_dual_fmac_f32 v2, 0x32a5705f, v0 :: v_dual_sub_f32 v1, v1, v3
	s_delay_alu instid0(VALU_DEP_1) | instskip(SKIP_1) | instid1(VALU_DEP_2)
	v_add_f32_e32 v1, v1, v2
	v_cvt_i32_f32_e32 v2, v3
	v_exp_f32_e32 v1, v1
	s_waitcnt_depctr 0xfff
	v_ldexp_f32 v1, v1, v2
	s_delay_alu instid0(VALU_DEP_1) | instskip(SKIP_1) | instid1(VALU_DEP_1)
	v_cndmask_b32_e64 v1, 0, v1, s4
	v_cmp_nlt_f32_e64 s4, 0x42b17218, v0
	v_cndmask_b32_e64 v76, 0x7f800000, v1, s4
	s_mul_i32 s4, s13, s16
	s_delay_alu instid0(SALU_CYCLE_1) | instskip(NEXT) | instid1(VALU_DEP_1)
	s_lshl_b64 s[22:23], s[4:5], 2
	v_cvt_f16_f32_e32 v0, v76
	s_add_u32 s5, s7, s22
	s_addc_u32 s6, s20, s23
	ds_store_b16 v63, v0
	s_and_saveexec_b32 s21, s3
	s_cbranch_execz .LBB46_17
; %bb.16:                               ;   in Loop: Header=BB46_11 Depth=1
	v_add_co_u32 v0, s4, s5, v47
	s_delay_alu instid0(VALU_DEP_1) | instskip(NEXT) | instid1(VALU_DEP_2)
	v_add_co_ci_u32_e64 v1, s4, s6, v48, s4
	v_add_co_u32 v0, s4, v0, v79
	s_delay_alu instid0(VALU_DEP_1)
	v_add_co_ci_u32_e64 v1, s4, 0, v1, s4
	global_load_b128 v[0:3], v[0:1], off offset:128
	s_waitcnt vmcnt(0)
	ds_store_b128 v65, v[0:3]
.LBB46_17:                              ;   in Loop: Header=BB46_11 Depth=1
	s_or_b32 exec_lo, exec_lo, s21
	v_add_co_u32 v0, s4, s5, v49
	s_delay_alu instid0(VALU_DEP_1) | instskip(SKIP_1) | instid1(VALU_DEP_3)
	v_add_co_ci_u32_e64 v1, s4, s6, v50, s4
	v_dual_sub_f32 v75, v75, v51 :: v_dual_add_nc_u32 v78, 0x400, v64
	v_add_co_u32 v0, s4, v0, v68
	s_delay_alu instid0(VALU_DEP_1)
	v_add_co_ci_u32_e64 v1, s4, 0, v1, s4
	v_add_nc_u32_e32 v77, 0x800, v64
	s_or_b32 s6, s13, 16
	v_cmp_ngt_f32_e64 s4, 0xc2ce8ed0, v75
	global_load_b128 v[0:3], v[0:1], off
	s_mul_hi_i32 s23, s6, s16
	s_mul_i32 s22, s6, s16
	v_cmp_nlt_f32_e64 s5, 0x42b17218, v75
	s_lshl_b64 s[22:23], s[22:23], 2
	s_delay_alu instid0(SALU_CYCLE_1)
	s_add_u32 s21, s7, s22
	s_addc_u32 s22, s20, s23
	s_waitcnt vmcnt(0)
	ds_store_b128 v66, v[0:3]
	s_waitcnt lgkmcnt(0)
	s_barrier
	buffer_gl0_inv
	ds_load_2addr_b64 v[36:39], v64 offset1:20
	ds_load_b128 v[16:19], v61
	ds_load_b128 v[0:3], v61 offset:16
	ds_load_2addr_b64 v[32:35], v64 offset0:40 offset1:60
	ds_load_2addr_b64 v[28:31], v64 offset0:80 offset1:100
	ds_load_2addr_b64 v[24:27], v64 offset0:120 offset1:140
	ds_load_2addr_b64 v[20:23], v64 offset0:160 offset1:180
	ds_load_2addr_b64 v[12:15], v64 offset0:200 offset1:220
	ds_load_2addr_b64 v[8:11], v78 offset0:112 offset1:132
	ds_load_2addr_b64 v[4:7], v77 offset0:24 offset1:44
	s_waitcnt lgkmcnt(0)
	s_barrier
	buffer_gl0_inv
	s_and_saveexec_b32 s23, s3
	s_cbranch_execz .LBB46_19
; %bb.18:                               ;   in Loop: Header=BB46_11 Depth=1
	v_add_co_u32 v80, s6, s21, v47
	s_delay_alu instid0(VALU_DEP_1) | instskip(NEXT) | instid1(VALU_DEP_2)
	v_add_co_ci_u32_e64 v81, s6, s22, v48, s6
	v_add_co_u32 v79, s6, v80, v79
	s_delay_alu instid0(VALU_DEP_1)
	v_add_co_ci_u32_e64 v80, s6, 0, v81, s6
	global_load_b128 v[79:82], v[79:80], off offset:128
	s_waitcnt vmcnt(0)
	ds_store_b128 v65, v[79:82]
.LBB46_19:                              ;   in Loop: Header=BB46_11 Depth=1
	s_or_b32 exec_lo, exec_lo, s23
	v_add_co_u32 v79, s6, s21, v49
	s_delay_alu instid0(VALU_DEP_1) | instskip(SKIP_1) | instid1(VALU_DEP_3)
	v_add_co_ci_u32_e64 v80, s6, s22, v50, s6
	v_mul_f32_e32 v83, 0x3fb8aa3b, v75
	v_add_co_u32 v79, s6, v79, v68
	s_delay_alu instid0(VALU_DEP_1) | instskip(NEXT) | instid1(VALU_DEP_3)
	v_add_co_ci_u32_e64 v80, s6, 0, v80, s6
	v_fma_f32 v84, 0x3fb8aa3b, v75, -v83
	v_rndne_f32_e32 v85, v83
	v_pk_mul_f16 v36, v36, v16 op_sel_hi:[1,0]
	global_load_b128 v[79:82], v[79:80], off
	v_pk_mul_f16 v37, v37, v16 op_sel_hi:[1,0]
	v_dual_fmac_f32 v84, 0x32a5705f, v75 :: v_dual_sub_f32 v75, v83, v85
	v_cvt_i32_f32_e32 v83, v85
	s_delay_alu instid0(VALU_DEP_2) | instskip(NEXT) | instid1(VALU_DEP_1)
	v_add_f32_e32 v75, v75, v84
	v_exp_f32_e32 v75, v75
	s_waitcnt_depctr 0xfff
	v_ldexp_f32 v75, v75, v83
	s_delay_alu instid0(VALU_DEP_1) | instskip(NEXT) | instid1(VALU_DEP_1)
	v_cndmask_b32_e64 v75, 0, v75, s4
	v_cndmask_b32_e64 v75, 0x7f800000, v75, s5
	s_delay_alu instid0(VALU_DEP_1) | instskip(SKIP_1) | instid1(VALU_DEP_2)
	v_cvt_f16_f32_e32 v83, v75
	v_fmac_f32_e32 v76, v69, v75
	v_pk_fma_f16 v36, v54, v83, v36 op_sel_hi:[1,0,1]
	v_pk_fma_f16 v37, v56, v83, v37 op_sel_hi:[1,0,1]
	s_delay_alu instid0(VALU_DEP_2) | instskip(NEXT) | instid1(VALU_DEP_2)
	v_pk_fma_f16 v36, v38, v16, v36 op_sel:[0,1,0]
	v_pk_fma_f16 v16, v39, v16, v37 op_sel:[0,1,0]
	s_delay_alu instid0(VALU_DEP_2) | instskip(NEXT) | instid1(VALU_DEP_2)
	v_pk_fma_f16 v32, v32, v17, v36 op_sel_hi:[1,0,1]
	v_pk_fma_f16 v16, v33, v17, v16 op_sel_hi:[1,0,1]
	s_delay_alu instid0(VALU_DEP_2) | instskip(NEXT) | instid1(VALU_DEP_2)
	v_pk_fma_f16 v32, v34, v17, v32 op_sel:[0,1,0]
	v_pk_fma_f16 v16, v35, v17, v16 op_sel:[0,1,0]
	s_delay_alu instid0(VALU_DEP_2) | instskip(NEXT) | instid1(VALU_DEP_2)
	;; [unrolled: 6-line block ×7, first 2 shown]
	v_pk_fma_f16 v1, v4, v3, v1 op_sel_hi:[1,0,1]
	v_pk_fma_f16 v0, v5, v3, v0 op_sel_hi:[1,0,1]
	s_delay_alu instid0(VALU_DEP_2) | instskip(NEXT) | instid1(VALU_DEP_2)
	v_pk_fma_f16 v20, v6, v3, v1 op_sel:[0,1,0]
	v_pk_fma_f16 v21, v7, v3, v0 op_sel:[0,1,0]
	s_waitcnt vmcnt(0)
	ds_store_b128 v66, v[79:82]
	s_waitcnt lgkmcnt(0)
	s_barrier
	buffer_gl0_inv
	ds_load_2addr_b64 v[12:15], v64 offset1:20
	ds_load_b128 v[16:19], v61 offset:32
	ds_load_2addr_b64 v[8:11], v64 offset0:40 offset1:60
	ds_load_b128 v[0:3], v61 offset:48
	ds_load_2addr_b64 v[4:7], v64 offset0:80 offset1:100
	s_waitcnt lgkmcnt(3)
	v_pk_fma_f16 v12, v12, v16, v20 op_sel_hi:[1,0,1]
	v_pk_fma_f16 v13, v13, v16, v21 op_sel_hi:[1,0,1]
	s_delay_alu instid0(VALU_DEP_2) | instskip(NEXT) | instid1(VALU_DEP_2)
	v_pk_fma_f16 v20, v14, v16, v12 op_sel:[0,1,0]
	v_pk_fma_f16 v16, v15, v16, v13 op_sel:[0,1,0]
	ds_load_2addr_b64 v[12:15], v64 offset0:120 offset1:140
	s_waitcnt lgkmcnt(3)
	v_pk_fma_f16 v8, v8, v17, v20 op_sel_hi:[1,0,1]
	v_pk_fma_f16 v9, v9, v17, v16 op_sel_hi:[1,0,1]
	s_delay_alu instid0(VALU_DEP_2) | instskip(NEXT) | instid1(VALU_DEP_2)
	v_pk_fma_f16 v16, v10, v17, v8 op_sel:[0,1,0]
	v_pk_fma_f16 v17, v11, v17, v9 op_sel:[0,1,0]
	;; [unrolled: 7-line block ×5, first 2 shown]
	ds_load_2addr_b64 v[8:11], v77 offset0:24 offset1:44
	s_waitcnt lgkmcnt(0)
	s_barrier
	v_pk_fma_f16 v4, v4, v1, v16 op_sel_hi:[1,0,1]
	v_pk_fma_f16 v0, v5, v1, v0 op_sel_hi:[1,0,1]
	buffer_gl0_inv
	s_load_b32 s4, s[8:9], 0x4
	v_pk_fma_f16 v4, v6, v1, v4 op_sel:[0,1,0]
	v_pk_fma_f16 v0, v7, v1, v0 op_sel:[0,1,0]
	s_delay_alu instid0(VALU_DEP_2) | instskip(NEXT) | instid1(VALU_DEP_2)
	v_pk_fma_f16 v1, v12, v2, v4 op_sel_hi:[1,0,1]
	v_pk_fma_f16 v0, v13, v2, v0 op_sel_hi:[1,0,1]
	s_delay_alu instid0(VALU_DEP_2) | instskip(NEXT) | instid1(VALU_DEP_2)
	v_pk_fma_f16 v1, v14, v2, v1 op_sel:[0,1,0]
	v_pk_fma_f16 v0, v15, v2, v0 op_sel:[0,1,0]
	s_delay_alu instid0(VALU_DEP_2) | instskip(NEXT) | instid1(VALU_DEP_2)
	v_pk_fma_f16 v1, v8, v3, v1 op_sel_hi:[1,0,1]
	v_pk_fma_f16 v0, v9, v3, v0 op_sel_hi:[1,0,1]
	s_waitcnt lgkmcnt(0)
	s_lshl_b32 s4, s4, 5
	s_delay_alu instid0(VALU_DEP_2) | instskip(NEXT) | instid1(VALU_DEP_2)
	v_pk_fma_f16 v54, v10, v3, v1 op_sel:[0,1,0]
	v_pk_fma_f16 v56, v11, v3, v0 op_sel:[0,1,0]
	s_add_i32 s13, s4, s13
	s_delay_alu instid0(SALU_CYCLE_1)
	s_cmp_lt_i32 s13, s34
	s_cbranch_scc0 .LBB46_21
; %bb.20:                               ;   in Loop: Header=BB46_11 Depth=1
	v_mov_b32_e32 v75, v51
	v_mov_b32_e32 v69, v76
	s_branch .LBB46_11
.LBB46_21:
	v_mov_b32_e32 v2, v52
.LBB46_22:
	v_cmp_lt_i32_e32 vcc_lo, v70, v55
	s_cmp_eq_u64 s[24:25], 0
	s_cselect_b32 s3, -1, 0
	s_cmp_lg_u32 s14, 0
	v_cndmask_b32_e32 v0, v2, v70, vcc_lo
	v_cmp_lt_i32_e32 vcc_lo, v71, v55
	s_cselect_b32 s4, -1, 0
	s_delay_alu instid0(SALU_CYCLE_1) | instskip(SKIP_2) | instid1(VALU_DEP_2)
	s_or_b32 s3, s4, s3
	v_cndmask_b32_e32 v1, v2, v71, vcc_lo
	v_cmp_lt_i32_e32 vcc_lo, v72, v55
	v_lshlrev_b32_e32 v1, 2, v1
	v_cndmask_b32_e32 v3, v2, v72, vcc_lo
	v_cmp_lt_i32_e32 vcc_lo, v73, v55
	v_lshlrev_b32_e32 v0, 2, v0
	ds_bpermute_b32 v0, v0, v76
	s_waitcnt lgkmcnt(0)
	v_add_f32_e32 v0, v76, v0
	ds_bpermute_b32 v1, v1, v0
	s_waitcnt lgkmcnt(0)
	v_dual_add_f32 v0, v0, v1 :: v_dual_lshlrev_b32 v3, 2, v3
	ds_bpermute_b32 v1, v3, v0
	v_cndmask_b32_e32 v3, v2, v73, vcc_lo
	v_cmp_lt_i32_e32 vcc_lo, v74, v55
	s_delay_alu instid0(VALU_DEP_2) | instskip(SKIP_1) | instid1(VALU_DEP_1)
	v_dual_cndmask_b32 v2, v2, v74 :: v_dual_lshlrev_b32 v3, 2, v3
	s_and_b32 vcc_lo, exec_lo, s3
	v_lshlrev_b32_e32 v2, 2, v2
	s_waitcnt lgkmcnt(0)
	v_add_f32_e32 v0, v0, v1
	ds_bpermute_b32 v1, v3, v0
	s_waitcnt lgkmcnt(0)
	v_add_f32_e32 v0, v0, v1
	ds_bpermute_b32 v1, v2, v0
	s_waitcnt lgkmcnt(0)
	v_add_f32_e32 v52, v0, v1
	s_cbranch_vccnz .LBB46_24
; %bb.23:
	v_add_nc_u32_e32 v0, s15, v53
	s_delay_alu instid0(VALU_DEP_1) | instskip(NEXT) | instid1(VALU_DEP_1)
	v_ashrrev_i32_e32 v1, 31, v0
	v_lshlrev_b64 v[0:1], 2, v[0:1]
	s_delay_alu instid0(VALU_DEP_1) | instskip(NEXT) | instid1(VALU_DEP_2)
	v_add_co_u32 v0, vcc_lo, s24, v0
	v_add_co_ci_u32_e32 v1, vcc_lo, s25, v1, vcc_lo
	global_load_b32 v0, v[0:1], off
	s_waitcnt vmcnt(0)
	v_dual_max_f32 v1, v51, v51 :: v_dual_max_f32 v2, v0, v0
	s_delay_alu instid0(VALU_DEP_1) | instskip(NEXT) | instid1(VALU_DEP_1)
	v_max_f32_e32 v1, v1, v2
	v_sub_f32_e32 v0, v0, v1
	s_delay_alu instid0(VALU_DEP_1) | instskip(NEXT) | instid1(VALU_DEP_1)
	v_mul_f32_e32 v4, 0x3fb8aa3b, v0
	v_fma_f32 v7, 0x3fb8aa3b, v0, -v4
	v_sub_f32_e32 v2, v51, v1
	v_rndne_f32_e32 v8, v4
	v_mov_b32_e32 v51, v1
	s_delay_alu instid0(VALU_DEP_4) | instskip(NEXT) | instid1(VALU_DEP_3)
	v_fmac_f32_e32 v7, 0x32a5705f, v0
	v_dual_mul_f32 v3, 0x3fb8aa3b, v2 :: v_dual_sub_f32 v4, v4, v8
	v_cmp_ngt_f32_e32 vcc_lo, 0xc2ce8ed0, v2
	s_delay_alu instid0(VALU_DEP_2) | instskip(SKIP_1) | instid1(VALU_DEP_2)
	v_fma_f32 v5, 0x3fb8aa3b, v2, -v3
	v_rndne_f32_e32 v6, v3
	v_dual_add_f32 v4, v4, v7 :: v_dual_fmac_f32 v5, 0x32a5705f, v2
	s_delay_alu instid0(VALU_DEP_2) | instskip(NEXT) | instid1(VALU_DEP_2)
	v_sub_f32_e32 v3, v3, v6
	v_exp_f32_e32 v4, v4
	s_delay_alu instid0(VALU_DEP_1) | instskip(SKIP_2) | instid1(VALU_DEP_3)
	v_add_f32_e32 v3, v3, v5
	v_cvt_i32_f32_e32 v5, v6
	v_cvt_i32_f32_e32 v6, v8
	v_exp_f32_e32 v3, v3
	s_waitcnt_depctr 0xfff
	v_ldexp_f32 v4, v4, v6
	v_ldexp_f32 v3, v3, v5
	s_delay_alu instid0(VALU_DEP_1) | instskip(SKIP_1) | instid1(VALU_DEP_4)
	v_cndmask_b32_e32 v3, 0, v3, vcc_lo
	v_cmp_ngt_f32_e32 vcc_lo, 0xc2ce8ed0, v0
	v_cndmask_b32_e32 v4, 0, v4, vcc_lo
	v_cmp_nlt_f32_e32 vcc_lo, 0x42b17218, v2
	s_delay_alu instid0(VALU_DEP_4) | instskip(SKIP_1) | instid1(VALU_DEP_2)
	v_cndmask_b32_e32 v2, 0x7f800000, v3, vcc_lo
	v_cmp_nlt_f32_e32 vcc_lo, 0x42b17218, v0
	v_cvt_f16_f32_e32 v3, v2
	v_cndmask_b32_e32 v0, 0x7f800000, v4, vcc_lo
	s_delay_alu instid0(VALU_DEP_2) | instskip(NEXT) | instid1(VALU_DEP_2)
	v_pk_mul_f16 v54, v3, v54 op_sel_hi:[0,1]
	v_fmac_f32_e32 v0, v52, v2
	v_pk_mul_f16 v56, v3, v56 op_sel_hi:[0,1]
	s_delay_alu instid0(VALU_DEP_2)
	v_mov_b32_e32 v52, v0
.LBB46_24:
	s_mov_b32 s3, exec_lo
	v_cmpx_gt_i32_e64 s10, v41
	s_cbranch_execz .LBB46_29
; %bb.25:
	v_mad_u64_u32 v[0:1], null, s12, s10, v[41:42]
	s_load_b32 s0, s[0:1], 0xd4
	s_delay_alu instid0(VALU_DEP_1) | instskip(NEXT) | instid1(VALU_DEP_1)
	v_mul_lo_u32 v0, v0, s11
	v_add3_u32 v2, s15, v53, v0
	s_waitcnt lgkmcnt(0)
	s_cmp_lg_u32 s0, 1
	s_delay_alu instid0(VALU_DEP_1)
	v_mad_u64_u32 v[0:1], null, s0, v2, s[14:15]
	s_cselect_b32 s0, -1, 0
	s_and_saveexec_b32 s1, s2
	s_cbranch_execz .LBB46_27
; %bb.26:
	v_div_scale_f32 v1, null, v52, v52, 1.0
	v_div_scale_f32 v4, vcc_lo, 1.0, v52, 1.0
	v_lshrrev_b32_e32 v6, 16, v54
	s_delay_alu instid0(VALU_DEP_3) | instskip(SKIP_1) | instid1(VALU_DEP_2)
	v_rcp_f32_e32 v2, v1
	v_cvt_f32_f16_e32 v9, v54
	v_cvt_f32_f16_e32 v8, v6
	s_waitcnt_depctr 0xfff
	v_fma_f32 v3, -v1, v2, 1.0
	s_delay_alu instid0(VALU_DEP_1) | instskip(NEXT) | instid1(VALU_DEP_1)
	v_fmac_f32_e32 v2, v3, v2
	v_mul_f32_e32 v3, v4, v2
	s_delay_alu instid0(VALU_DEP_1) | instskip(NEXT) | instid1(VALU_DEP_1)
	v_fma_f32 v5, -v1, v3, v4
	v_fmac_f32_e32 v3, v5, v2
	s_delay_alu instid0(VALU_DEP_1) | instskip(SKIP_1) | instid1(VALU_DEP_2)
	v_fma_f32 v1, -v1, v3, v4
	v_lshrrev_b32_e32 v4, 16, v56
	v_div_fmas_f32 v1, v1, v2, v3
	v_mul_lo_u32 v3, 0x50, v0
	v_mov_b32_e32 v2, 0
	s_delay_alu instid0(VALU_DEP_4) | instskip(NEXT) | instid1(VALU_DEP_4)
	v_cvt_f32_f16_e32 v4, v4
	v_div_fixup_f32 v5, v1, v52, 1.0
	s_delay_alu instid0(VALU_DEP_4) | instskip(NEXT) | instid1(VALU_DEP_2)
	v_lshl_add_u32 v1, v40, 2, v3
	v_cndmask_b32_e64 v7, v5, 1.0, s0
	v_cvt_f32_f16_e32 v3, v56
	s_delay_alu instid0(VALU_DEP_3) | instskip(NEXT) | instid1(VALU_DEP_3)
	v_lshlrev_b64 v[5:6], 2, v[1:2]
	v_mul_f32_e32 v4, v7, v4
	s_delay_alu instid0(VALU_DEP_3)
	v_mul_f32_e32 v3, v7, v3
	v_mul_f32_e32 v2, v7, v8
	;; [unrolled: 1-line block ×3, first 2 shown]
	v_add_co_u32 v5, vcc_lo, s28, v5
	v_add_co_ci_u32_e32 v6, vcc_lo, s29, v6, vcc_lo
	global_store_b128 v[5:6], v[1:4], off
.LBB46_27:
	s_or_b32 exec_lo, exec_lo, s1
	v_cmp_eq_u32_e32 vcc_lo, 0, v40
	s_and_b32 s0, vcc_lo, s0
	s_delay_alu instid0(SALU_CYCLE_1)
	s_and_b32 exec_lo, exec_lo, s0
	s_cbranch_execz .LBB46_29
; %bb.28:
	v_ashrrev_i32_e32 v1, 31, v0
	s_delay_alu instid0(VALU_DEP_1) | instskip(NEXT) | instid1(VALU_DEP_1)
	v_lshlrev_b64 v[0:1], 3, v[0:1]
	v_add_co_u32 v0, vcc_lo, s30, v0
	s_delay_alu instid0(VALU_DEP_2)
	v_add_co_ci_u32_e32 v1, vcc_lo, s31, v1, vcc_lo
	global_store_b64 v[0:1], v[51:52], off
.LBB46_29:
	s_nop 0
	s_sendmsg sendmsg(MSG_DEALLOC_VGPRS)
	s_endpgm
	.section	.rodata,"a",@progbits
	.p2align	6, 0x0
	.amdhsa_kernel _ZL15flash_attn_tileILi80ELi80ELi2ELi2ELb0EEvPKcS1_S1_S1_S1_PKiPfP15HIP_vector_typeIfLj2EEffffjfiS5_IjLj3EEiiiiiiiiiiiliiliiiiil
		.amdhsa_group_segment_fixed_size 4160
		.amdhsa_private_segment_fixed_size 0
		.amdhsa_kernarg_size 464
		.amdhsa_user_sgpr_count 13
		.amdhsa_user_sgpr_dispatch_ptr 0
		.amdhsa_user_sgpr_queue_ptr 0
		.amdhsa_user_sgpr_kernarg_segment_ptr 1
		.amdhsa_user_sgpr_dispatch_id 0
		.amdhsa_user_sgpr_private_segment_size 0
		.amdhsa_wavefront_size32 1
		.amdhsa_uses_dynamic_stack 0
		.amdhsa_enable_private_segment 0
		.amdhsa_system_sgpr_workgroup_id_x 1
		.amdhsa_system_sgpr_workgroup_id_y 1
		.amdhsa_system_sgpr_workgroup_id_z 1
		.amdhsa_system_sgpr_workgroup_info 0
		.amdhsa_system_vgpr_workitem_id 1
		.amdhsa_next_free_vgpr 86
		.amdhsa_next_free_sgpr 44
		.amdhsa_reserve_vcc 1
		.amdhsa_float_round_mode_32 0
		.amdhsa_float_round_mode_16_64 0
		.amdhsa_float_denorm_mode_32 3
		.amdhsa_float_denorm_mode_16_64 3
		.amdhsa_dx10_clamp 1
		.amdhsa_ieee_mode 1
		.amdhsa_fp16_overflow 0
		.amdhsa_workgroup_processor_mode 1
		.amdhsa_memory_ordered 1
		.amdhsa_forward_progress 0
		.amdhsa_shared_vgpr_count 0
		.amdhsa_exception_fp_ieee_invalid_op 0
		.amdhsa_exception_fp_denorm_src 0
		.amdhsa_exception_fp_ieee_div_zero 0
		.amdhsa_exception_fp_ieee_overflow 0
		.amdhsa_exception_fp_ieee_underflow 0
		.amdhsa_exception_fp_ieee_inexact 0
		.amdhsa_exception_int_div_zero 0
	.end_amdhsa_kernel
	.section	.text._ZL15flash_attn_tileILi80ELi80ELi2ELi2ELb0EEvPKcS1_S1_S1_S1_PKiPfP15HIP_vector_typeIfLj2EEffffjfiS5_IjLj3EEiiiiiiiiiiiliiliiiiil,"axG",@progbits,_ZL15flash_attn_tileILi80ELi80ELi2ELi2ELb0EEvPKcS1_S1_S1_S1_PKiPfP15HIP_vector_typeIfLj2EEffffjfiS5_IjLj3EEiiiiiiiiiiiliiliiiiil,comdat
.Lfunc_end46:
	.size	_ZL15flash_attn_tileILi80ELi80ELi2ELi2ELb0EEvPKcS1_S1_S1_S1_PKiPfP15HIP_vector_typeIfLj2EEffffjfiS5_IjLj3EEiiiiiiiiiiiliiliiiiil, .Lfunc_end46-_ZL15flash_attn_tileILi80ELi80ELi2ELi2ELb0EEvPKcS1_S1_S1_S1_PKiPfP15HIP_vector_typeIfLj2EEffffjfiS5_IjLj3EEiiiiiiiiiiiliiliiiiil
                                        ; -- End function
	.section	.AMDGPU.csdata,"",@progbits
; Kernel info:
; codeLenInByte = 5628
; NumSgprs: 46
; NumVgprs: 86
; ScratchSize: 0
; MemoryBound: 0
; FloatMode: 240
; IeeeMode: 1
; LDSByteSize: 4160 bytes/workgroup (compile time only)
; SGPRBlocks: 5
; VGPRBlocks: 10
; NumSGPRsForWavesPerEU: 46
; NumVGPRsForWavesPerEU: 86
; Occupancy: 16
; WaveLimiterHint : 1
; COMPUTE_PGM_RSRC2:SCRATCH_EN: 0
; COMPUTE_PGM_RSRC2:USER_SGPR: 13
; COMPUTE_PGM_RSRC2:TRAP_HANDLER: 0
; COMPUTE_PGM_RSRC2:TGID_X_EN: 1
; COMPUTE_PGM_RSRC2:TGID_Y_EN: 1
; COMPUTE_PGM_RSRC2:TGID_Z_EN: 1
; COMPUTE_PGM_RSRC2:TIDIG_COMP_CNT: 1
	.section	.text._ZL33flash_attn_stream_k_fixup_uniformILi80ELi2ELi2EEvPfPK15HIP_vector_typeIfLj2EEiiiiiiS1_IjLj3EES5_S5_,"axG",@progbits,_ZL33flash_attn_stream_k_fixup_uniformILi80ELi2ELi2EEvPfPK15HIP_vector_typeIfLj2EEiiiiiiS1_IjLj3EES5_S5_,comdat
	.globl	_ZL33flash_attn_stream_k_fixup_uniformILi80ELi2ELi2EEvPfPK15HIP_vector_typeIfLj2EEiiiiiiS1_IjLj3EES5_S5_ ; -- Begin function _ZL33flash_attn_stream_k_fixup_uniformILi80ELi2ELi2EEvPfPK15HIP_vector_typeIfLj2EEiiiiiiS1_IjLj3EES5_S5_
	.p2align	8
	.type	_ZL33flash_attn_stream_k_fixup_uniformILi80ELi2ELi2EEvPfPK15HIP_vector_typeIfLj2EEiiiiiiS1_IjLj3EES5_S5_,@function
_ZL33flash_attn_stream_k_fixup_uniformILi80ELi2ELi2EEvPfPK15HIP_vector_typeIfLj2EEiiiiiiS1_IjLj3EES5_S5_: ; @_ZL33flash_attn_stream_k_fixup_uniformILi80ELi2ELi2EEvPfPK15HIP_vector_typeIfLj2EEiiiiiiS1_IjLj3EES5_S5_
; %bb.0:
	s_clause 0x1
	s_load_b256 s[4:11], s[0:1], 0x1c
	s_load_b128 s[16:19], s[0:1], 0x3c
	s_waitcnt lgkmcnt(0)
	s_mul_hi_u32 s2, s7, s13
	s_delay_alu instid0(SALU_CYCLE_1) | instskip(NEXT) | instid1(SALU_CYCLE_1)
	s_add_i32 s2, s13, s2
	s_lshr_b32 s2, s2, s8
	s_delay_alu instid0(SALU_CYCLE_1) | instskip(SKIP_2) | instid1(SALU_CYCLE_1)
	s_mul_i32 s3, s2, s9
	s_load_b64 s[8:9], s[0:1], 0x10
	s_sub_i32 s3, s13, s3
	s_mul_hi_u32 s7, s3, s10
	s_delay_alu instid0(SALU_CYCLE_1) | instskip(NEXT) | instid1(SALU_CYCLE_1)
	s_add_i32 s7, s3, s7
	s_lshr_b32 s7, s7, s11
	s_delay_alu instid0(SALU_CYCLE_1) | instskip(NEXT) | instid1(SALU_CYCLE_1)
	s_mul_i32 s10, s7, s16
	s_sub_i32 s3, s3, s10
	s_delay_alu instid0(SALU_CYCLE_1) | instskip(NEXT) | instid1(SALU_CYCLE_1)
	s_mul_hi_u32 s10, s3, s17
	s_add_i32 s10, s3, s10
	s_delay_alu instid0(SALU_CYCLE_1) | instskip(NEXT) | instid1(SALU_CYCLE_1)
	s_lshr_b32 s11, s10, s18
	s_mul_i32 s10, s11, s19
	s_lshl_b32 s11, s11, 1
	s_sub_i32 s10, s3, s10
	s_delay_alu instid0(SALU_CYCLE_1) | instskip(NEXT) | instid1(SALU_CYCLE_1)
	s_lshl_b32 s3, s10, 1
	s_add_i32 s3, s3, s14
	s_waitcnt lgkmcnt(0)
	s_cmp_lt_i32 s3, s8
	s_cselect_b32 s3, -1, 0
	s_add_i32 s11, s11, s15
	s_delay_alu instid0(SALU_CYCLE_1) | instskip(SKIP_1) | instid1(SALU_CYCLE_1)
	s_cmp_lt_i32 s11, s5
	s_cselect_b32 s12, -1, 0
	s_and_b32 s3, s3, s12
	s_delay_alu instid0(SALU_CYCLE_1)
	s_and_not1_b32 vcc_lo, exec_lo, s3
	s_cbranch_vccnz .LBB47_6
; %bb.1:
	s_mul_i32 s8, s2, s8
	s_mul_i32 s7, s7, s5
	s_add_i32 s8, s8, s14
	s_add_i32 s5, s11, s7
	s_mul_i32 s8, s8, s9
	s_load_b128 s[0:3], s[0:1], 0x0
	s_mul_i32 s7, s9, s10
	s_add_i32 s5, s5, s8
	s_mulk_i32 s7, 0xa0
	s_mulk_i32 s5, 0x50
	s_lshl_b32 s9, s14, 1
	v_add3_u32 v1, s5, s7, v0
	s_mul_i32 s5, s13, s6
	s_delay_alu instid0(SALU_CYCLE_1) | instskip(NEXT) | instid1(VALU_DEP_1)
	s_add_i32 s10, s5, s6
	v_ashrrev_i32_e32 v2, 31, v1
	s_delay_alu instid0(VALU_DEP_1) | instskip(SKIP_1) | instid1(VALU_DEP_1)
	v_lshlrev_b64 v[1:2], 2, v[1:2]
	s_waitcnt lgkmcnt(0)
	v_add_co_u32 v1, vcc_lo, s0, v1
	s_delay_alu instid0(VALU_DEP_2) | instskip(SKIP_4) | instid1(SALU_CYCLE_1)
	v_add_co_ci_u32_e32 v2, vcc_lo, s1, v2, vcc_lo
	s_add_i32 s0, s9, s15
	s_lshl_b32 s1, s10, 2
	global_load_b32 v5, v[1:2], off
	s_add_i32 s0, s0, s1
	s_add_i32 s0, s0, -4
	s_delay_alu instid0(SALU_CYCLE_1) | instskip(NEXT) | instid1(SALU_CYCLE_1)
	s_ashr_i32 s1, s0, 31
	s_lshl_b64 s[0:1], s[0:1], 3
	s_delay_alu instid0(SALU_CYCLE_1)
	s_add_u32 s0, s2, s0
	s_addc_u32 s1, s3, s1
	s_add_i32 s7, s10, -2
	s_load_b32 s11, s[0:1], 0x4
	s_cmp_lt_i32 s7, s5
	s_cbranch_scc1 .LBB47_4
; %bb.2:
	s_load_b32 s12, s[0:1], 0x0
	s_lshl_b32 s16, s4, 4
	s_mulk_i32 s14, 0xa0
	s_ashr_i32 s17, s16, 31
	s_waitcnt lgkmcnt(0)
	v_mov_b32_e32 v6, s11
	s_lshl_b64 s[0:1], s[16:17], 2
	s_delay_alu instid0(SALU_CYCLE_1)
	s_add_u32 s7, s2, s0
	s_addc_u32 s8, s3, s1
	s_add_i32 s13, s13, 1
	s_lshl_b32 s4, s4, 2
	s_mul_i32 s0, s6, s13
	s_mul_i32 s6, s15, 0x50
	s_lshl_b32 s1, s0, 2
	s_mulk_i32 s0, 0x140
	s_add_i32 s6, s6, s14
	s_add_i32 s1, s15, s1
	;; [unrolled: 1-line block ×4, first 2 shown]
	v_add3_u32 v3, s6, v0, 0xfffffd80
	v_mov_b32_e32 v0, s12
	s_add_i32 s0, s0, s9
	s_add_i32 s4, s10, -1
	s_add_i32 s0, s0, -8
.LBB47_3:                               ; =>This Inner Loop Header: Depth=1
	s_delay_alu instid0(VALU_DEP_2) | instskip(SKIP_1) | instid1(SALU_CYCLE_1)
	v_ashrrev_i32_e32 v4, 31, v3
	s_ashr_i32 s1, s0, 31
	s_lshl_b64 s[10:11], s[0:1], 3
	s_delay_alu instid0(SALU_CYCLE_1) | instskip(NEXT) | instid1(VALU_DEP_1)
	s_add_u32 s10, s2, s10
	v_lshlrev_b64 v[7:8], 2, v[3:4]
	s_addc_u32 s11, s3, s11
	s_add_i32 s4, s4, -1
	s_add_i32 s0, s0, -4
	s_cmp_le_i32 s4, s5
	s_load_b64 s[10:11], s[10:11], 0x0
	v_add_co_u32 v7, vcc_lo, s7, v7
	v_add_co_ci_u32_e32 v8, vcc_lo, s8, v8, vcc_lo
	global_load_b32 v4, v[7:8], off
	v_max_f32_e32 v7, v0, v0
	s_waitcnt lgkmcnt(0)
	v_max_f32_e64 v8, s10, s10
	s_delay_alu instid0(VALU_DEP_1) | instskip(NEXT) | instid1(VALU_DEP_1)
	v_max_f32_e32 v7, v7, v8
	v_sub_f32_e32 v8, s10, v7
	s_delay_alu instid0(VALU_DEP_1) | instskip(NEXT) | instid1(VALU_DEP_1)
	v_dual_sub_f32 v0, v0, v7 :: v_dual_mul_f32 v9, 0x3fb8aa3b, v8
	v_fma_f32 v10, 0x3fb8aa3b, v8, -v9
	v_rndne_f32_e32 v11, v9
	s_delay_alu instid0(VALU_DEP_3) | instskip(NEXT) | instid1(VALU_DEP_2)
	v_mul_f32_e32 v12, 0x3fb8aa3b, v0
	v_dual_fmac_f32 v10, 0x32a5705f, v8 :: v_dual_sub_f32 v9, v9, v11
	v_cvt_i32_f32_e32 v11, v11
	s_delay_alu instid0(VALU_DEP_3) | instskip(SKIP_1) | instid1(VALU_DEP_4)
	v_fma_f32 v13, 0x3fb8aa3b, v0, -v12
	v_rndne_f32_e32 v14, v12
	v_add_f32_e32 v9, v9, v10
	v_cmp_ngt_f32_e32 vcc_lo, 0xc2ce8ed0, v8
	s_delay_alu instid0(VALU_DEP_3) | instskip(NEXT) | instid1(VALU_DEP_3)
	v_sub_f32_e32 v10, v12, v14
	v_exp_f32_e32 v9, v9
	s_waitcnt_depctr 0xfff
	v_ldexp_f32 v9, v9, v11
	v_cvt_i32_f32_e32 v11, v14
	s_delay_alu instid0(VALU_DEP_2) | instskip(SKIP_1) | instid1(VALU_DEP_2)
	v_cndmask_b32_e32 v9, 0, v9, vcc_lo
	v_cmp_nlt_f32_e32 vcc_lo, 0x42b17218, v8
	v_cndmask_b32_e32 v9, 0x7f800000, v9, vcc_lo
	v_cmp_ngt_f32_e32 vcc_lo, 0xc2ce8ed0, v0
	v_fmac_f32_e32 v13, 0x32a5705f, v0
	s_delay_alu instid0(VALU_DEP_1) | instskip(NEXT) | instid1(VALU_DEP_1)
	v_add_f32_e32 v10, v10, v13
	v_exp_f32_e32 v10, v10
	s_waitcnt_depctr 0xfff
	v_ldexp_f32 v10, v10, v11
	s_delay_alu instid0(VALU_DEP_1)
	v_dual_mov_b32 v11, v6 :: v_dual_cndmask_b32 v10, 0, v10
	v_cmp_le_f32_e32 vcc_lo, 0xc1a00000, v8
	s_waitcnt vmcnt(1)
	v_dual_cndmask_b32 v8, 0, v9 :: v_dual_mov_b32 v9, v5
	v_cmp_nlt_f32_e32 vcc_lo, 0x42b17218, v0
	v_cndmask_b32_e32 v5, 0x7f800000, v10, vcc_lo
	s_delay_alu instid0(VALU_DEP_3) | instskip(SKIP_2) | instid1(VALU_DEP_3)
	v_mul_f32_e32 v10, s11, v8
	v_cmp_le_f32_e32 vcc_lo, 0xc1a00000, v0
	v_mov_b32_e32 v0, v7
	v_mov_b32_e32 v6, v10
	s_waitcnt vmcnt(0)
	v_dual_cndmask_b32 v12, 0, v5 :: v_dual_mul_f32 v5, v4, v8
	s_delay_alu instid0(VALU_DEP_1) | instskip(NEXT) | instid1(VALU_DEP_2)
	v_dual_fmac_f32 v6, v11, v12 :: v_dual_add_nc_u32 v3, 0xfffffec0, v3
	v_fmac_f32_e32 v5, v9, v12
	s_cbranch_scc0 .LBB47_3
	s_branch .LBB47_5
.LBB47_4:
	s_waitcnt lgkmcnt(0)
	v_mov_b32_e32 v6, s11
.LBB47_5:
	s_waitcnt vmcnt(0)
	s_delay_alu instid0(VALU_DEP_1) | instskip(NEXT) | instid1(VALU_DEP_1)
	v_div_scale_f32 v0, null, v6, v6, v5
	v_rcp_f32_e32 v3, v0
	s_waitcnt_depctr 0xfff
	v_fma_f32 v4, -v0, v3, 1.0
	s_delay_alu instid0(VALU_DEP_1) | instskip(SKIP_1) | instid1(VALU_DEP_1)
	v_fmac_f32_e32 v3, v4, v3
	v_div_scale_f32 v4, vcc_lo, v5, v6, v5
	v_mul_f32_e32 v7, v4, v3
	s_delay_alu instid0(VALU_DEP_1) | instskip(NEXT) | instid1(VALU_DEP_1)
	v_fma_f32 v8, -v0, v7, v4
	v_fmac_f32_e32 v7, v8, v3
	s_delay_alu instid0(VALU_DEP_1) | instskip(NEXT) | instid1(VALU_DEP_1)
	v_fma_f32 v0, -v0, v7, v4
	v_div_fmas_f32 v0, v0, v3, v7
	s_delay_alu instid0(VALU_DEP_1)
	v_div_fixup_f32 v0, v0, v6, v5
	global_store_b32 v[1:2], v0, off
.LBB47_6:
	s_nop 0
	s_sendmsg sendmsg(MSG_DEALLOC_VGPRS)
	s_endpgm
	.section	.rodata,"a",@progbits
	.p2align	6, 0x0
	.amdhsa_kernel _ZL33flash_attn_stream_k_fixup_uniformILi80ELi2ELi2EEvPfPK15HIP_vector_typeIfLj2EEiiiiiiS1_IjLj3EES5_S5_
		.amdhsa_group_segment_fixed_size 0
		.amdhsa_private_segment_fixed_size 0
		.amdhsa_kernarg_size 76
		.amdhsa_user_sgpr_count 13
		.amdhsa_user_sgpr_dispatch_ptr 0
		.amdhsa_user_sgpr_queue_ptr 0
		.amdhsa_user_sgpr_kernarg_segment_ptr 1
		.amdhsa_user_sgpr_dispatch_id 0
		.amdhsa_user_sgpr_private_segment_size 0
		.amdhsa_wavefront_size32 1
		.amdhsa_uses_dynamic_stack 0
		.amdhsa_enable_private_segment 0
		.amdhsa_system_sgpr_workgroup_id_x 1
		.amdhsa_system_sgpr_workgroup_id_y 1
		.amdhsa_system_sgpr_workgroup_id_z 1
		.amdhsa_system_sgpr_workgroup_info 0
		.amdhsa_system_vgpr_workitem_id 0
		.amdhsa_next_free_vgpr 15
		.amdhsa_next_free_sgpr 20
		.amdhsa_reserve_vcc 1
		.amdhsa_float_round_mode_32 0
		.amdhsa_float_round_mode_16_64 0
		.amdhsa_float_denorm_mode_32 3
		.amdhsa_float_denorm_mode_16_64 3
		.amdhsa_dx10_clamp 1
		.amdhsa_ieee_mode 1
		.amdhsa_fp16_overflow 0
		.amdhsa_workgroup_processor_mode 1
		.amdhsa_memory_ordered 1
		.amdhsa_forward_progress 0
		.amdhsa_shared_vgpr_count 0
		.amdhsa_exception_fp_ieee_invalid_op 0
		.amdhsa_exception_fp_denorm_src 0
		.amdhsa_exception_fp_ieee_div_zero 0
		.amdhsa_exception_fp_ieee_overflow 0
		.amdhsa_exception_fp_ieee_underflow 0
		.amdhsa_exception_fp_ieee_inexact 0
		.amdhsa_exception_int_div_zero 0
	.end_amdhsa_kernel
	.section	.text._ZL33flash_attn_stream_k_fixup_uniformILi80ELi2ELi2EEvPfPK15HIP_vector_typeIfLj2EEiiiiiiS1_IjLj3EES5_S5_,"axG",@progbits,_ZL33flash_attn_stream_k_fixup_uniformILi80ELi2ELi2EEvPfPK15HIP_vector_typeIfLj2EEiiiiiiS1_IjLj3EES5_S5_,comdat
.Lfunc_end47:
	.size	_ZL33flash_attn_stream_k_fixup_uniformILi80ELi2ELi2EEvPfPK15HIP_vector_typeIfLj2EEiiiiiiS1_IjLj3EES5_S5_, .Lfunc_end47-_ZL33flash_attn_stream_k_fixup_uniformILi80ELi2ELi2EEvPfPK15HIP_vector_typeIfLj2EEiiiiiiS1_IjLj3EES5_S5_
                                        ; -- End function
	.section	.AMDGPU.csdata,"",@progbits
; Kernel info:
; codeLenInByte = 992
; NumSgprs: 22
; NumVgprs: 15
; ScratchSize: 0
; MemoryBound: 0
; FloatMode: 240
; IeeeMode: 1
; LDSByteSize: 0 bytes/workgroup (compile time only)
; SGPRBlocks: 2
; VGPRBlocks: 1
; NumSGPRsForWavesPerEU: 22
; NumVGPRsForWavesPerEU: 15
; Occupancy: 16
; WaveLimiterHint : 0
; COMPUTE_PGM_RSRC2:SCRATCH_EN: 0
; COMPUTE_PGM_RSRC2:USER_SGPR: 13
; COMPUTE_PGM_RSRC2:TRAP_HANDLER: 0
; COMPUTE_PGM_RSRC2:TGID_X_EN: 1
; COMPUTE_PGM_RSRC2:TGID_Y_EN: 1
; COMPUTE_PGM_RSRC2:TGID_Z_EN: 1
; COMPUTE_PGM_RSRC2:TIDIG_COMP_CNT: 0
	.section	.text._ZL33flash_attn_stream_k_fixup_generalILi80ELi2ELi2EEvPfPK15HIP_vector_typeIfLj2EEiiiiS1_IjLj3EES5_S5_S5_,"axG",@progbits,_ZL33flash_attn_stream_k_fixup_generalILi80ELi2ELi2EEvPfPK15HIP_vector_typeIfLj2EEiiiiS1_IjLj3EES5_S5_S5_,comdat
	.globl	_ZL33flash_attn_stream_k_fixup_generalILi80ELi2ELi2EEvPfPK15HIP_vector_typeIfLj2EEiiiiS1_IjLj3EES5_S5_S5_ ; -- Begin function _ZL33flash_attn_stream_k_fixup_generalILi80ELi2ELi2EEvPfPK15HIP_vector_typeIfLj2EEiiiiS1_IjLj3EES5_S5_S5_
	.p2align	8
	.type	_ZL33flash_attn_stream_k_fixup_generalILi80ELi2ELi2EEvPfPK15HIP_vector_typeIfLj2EEiiiiS1_IjLj3EES5_S5_S5_,@function
_ZL33flash_attn_stream_k_fixup_generalILi80ELi2ELi2EEvPfPK15HIP_vector_typeIfLj2EEiiiiS1_IjLj3EES5_S5_S5_: ; @_ZL33flash_attn_stream_k_fixup_generalILi80ELi2ELi2EEvPfPK15HIP_vector_typeIfLj2EEiiiiS1_IjLj3EES5_S5_S5_
; %bb.0:
	s_clause 0x1
	s_load_b128 s[4:7], s[0:1], 0x10
	s_load_b32 s20, s[0:1], 0x50
	s_mov_b32 s2, 0
	s_waitcnt lgkmcnt(0)
	s_mul_hi_i32 s3, s7, s13
	s_mul_i32 s12, s7, s13
	s_cmp_lg_u64 s[2:3], 0
	s_cbranch_scc0 .LBB48_21
; %bb.1:
	v_cvt_f32_ubyte0_e32 v1, 0
	v_cvt_f32_u32_e32 v2, s20
	s_sub_u32 s10, 0, s20
	s_subb_u32 s11, 0, 0
	s_delay_alu instid0(VALU_DEP_1) | instskip(NEXT) | instid1(VALU_DEP_1)
	v_fmamk_f32 v1, v1, 0x4f800000, v2
	v_rcp_f32_e32 v1, v1
	s_waitcnt_depctr 0xfff
	v_mul_f32_e32 v1, 0x5f7ffffc, v1
	s_delay_alu instid0(VALU_DEP_1) | instskip(NEXT) | instid1(VALU_DEP_1)
	v_mul_f32_e32 v2, 0x2f800000, v1
	v_trunc_f32_e32 v2, v2
	s_delay_alu instid0(VALU_DEP_1) | instskip(SKIP_1) | instid1(VALU_DEP_2)
	v_fmamk_f32 v1, v2, 0xcf800000, v1
	v_cvt_u32_f32_e32 v2, v2
	v_cvt_u32_f32_e32 v1, v1
	s_delay_alu instid0(VALU_DEP_2) | instskip(NEXT) | instid1(VALU_DEP_2)
	v_readfirstlane_b32 s8, v2
	v_readfirstlane_b32 s9, v1
	s_delay_alu instid0(VALU_DEP_2) | instskip(NEXT) | instid1(VALU_DEP_1)
	s_mul_i32 s16, s10, s8
	s_mul_hi_u32 s18, s10, s9
	s_mul_i32 s17, s11, s9
	s_add_i32 s16, s18, s16
	s_mul_i32 s19, s10, s9
	s_add_i32 s16, s16, s17
	s_mul_hi_u32 s18, s9, s19
	s_mul_hi_u32 s21, s8, s19
	s_mul_i32 s17, s8, s19
	s_mul_hi_u32 s19, s9, s16
	s_mul_i32 s9, s9, s16
	s_mul_hi_u32 s22, s8, s16
	s_add_u32 s9, s18, s9
	s_addc_u32 s18, 0, s19
	s_add_u32 s9, s9, s17
	s_mul_i32 s16, s8, s16
	s_addc_u32 s9, s18, s21
	s_addc_u32 s17, s22, 0
	s_add_u32 s9, s9, s16
	s_addc_u32 s16, 0, s17
	v_add_co_u32 v1, s9, v1, s9
	s_delay_alu instid0(VALU_DEP_1) | instskip(SKIP_1) | instid1(VALU_DEP_1)
	s_cmp_lg_u32 s9, 0
	s_addc_u32 s8, s8, s16
	v_readfirstlane_b32 s9, v1
	s_mul_i32 s16, s10, s8
	s_delay_alu instid0(VALU_DEP_1)
	s_mul_hi_u32 s17, s10, s9
	s_mul_i32 s11, s11, s9
	s_add_i32 s16, s17, s16
	s_mul_i32 s10, s10, s9
	s_add_i32 s16, s16, s11
	s_mul_hi_u32 s17, s8, s10
	s_mul_i32 s18, s8, s10
	s_mul_hi_u32 s10, s9, s10
	s_mul_hi_u32 s19, s9, s16
	s_mul_i32 s9, s9, s16
	s_mul_hi_u32 s11, s8, s16
	s_add_u32 s9, s10, s9
	s_addc_u32 s10, 0, s19
	s_add_u32 s9, s9, s18
	s_mul_i32 s16, s8, s16
	s_addc_u32 s9, s10, s17
	s_addc_u32 s10, s11, 0
	s_add_u32 s9, s9, s16
	s_addc_u32 s10, 0, s10
	v_add_co_u32 v1, s9, v1, s9
	s_delay_alu instid0(VALU_DEP_1) | instskip(SKIP_2) | instid1(SALU_CYCLE_1)
	s_cmp_lg_u32 s9, 0
	s_addc_u32 s16, s8, s10
	s_ashr_i32 s8, s3, 31
	s_add_u32 s10, s12, s8
	s_addc_u32 s11, s3, s8
	v_readfirstlane_b32 s3, v1
	s_mov_b32 s9, s8
	s_delay_alu instid0(SALU_CYCLE_1) | instskip(NEXT) | instid1(SALU_CYCLE_1)
	s_xor_b64 s[10:11], s[10:11], s[8:9]
	s_mul_i32 s18, s10, s16
	s_delay_alu instid0(VALU_DEP_1)
	s_mul_hi_u32 s19, s10, s3
	s_mul_hi_u32 s17, s10, s16
	;; [unrolled: 1-line block ×3, first 2 shown]
	s_mul_i32 s3, s11, s3
	s_add_u32 s18, s19, s18
	s_addc_u32 s17, 0, s17
	s_mul_hi_u32 s21, s11, s16
	s_add_u32 s3, s18, s3
	s_mul_i32 s16, s11, s16
	s_addc_u32 s3, s17, s22
	s_addc_u32 s17, s21, 0
	s_add_u32 s3, s3, s16
	s_addc_u32 s16, 0, s17
	s_mul_i32 s18, s20, s3
	s_add_u32 s17, s3, 1
	v_sub_co_u32 v1, s10, s10, s18
	s_mul_hi_u32 s18, s20, s3
	s_addc_u32 s19, s16, 0
	s_mul_i32 s21, s20, s16
	s_delay_alu instid0(VALU_DEP_1)
	v_sub_co_u32 v2, s22, v1, s20
	s_add_u32 s23, s3, 2
	s_addc_u32 s24, s16, 0
	s_add_i32 s18, s18, s21
	s_cmp_lg_u32 s10, 0
	v_readfirstlane_b32 s10, v2
	s_subb_u32 s11, s11, s18
	s_cmp_lg_u32 s22, 0
	s_subb_u32 s18, s11, 0
	s_delay_alu instid0(VALU_DEP_1) | instskip(SKIP_4) | instid1(SALU_CYCLE_1)
	s_cmp_ge_u32 s10, s20
	s_cselect_b32 s10, -1, 0
	s_cmp_eq_u32 s18, 0
	v_readfirstlane_b32 s18, v1
	s_cselect_b32 s10, s10, -1
	s_cmp_lg_u32 s10, 0
	s_cselect_b32 s10, s23, s17
	s_cselect_b32 s17, s24, s19
	s_cmp_ge_u32 s18, s20
	s_cselect_b32 s18, -1, 0
	s_cmp_eq_u32 s11, 0
	s_cselect_b32 s11, s18, -1
	s_delay_alu instid0(SALU_CYCLE_1) | instskip(SKIP_2) | instid1(SALU_CYCLE_1)
	s_cmp_lg_u32 s11, 0
	s_cselect_b32 s11, s17, s16
	s_cselect_b32 s10, s10, s3
	s_xor_b64 s[10:11], s[10:11], s[8:9]
	s_delay_alu instid0(SALU_CYCLE_1)
	s_sub_u32 s16, s10, s8
	s_load_b128 s[8:11], s[0:1], 0x44
	s_and_not1_b32 vcc_lo, exec_lo, s2
	s_cbranch_vccnz .LBB48_3
.LBB48_2:
	v_cvt_f32_u32_e32 v1, s20
	s_sub_i32 s3, 0, s20
	s_delay_alu instid0(VALU_DEP_1) | instskip(SKIP_2) | instid1(VALU_DEP_1)
	v_rcp_iflag_f32_e32 v1, v1
	s_waitcnt_depctr 0xfff
	v_mul_f32_e32 v1, 0x4f7ffffe, v1
	v_cvt_u32_f32_e32 v1, v1
	s_delay_alu instid0(VALU_DEP_1) | instskip(NEXT) | instid1(VALU_DEP_1)
	v_readfirstlane_b32 s2, v1
	s_mul_i32 s3, s3, s2
	s_delay_alu instid0(SALU_CYCLE_1) | instskip(NEXT) | instid1(SALU_CYCLE_1)
	s_mul_hi_u32 s3, s2, s3
	s_add_i32 s2, s2, s3
	s_delay_alu instid0(SALU_CYCLE_1) | instskip(NEXT) | instid1(SALU_CYCLE_1)
	s_mul_hi_u32 s2, s12, s2
	s_mul_i32 s3, s2, s20
	s_waitcnt lgkmcnt(0)
	s_add_i32 s11, s2, 1
	s_sub_i32 s3, s12, s3
	s_delay_alu instid0(SALU_CYCLE_1)
	s_sub_i32 s12, s3, s20
	s_cmp_ge_u32 s3, s20
	s_cselect_b32 s2, s11, s2
	s_cselect_b32 s3, s12, s3
	s_add_i32 s11, s2, 1
	s_cmp_ge_u32 s3, s20
	s_cselect_b32 s16, s11, s2
.LBB48_3:
	s_waitcnt lgkmcnt(0)
	s_add_i32 s11, s13, 1
	s_mov_b32 s2, 0
	s_mul_hi_i32 s3, s7, s11
	s_mul_i32 s11, s7, s11
	s_cmp_lg_u64 s[2:3], 0
	s_cbranch_scc0 .LBB48_22
; %bb.4:
	v_cvt_f32_ubyte0_e32 v1, 0
	v_cvt_f32_u32_e32 v2, s20
	s_sub_u32 s18, 0, s20
	s_subb_u32 s19, 0, 0
	s_delay_alu instid0(VALU_DEP_1) | instskip(NEXT) | instid1(VALU_DEP_1)
	v_fmamk_f32 v1, v1, 0x4f800000, v2
	v_rcp_f32_e32 v1, v1
	s_waitcnt_depctr 0xfff
	v_mul_f32_e32 v1, 0x5f7ffffc, v1
	s_delay_alu instid0(VALU_DEP_1) | instskip(NEXT) | instid1(VALU_DEP_1)
	v_mul_f32_e32 v2, 0x2f800000, v1
	v_trunc_f32_e32 v2, v2
	s_delay_alu instid0(VALU_DEP_1) | instskip(SKIP_1) | instid1(VALU_DEP_2)
	v_fmamk_f32 v1, v2, 0xcf800000, v1
	v_cvt_u32_f32_e32 v2, v2
	v_cvt_u32_f32_e32 v1, v1
	s_delay_alu instid0(VALU_DEP_2) | instskip(NEXT) | instid1(VALU_DEP_2)
	v_readfirstlane_b32 s12, v2
	v_readfirstlane_b32 s17, v1
	s_delay_alu instid0(VALU_DEP_2) | instskip(NEXT) | instid1(VALU_DEP_1)
	s_mul_i32 s21, s18, s12
	s_mul_hi_u32 s23, s18, s17
	s_mul_i32 s22, s19, s17
	s_add_i32 s21, s23, s21
	s_mul_i32 s24, s18, s17
	s_add_i32 s21, s21, s22
	s_mul_hi_u32 s23, s17, s24
	s_mul_hi_u32 s25, s12, s24
	s_mul_i32 s22, s12, s24
	s_mul_hi_u32 s24, s17, s21
	s_mul_i32 s17, s17, s21
	s_mul_hi_u32 s26, s12, s21
	s_add_u32 s17, s23, s17
	s_addc_u32 s23, 0, s24
	s_add_u32 s17, s17, s22
	s_mul_i32 s21, s12, s21
	s_addc_u32 s17, s23, s25
	s_addc_u32 s22, s26, 0
	s_add_u32 s17, s17, s21
	s_addc_u32 s21, 0, s22
	v_add_co_u32 v1, s17, v1, s17
	s_delay_alu instid0(VALU_DEP_1) | instskip(SKIP_1) | instid1(VALU_DEP_1)
	s_cmp_lg_u32 s17, 0
	s_addc_u32 s12, s12, s21
	v_readfirstlane_b32 s17, v1
	s_mul_i32 s21, s18, s12
	s_delay_alu instid0(VALU_DEP_1)
	s_mul_hi_u32 s22, s18, s17
	s_mul_i32 s19, s19, s17
	s_add_i32 s21, s22, s21
	s_mul_i32 s18, s18, s17
	s_add_i32 s21, s21, s19
	s_mul_hi_u32 s22, s12, s18
	s_mul_i32 s23, s12, s18
	s_mul_hi_u32 s18, s17, s18
	s_mul_hi_u32 s24, s17, s21
	s_mul_i32 s17, s17, s21
	s_mul_hi_u32 s19, s12, s21
	s_add_u32 s17, s18, s17
	s_addc_u32 s18, 0, s24
	s_add_u32 s17, s17, s23
	s_mul_i32 s21, s12, s21
	s_addc_u32 s17, s18, s22
	s_addc_u32 s18, s19, 0
	s_add_u32 s17, s17, s21
	s_addc_u32 s18, 0, s18
	v_add_co_u32 v1, s17, v1, s17
	s_delay_alu instid0(VALU_DEP_1) | instskip(SKIP_2) | instid1(SALU_CYCLE_1)
	s_cmp_lg_u32 s17, 0
	s_addc_u32 s12, s12, s18
	s_ashr_i32 s18, s3, 31
	s_add_u32 s22, s11, s18
	s_addc_u32 s23, s3, s18
	v_readfirstlane_b32 s3, v1
	s_mov_b32 s19, s18
	s_delay_alu instid0(SALU_CYCLE_1) | instskip(NEXT) | instid1(SALU_CYCLE_1)
	s_xor_b64 s[22:23], s[22:23], s[18:19]
	s_mul_i32 s21, s22, s12
	s_delay_alu instid0(VALU_DEP_1)
	s_mul_hi_u32 s24, s22, s3
	s_mul_hi_u32 s17, s22, s12
	;; [unrolled: 1-line block ×3, first 2 shown]
	s_mul_i32 s3, s23, s3
	s_add_u32 s21, s24, s21
	s_addc_u32 s17, 0, s17
	s_mul_hi_u32 s25, s23, s12
	s_add_u32 s3, s21, s3
	s_mul_i32 s12, s23, s12
	s_addc_u32 s3, s17, s26
	s_addc_u32 s17, s25, 0
	s_add_u32 s3, s3, s12
	s_addc_u32 s12, 0, s17
	s_mul_i32 s21, s20, s3
	s_add_u32 s17, s3, 1
	v_sub_co_u32 v1, s21, s22, s21
	s_mul_hi_u32 s22, s20, s3
	s_addc_u32 s24, s12, 0
	s_mul_i32 s25, s20, s12
	s_delay_alu instid0(VALU_DEP_1)
	v_sub_co_u32 v2, s26, v1, s20
	s_add_u32 s27, s3, 2
	s_addc_u32 s28, s12, 0
	s_add_i32 s22, s22, s25
	s_cmp_lg_u32 s21, 0
	v_readfirstlane_b32 s21, v2
	s_subb_u32 s22, s23, s22
	s_cmp_lg_u32 s26, 0
	s_subb_u32 s23, s22, 0
	s_delay_alu instid0(VALU_DEP_1) | instskip(SKIP_4) | instid1(SALU_CYCLE_1)
	s_cmp_ge_u32 s21, s20
	s_cselect_b32 s21, -1, 0
	s_cmp_eq_u32 s23, 0
	v_readfirstlane_b32 s23, v1
	s_cselect_b32 s21, s21, -1
	s_cmp_lg_u32 s21, 0
	s_cselect_b32 s17, s27, s17
	s_cselect_b32 s21, s28, s24
	s_cmp_ge_u32 s23, s20
	s_cselect_b32 s23, -1, 0
	s_cmp_eq_u32 s22, 0
	s_cselect_b32 s22, s23, -1
	s_delay_alu instid0(SALU_CYCLE_1) | instskip(SKIP_2) | instid1(SALU_CYCLE_1)
	s_cmp_lg_u32 s22, 0
	s_cselect_b32 s23, s21, s12
	s_cselect_b32 s22, s17, s3
	s_xor_b64 s[22:23], s[22:23], s[18:19]
	s_delay_alu instid0(SALU_CYCLE_1)
	s_sub_u32 s18, s22, s18
	s_and_not1_b32 vcc_lo, exec_lo, s2
	s_cbranch_vccnz .LBB48_6
.LBB48_5:
	v_cvt_f32_u32_e32 v1, s20
	s_sub_i32 s3, 0, s20
	s_delay_alu instid0(VALU_DEP_1) | instskip(SKIP_2) | instid1(VALU_DEP_1)
	v_rcp_iflag_f32_e32 v1, v1
	s_waitcnt_depctr 0xfff
	v_mul_f32_e32 v1, 0x4f7ffffe, v1
	v_cvt_u32_f32_e32 v1, v1
	s_delay_alu instid0(VALU_DEP_1) | instskip(NEXT) | instid1(VALU_DEP_1)
	v_readfirstlane_b32 s2, v1
	s_mul_i32 s3, s3, s2
	s_delay_alu instid0(SALU_CYCLE_1) | instskip(NEXT) | instid1(SALU_CYCLE_1)
	s_mul_hi_u32 s3, s2, s3
	s_add_i32 s2, s2, s3
	s_delay_alu instid0(SALU_CYCLE_1) | instskip(NEXT) | instid1(SALU_CYCLE_1)
	s_mul_hi_u32 s2, s11, s2
	s_mul_i32 s3, s2, s20
	s_delay_alu instid0(SALU_CYCLE_1)
	s_sub_i32 s3, s11, s3
	s_add_i32 s11, s2, 1
	s_sub_i32 s12, s3, s20
	s_cmp_ge_u32 s3, s20
	s_cselect_b32 s2, s11, s2
	s_cselect_b32 s3, s12, s3
	s_add_i32 s11, s2, 1
	s_cmp_ge_u32 s3, s20
	s_cselect_b32 s18, s11, s2
.LBB48_6:
	s_delay_alu instid0(SALU_CYCLE_1) | instskip(SKIP_3) | instid1(SALU_CYCLE_1)
	s_cmp_eq_u32 s16, s18
	s_mul_hi_u32 s2, s16, s8
	s_cselect_b32 s3, -1, 0
	s_add_i32 s2, s2, s16
	s_lshr_b32 s11, s2, s9
	s_delay_alu instid0(SALU_CYCLE_1) | instskip(NEXT) | instid1(SALU_CYCLE_1)
	s_mul_i32 s2, s11, s10
	s_cmp_eq_u32 s2, s16
	s_mul_hi_u32 s2, s18, s8
	s_cselect_b32 s12, -1, 0
	s_add_i32 s2, s2, s18
	s_delay_alu instid0(SALU_CYCLE_1) | instskip(NEXT) | instid1(SALU_CYCLE_1)
	s_lshr_b32 s2, s2, s9
	s_cmp_eq_u32 s11, s2
	s_mul_i32 s2, s2, s10
	s_cselect_b32 s17, -1, 0
	s_cmp_lg_u32 s2, s18
	s_cselect_b32 s2, -1, 0
	s_or_b32 s3, s3, s12
	s_and_b32 s2, s17, s2
	s_delay_alu instid0(SALU_CYCLE_1) | instskip(NEXT) | instid1(SALU_CYCLE_1)
	s_or_b32 s2, s3, s2
	s_and_b32 vcc_lo, exec_lo, s2
	s_cbranch_vccnz .LBB48_24
; %bb.7:
	s_load_b256 s[24:31], s[0:1], 0x20
	s_waitcnt lgkmcnt(0)
	s_mul_hi_u32 s2, s16, s24
	s_delay_alu instid0(SALU_CYCLE_1) | instskip(NEXT) | instid1(SALU_CYCLE_1)
	s_add_i32 s2, s2, s16
	s_lshr_b32 s17, s2, s25
	s_load_b32 s2, s[0:1], 0x40
	s_mul_i32 s3, s17, s26
	s_delay_alu instid0(SALU_CYCLE_1) | instskip(NEXT) | instid1(SALU_CYCLE_1)
	s_sub_i32 s3, s16, s3
	s_mul_hi_u32 s12, s3, s27
	s_delay_alu instid0(SALU_CYCLE_1) | instskip(NEXT) | instid1(SALU_CYCLE_1)
	s_add_i32 s12, s3, s12
	s_lshr_b32 s19, s12, s28
	s_delay_alu instid0(SALU_CYCLE_1) | instskip(NEXT) | instid1(SALU_CYCLE_1)
	s_mul_i32 s12, s19, s29
	s_sub_i32 s3, s3, s12
	s_delay_alu instid0(SALU_CYCLE_1) | instskip(NEXT) | instid1(SALU_CYCLE_1)
	s_mul_hi_u32 s12, s3, s30
	s_add_i32 s12, s3, s12
	s_delay_alu instid0(SALU_CYCLE_1)
	s_lshr_b32 s12, s12, s31
	s_waitcnt lgkmcnt(0)
	s_mul_i32 s2, s12, s2
	s_lshl_b32 s21, s12, 1
	s_sub_i32 s2, s3, s2
	s_mov_b32 s12, 0
	s_mul_hi_u32 s3, s2, s8
	s_delay_alu instid0(SALU_CYCLE_1) | instskip(NEXT) | instid1(SALU_CYCLE_1)
	s_add_i32 s2, s2, s3
	s_lshr_b32 s18, s2, s9
	s_delay_alu instid0(SALU_CYCLE_1) | instskip(NEXT) | instid1(SALU_CYCLE_1)
	s_lshl_b32 s2, s18, 1
	s_add_i32 s2, s2, s14
	s_delay_alu instid0(SALU_CYCLE_1) | instskip(SKIP_2) | instid1(SALU_CYCLE_1)
	s_cmp_lt_i32 s2, s4
	s_cselect_b32 s2, -1, 0
	s_add_i32 s21, s21, s15
	s_cmp_lt_i32 s21, s6
	s_cselect_b32 s3, -1, 0
	s_delay_alu instid0(SALU_CYCLE_1) | instskip(NEXT) | instid1(SALU_CYCLE_1)
	s_and_b32 s2, s2, s3
	s_and_not1_b32 vcc_lo, exec_lo, s2
	s_cbranch_vccnz .LBB48_24
; %bb.8:
	s_load_b128 s[0:3], s[0:1], 0x0
	s_lshl_b32 s22, s20, 4
	s_mov_b32 s23, s12
	s_lshl_b32 s24, s14, 1
	s_lshl_b64 s[22:23], s[22:23], 2
	s_mul_i32 s19, s19, s6
	s_mul_i32 s4, s17, s4
	s_add_i32 s6, s24, s15
	v_cvt_f32_ubyte0_e32 v3, 0
	v_cvt_f32_u32_e32 v4, s20
	s_waitcnt lgkmcnt(0)
	s_add_u32 s15, s2, s22
	s_addc_u32 s17, s3, s23
	s_add_i32 s4, s4, s14
	s_add_i32 s14, s21, s19
	s_mul_i32 s4, s4, s5
	s_mul_i32 s5, s5, s18
	s_add_i32 s4, s14, s4
	s_mulk_i32 s5, 0xa0
	s_mulk_i32 s4, 0x50
	s_delay_alu instid0(SALU_CYCLE_1) | instskip(NEXT) | instid1(VALU_DEP_1)
	v_add3_u32 v1, s5, s4, v0
	v_ashrrev_i32_e32 v2, 31, v1
	s_delay_alu instid0(VALU_DEP_1) | instskip(NEXT) | instid1(VALU_DEP_1)
	v_lshlrev_b64 v[1:2], 2, v[1:2]
	v_add_co_u32 v1, vcc_lo, s0, v1
	s_delay_alu instid0(VALU_DEP_2) | instskip(SKIP_1) | instid1(SALU_CYCLE_1)
	v_add_co_ci_u32_e32 v2, vcc_lo, s1, v2, vcc_lo
	s_lshl_b32 s0, s13, 2
	s_add_i32 s0, s6, s0
	global_load_b32 v5, v[1:2], off
	s_ashr_i32 s1, s0, 31
	s_delay_alu instid0(SALU_CYCLE_1) | instskip(NEXT) | instid1(SALU_CYCLE_1)
	s_lshl_b64 s[0:1], s[0:1], 3
	s_add_u32 s0, s2, s0
	s_addc_u32 s1, s3, s1
	s_add_i32 s18, s13, -1
	s_load_b64 s[0:1], s[0:1], 0x0
	v_fmac_f32_e32 v4, 0x4f800000, v3
	s_sub_i32 s14, 0, s20
	s_delay_alu instid0(VALU_DEP_1)
	v_rcp_f32_e32 v3, v4
	s_waitcnt_depctr 0xfff
	v_mul_f32_e32 v6, 0x5f7ffffc, v3
	v_cvt_f32_u32_e32 v3, s20
	s_waitcnt lgkmcnt(0)
	v_mov_b32_e32 v8, s0
	s_delay_alu instid0(VALU_DEP_3) | instskip(NEXT) | instid1(VALU_DEP_3)
	v_mul_f32_e32 v4, 0x2f800000, v6
	v_rcp_iflag_f32_e32 v7, v3
	s_delay_alu instid0(VALU_DEP_1) | instskip(SKIP_1) | instid1(VALU_DEP_2)
	v_trunc_f32_e32 v9, v4
	v_mad_u64_u32 v[3:4], null, 0x50, s6, v[0:1]
	v_fmac_f32_e32 v6, 0xcf800000, v9
	s_waitcnt_depctr 0xfff
	v_dual_mul_f32 v10, 0x4f7ffffe, v7 :: v_dual_mov_b32 v7, s1
	v_cvt_u32_f32_e32 v4, v9
	v_cvt_u32_f32_e32 v0, v6
	s_delay_alu instid0(VALU_DEP_3)
	v_cvt_u32_f32_e32 v6, v10
.LBB48_9:                               ; =>This Inner Loop Header: Depth=1
	s_mul_hi_i32 s13, s18, s7
	s_mul_i32 s4, s18, s7
	s_cmp_lg_u64 s[12:13], 0
	s_mov_b32 s5, -1
                                        ; implicit-def: $sgpr0_sgpr1
	s_cbranch_scc0 .LBB48_11
; %bb.10:                               ;   in Loop: Header=BB48_9 Depth=1
	v_readfirstlane_b32 s0, v0
	v_readfirstlane_b32 s1, v4
	s_sub_u32 s5, 0, s20
	s_subb_u32 s19, 0, 0
	s_delay_alu instid0(VALU_DEP_2) | instskip(NEXT) | instid1(VALU_DEP_1)
	s_mul_hi_u32 s21, s5, s0
	s_mul_i32 s22, s5, s1
	s_mul_i32 s23, s19, s0
	s_add_i32 s21, s21, s22
	s_mul_i32 s22, s5, s0
	s_add_i32 s21, s21, s23
	s_mul_hi_u32 s23, s0, s22
	s_mul_i32 s24, s0, s21
	s_mul_hi_u32 s0, s0, s21
	s_add_u32 s23, s23, s24
	s_mul_i32 s25, s1, s22
	s_addc_u32 s0, 0, s0
	s_mul_hi_u32 s22, s1, s22
	s_mul_hi_u32 s24, s1, s21
	s_add_u32 s23, s23, s25
	s_addc_u32 s0, s0, s22
	s_mul_i32 s21, s1, s21
	s_addc_u32 s22, s24, 0
	s_add_u32 s0, s0, s21
	s_addc_u32 s21, 0, s22
	v_add_co_u32 v9, s0, v0, s0
	s_delay_alu instid0(VALU_DEP_1) | instskip(SKIP_1) | instid1(VALU_DEP_1)
	s_cmp_lg_u32 s0, 0
	s_addc_u32 s1, s1, s21
	v_readfirstlane_b32 s0, v9
	s_mul_i32 s21, s5, s1
	s_delay_alu instid0(VALU_DEP_1)
	s_mul_hi_u32 s22, s5, s0
	s_mul_i32 s19, s19, s0
	s_add_i32 s21, s22, s21
	s_mul_i32 s5, s5, s0
	s_add_i32 s21, s21, s19
	s_mul_hi_u32 s19, s1, s5
	s_mul_i32 s23, s1, s5
	s_mul_i32 s24, s0, s21
	s_mul_hi_u32 s5, s0, s5
	s_mul_hi_u32 s0, s0, s21
	s_add_u32 s5, s5, s24
	s_addc_u32 s0, 0, s0
	s_mul_hi_u32 s22, s1, s21
	s_add_u32 s5, s5, s23
	s_addc_u32 s0, s0, s19
	s_mul_i32 s5, s1, s21
	s_addc_u32 s19, s22, 0
	s_add_u32 s0, s0, s5
	s_addc_u32 s5, 0, s19
	v_add_co_u32 v9, s0, v9, s0
	s_delay_alu instid0(VALU_DEP_1) | instskip(SKIP_2) | instid1(SALU_CYCLE_1)
	s_cmp_lg_u32 s0, 0
	s_addc_u32 s5, s1, s5
	s_ashr_i32 s0, s13, 31
	s_add_u32 s22, s4, s0
	s_addc_u32 s23, s13, s0
	v_readfirstlane_b32 s13, v9
	s_mov_b32 s1, s0
	s_delay_alu instid0(SALU_CYCLE_1) | instskip(NEXT) | instid1(SALU_CYCLE_1)
	s_xor_b64 s[22:23], s[22:23], s[0:1]
	s_mul_i32 s19, s22, s5
	s_delay_alu instid0(VALU_DEP_1)
	s_mul_hi_u32 s21, s22, s13
	s_mul_hi_u32 s24, s22, s5
	s_add_u32 s19, s21, s19
	s_mul_i32 s25, s23, s13
	s_addc_u32 s21, 0, s24
	s_mul_hi_u32 s13, s23, s13
	s_mul_hi_u32 s24, s23, s5
	s_add_u32 s19, s19, s25
	s_addc_u32 s13, s21, s13
	s_mul_i32 s5, s23, s5
	s_addc_u32 s19, s24, 0
	s_add_u32 s5, s13, s5
	s_addc_u32 s13, 0, s19
	s_mul_i32 s21, s20, s5
	s_add_u32 s19, s5, 1
	v_sub_co_u32 v9, s21, s22, s21
	s_addc_u32 s22, s13, 0
	s_mul_i32 s25, s20, s13
	s_mul_hi_u32 s27, s20, s5
	s_delay_alu instid0(VALU_DEP_1)
	v_sub_co_u32 v10, s26, v9, s20
	s_add_u32 s24, s5, 2
	s_addc_u32 s28, s13, 0
	s_add_i32 s27, s27, s25
	s_cmp_lg_u32 s21, 0
	v_readfirstlane_b32 s21, v10
	s_subb_u32 s23, s23, s27
	s_cmp_lg_u32 s26, 0
	s_subb_u32 s25, s23, 0
	s_delay_alu instid0(VALU_DEP_1) | instskip(SKIP_4) | instid1(SALU_CYCLE_1)
	s_cmp_ge_u32 s21, s20
	s_cselect_b32 s21, -1, 0
	s_cmp_eq_u32 s25, 0
	v_readfirstlane_b32 s25, v9
	s_cselect_b32 s21, s21, -1
	s_cmp_lg_u32 s21, 0
	s_cselect_b32 s19, s24, s19
	s_cselect_b32 s21, s28, s22
	s_cmp_ge_u32 s25, s20
	s_cselect_b32 s22, -1, 0
	s_cmp_eq_u32 s23, 0
	s_cselect_b32 s22, s22, -1
	s_delay_alu instid0(SALU_CYCLE_1) | instskip(SKIP_4) | instid1(SALU_CYCLE_1)
	s_cmp_lg_u32 s22, 0
	s_cselect_b32 s23, s21, s13
	s_cselect_b32 s22, s19, s5
	s_mov_b32 s5, 0
	s_xor_b64 s[22:23], s[22:23], s[0:1]
	s_sub_u32 s0, s22, s0
.LBB48_11:                              ;   in Loop: Header=BB48_9 Depth=1
	s_and_not1_b32 vcc_lo, exec_lo, s5
	s_cbranch_vccnz .LBB48_13
; %bb.12:                               ;   in Loop: Header=BB48_9 Depth=1
	v_readfirstlane_b32 s0, v6
	s_delay_alu instid0(VALU_DEP_1) | instskip(NEXT) | instid1(SALU_CYCLE_1)
	s_mul_i32 s1, s14, s0
	s_mul_hi_u32 s1, s0, s1
	s_delay_alu instid0(SALU_CYCLE_1) | instskip(NEXT) | instid1(SALU_CYCLE_1)
	s_add_i32 s0, s0, s1
	s_mul_hi_u32 s0, s4, s0
	s_delay_alu instid0(SALU_CYCLE_1) | instskip(NEXT) | instid1(SALU_CYCLE_1)
	s_mul_i32 s1, s0, s20
	s_sub_i32 s1, s4, s1
	s_add_i32 s4, s0, 1
	s_sub_i32 s5, s1, s20
	s_cmp_ge_u32 s1, s20
	s_cselect_b32 s0, s4, s0
	s_cselect_b32 s1, s5, s1
	s_add_i32 s4, s0, 1
	s_cmp_ge_u32 s1, s20
	s_cselect_b32 s0, s4, s0
.LBB48_13:                              ;   in Loop: Header=BB48_9 Depth=1
	s_delay_alu instid0(SALU_CYCLE_1)
	s_cmp_lg_u32 s16, s0
	s_cbranch_scc0 .LBB48_17
; %bb.14:                               ;   in Loop: Header=BB48_9 Depth=1
	s_add_i32 s1, s18, s20
	s_mov_b32 s5, s12
	s_lshl_b32 s1, s1, 2
	s_mov_b32 s19, s16
	s_add_i32 s4, s1, s6
	s_mul_hi_u32 s1, s0, s8
	s_lshl_b64 s[4:5], s[4:5], 3
	s_delay_alu instid0(SALU_CYCLE_1) | instskip(SKIP_2) | instid1(SALU_CYCLE_1)
	s_add_u32 s4, s2, s4
	s_addc_u32 s5, s3, s5
	s_add_i32 s1, s1, s0
	s_lshr_b32 s1, s1, s9
	s_delay_alu instid0(SALU_CYCLE_1) | instskip(NEXT) | instid1(SALU_CYCLE_1)
	s_mul_i32 s13, s1, s10
	s_cmp_eq_u32 s13, s0
	s_cselect_b32 s13, -1, 0
	s_cmp_lt_u32 s1, s11
	s_cselect_b32 s1, -1, 0
	s_delay_alu instid0(SALU_CYCLE_1)
	s_or_b32 s1, s1, s13
	s_mov_b32 s13, -1
	s_and_b32 vcc_lo, exec_lo, s1
	s_mov_b32 s1, s18
	s_cbranch_vccnz .LBB48_16
; %bb.15:                               ;   in Loop: Header=BB48_9 Depth=1
	s_add_i32 s1, s18, -1
	s_mov_b32 s13, 0
	s_mov_b32 s19, s0
.LBB48_16:                              ;   in Loop: Header=BB48_9 Depth=1
	v_mad_u64_u32 v[9:10], null, 0x140, s18, v[3:4]
	s_load_b64 s[4:5], s[4:5], 0x0
	s_delay_alu instid0(VALU_DEP_1) | instskip(NEXT) | instid1(VALU_DEP_1)
	v_ashrrev_i32_e32 v10, 31, v9
	v_lshlrev_b64 v[9:10], 2, v[9:10]
	s_delay_alu instid0(VALU_DEP_1) | instskip(NEXT) | instid1(VALU_DEP_2)
	v_add_co_u32 v9, vcc_lo, s15, v9
	v_add_co_ci_u32_e32 v10, vcc_lo, s17, v10, vcc_lo
	s_waitcnt lgkmcnt(0)
	v_max_f32_e64 v11, s4, s4
	global_load_b32 v10, v[9:10], off
	v_max_f32_e32 v9, v8, v8
	s_delay_alu instid0(VALU_DEP_1) | instskip(NEXT) | instid1(VALU_DEP_1)
	v_max_f32_e32 v9, v9, v11
	v_sub_f32_e32 v12, v8, v9
	s_delay_alu instid0(VALU_DEP_1) | instskip(NEXT) | instid1(VALU_DEP_1)
	v_dual_mul_f32 v14, 0x3fb8aa3b, v12 :: v_dual_sub_f32 v11, s4, v9
	v_rndne_f32_e32 v18, v14
	s_delay_alu instid0(VALU_DEP_2) | instskip(SKIP_2) | instid1(VALU_DEP_4)
	v_mul_f32_e32 v13, 0x3fb8aa3b, v11
	v_fma_f32 v17, 0x3fb8aa3b, v12, -v14
	v_cmp_ngt_f32_e32 vcc_lo, 0xc2ce8ed0, v11
	v_sub_f32_e32 v14, v14, v18
	s_delay_alu instid0(VALU_DEP_4) | instskip(SKIP_2) | instid1(VALU_DEP_3)
	v_fma_f32 v15, 0x3fb8aa3b, v11, -v13
	v_rndne_f32_e32 v16, v13
	v_fmac_f32_e32 v17, 0x32a5705f, v12
	v_fmac_f32_e32 v15, 0x32a5705f, v11
	s_delay_alu instid0(VALU_DEP_2) | instskip(NEXT) | instid1(VALU_DEP_1)
	v_dual_sub_f32 v13, v13, v16 :: v_dual_add_f32 v14, v14, v17
	v_add_f32_e32 v13, v13, v15
	s_delay_alu instid0(VALU_DEP_2) | instskip(SKIP_2) | instid1(VALU_DEP_3)
	v_exp_f32_e32 v14, v14
	v_cvt_i32_f32_e32 v15, v16
	v_cvt_i32_f32_e32 v16, v18
	v_exp_f32_e32 v13, v13
	s_waitcnt_depctr 0xfff
	v_ldexp_f32 v14, v14, v16
	v_ldexp_f32 v13, v13, v15
	s_delay_alu instid0(VALU_DEP_1) | instskip(SKIP_1) | instid1(VALU_DEP_4)
	v_cndmask_b32_e32 v13, 0, v13, vcc_lo
	v_cmp_ngt_f32_e32 vcc_lo, 0xc2ce8ed0, v12
	v_cndmask_b32_e32 v14, 0, v14, vcc_lo
	v_cmp_nlt_f32_e32 vcc_lo, 0x42b17218, v11
	s_delay_alu instid0(VALU_DEP_4) | instskip(SKIP_1) | instid1(VALU_DEP_4)
	v_cndmask_b32_e32 v13, 0x7f800000, v13, vcc_lo
	v_cmp_nlt_f32_e32 vcc_lo, 0x42b17218, v12
	v_cndmask_b32_e32 v14, 0x7f800000, v14, vcc_lo
	v_cmp_le_f32_e32 vcc_lo, 0xc1a00000, v11
	s_delay_alu instid0(VALU_DEP_4) | instskip(SKIP_1) | instid1(VALU_DEP_4)
	v_cndmask_b32_e32 v11, 0, v13, vcc_lo
	v_cmp_le_f32_e32 vcc_lo, 0xc1a00000, v12
	v_cndmask_b32_e32 v12, 0, v14, vcc_lo
	s_waitcnt vmcnt(0)
	s_delay_alu instid0(VALU_DEP_3) | instskip(NEXT) | instid1(VALU_DEP_1)
	v_mul_f32_e32 v10, v10, v11
	v_dual_mul_f32 v11, s5, v11 :: v_dual_fmac_f32 v10, v5, v12
	s_delay_alu instid0(VALU_DEP_1)
	v_fmac_f32_e32 v11, v7, v12
	s_cbranch_execz .LBB48_18
	s_branch .LBB48_19
.LBB48_17:                              ;   in Loop: Header=BB48_9 Depth=1
                                        ; implicit-def: $sgpr13
                                        ; implicit-def: $vgpr10
                                        ; implicit-def: $vgpr9
                                        ; implicit-def: $vgpr11
                                        ; implicit-def: $sgpr1
                                        ; implicit-def: $sgpr19
.LBB48_18:                              ;   in Loop: Header=BB48_9 Depth=1
	s_waitcnt vmcnt(0)
	v_dual_mov_b32 v11, v7 :: v_dual_mov_b32 v10, v5
	v_mov_b32_e32 v9, v8
	s_add_i32 s1, s18, -1
	s_mov_b32 s13, 0
	s_mov_b32 s19, s16
.LBB48_19:                              ;   in Loop: Header=BB48_9 Depth=1
	s_and_not1_b32 vcc_lo, exec_lo, s13
	s_cbranch_vccz .LBB48_23
; %bb.20:                               ;   in Loop: Header=BB48_9 Depth=1
	v_dual_mov_b32 v7, v11 :: v_dual_mov_b32 v8, v9
	s_waitcnt vmcnt(0)
	v_mov_b32_e32 v5, v10
	s_mov_b32 s16, s19
	s_mov_b32 s18, s1
	s_branch .LBB48_9
.LBB48_21:
                                        ; implicit-def: $sgpr16_sgpr17
	s_load_b128 s[8:11], s[0:1], 0x44
	s_branch .LBB48_2
.LBB48_22:
                                        ; implicit-def: $sgpr18_sgpr19
	s_branch .LBB48_5
.LBB48_23:
	v_div_scale_f32 v0, null, v11, v11, v10
	s_delay_alu instid0(VALU_DEP_1) | instskip(SKIP_2) | instid1(VALU_DEP_1)
	v_rcp_f32_e32 v3, v0
	s_waitcnt_depctr 0xfff
	v_fma_f32 v4, -v0, v3, 1.0
	v_fmac_f32_e32 v3, v4, v3
	v_div_scale_f32 v4, vcc_lo, v10, v11, v10
	s_waitcnt vmcnt(0)
	s_delay_alu instid0(VALU_DEP_1) | instskip(NEXT) | instid1(VALU_DEP_1)
	v_mul_f32_e32 v5, v4, v3
	v_fma_f32 v6, -v0, v5, v4
	s_delay_alu instid0(VALU_DEP_1) | instskip(NEXT) | instid1(VALU_DEP_1)
	v_fmac_f32_e32 v5, v6, v3
	v_fma_f32 v0, -v0, v5, v4
	s_delay_alu instid0(VALU_DEP_1) | instskip(NEXT) | instid1(VALU_DEP_1)
	v_div_fmas_f32 v0, v0, v3, v5
	v_div_fixup_f32 v0, v0, v11, v10
	global_store_b32 v[1:2], v0, off
.LBB48_24:
	s_nop 0
	s_sendmsg sendmsg(MSG_DEALLOC_VGPRS)
	s_endpgm
	.section	.rodata,"a",@progbits
	.p2align	6, 0x0
	.amdhsa_kernel _ZL33flash_attn_stream_k_fixup_generalILi80ELi2ELi2EEvPfPK15HIP_vector_typeIfLj2EEiiiiS1_IjLj3EES5_S5_S5_
		.amdhsa_group_segment_fixed_size 0
		.amdhsa_private_segment_fixed_size 0
		.amdhsa_kernarg_size 336
		.amdhsa_user_sgpr_count 13
		.amdhsa_user_sgpr_dispatch_ptr 0
		.amdhsa_user_sgpr_queue_ptr 0
		.amdhsa_user_sgpr_kernarg_segment_ptr 1
		.amdhsa_user_sgpr_dispatch_id 0
		.amdhsa_user_sgpr_private_segment_size 0
		.amdhsa_wavefront_size32 1
		.amdhsa_uses_dynamic_stack 0
		.amdhsa_enable_private_segment 0
		.amdhsa_system_sgpr_workgroup_id_x 1
		.amdhsa_system_sgpr_workgroup_id_y 1
		.amdhsa_system_sgpr_workgroup_id_z 1
		.amdhsa_system_sgpr_workgroup_info 0
		.amdhsa_system_vgpr_workitem_id 0
		.amdhsa_next_free_vgpr 19
		.amdhsa_next_free_sgpr 32
		.amdhsa_reserve_vcc 1
		.amdhsa_float_round_mode_32 0
		.amdhsa_float_round_mode_16_64 0
		.amdhsa_float_denorm_mode_32 3
		.amdhsa_float_denorm_mode_16_64 3
		.amdhsa_dx10_clamp 1
		.amdhsa_ieee_mode 1
		.amdhsa_fp16_overflow 0
		.amdhsa_workgroup_processor_mode 1
		.amdhsa_memory_ordered 1
		.amdhsa_forward_progress 0
		.amdhsa_shared_vgpr_count 0
		.amdhsa_exception_fp_ieee_invalid_op 0
		.amdhsa_exception_fp_denorm_src 0
		.amdhsa_exception_fp_ieee_div_zero 0
		.amdhsa_exception_fp_ieee_overflow 0
		.amdhsa_exception_fp_ieee_underflow 0
		.amdhsa_exception_fp_ieee_inexact 0
		.amdhsa_exception_int_div_zero 0
	.end_amdhsa_kernel
	.section	.text._ZL33flash_attn_stream_k_fixup_generalILi80ELi2ELi2EEvPfPK15HIP_vector_typeIfLj2EEiiiiS1_IjLj3EES5_S5_S5_,"axG",@progbits,_ZL33flash_attn_stream_k_fixup_generalILi80ELi2ELi2EEvPfPK15HIP_vector_typeIfLj2EEiiiiS1_IjLj3EES5_S5_S5_,comdat
.Lfunc_end48:
	.size	_ZL33flash_attn_stream_k_fixup_generalILi80ELi2ELi2EEvPfPK15HIP_vector_typeIfLj2EEiiiiS1_IjLj3EES5_S5_S5_, .Lfunc_end48-_ZL33flash_attn_stream_k_fixup_generalILi80ELi2ELi2EEvPfPK15HIP_vector_typeIfLj2EEiiiiS1_IjLj3EES5_S5_S5_
                                        ; -- End function
	.section	.AMDGPU.csdata,"",@progbits
; Kernel info:
; codeLenInByte = 3224
; NumSgprs: 34
; NumVgprs: 19
; ScratchSize: 0
; MemoryBound: 0
; FloatMode: 240
; IeeeMode: 1
; LDSByteSize: 0 bytes/workgroup (compile time only)
; SGPRBlocks: 4
; VGPRBlocks: 2
; NumSGPRsForWavesPerEU: 34
; NumVGPRsForWavesPerEU: 19
; Occupancy: 16
; WaveLimiterHint : 0
; COMPUTE_PGM_RSRC2:SCRATCH_EN: 0
; COMPUTE_PGM_RSRC2:USER_SGPR: 13
; COMPUTE_PGM_RSRC2:TRAP_HANDLER: 0
; COMPUTE_PGM_RSRC2:TGID_X_EN: 1
; COMPUTE_PGM_RSRC2:TGID_Y_EN: 1
; COMPUTE_PGM_RSRC2:TGID_Z_EN: 1
; COMPUTE_PGM_RSRC2:TIDIG_COMP_CNT: 0
	.section	.text._ZL15flash_attn_tileILi80ELi80ELi1ELi2ELb0EEvPKcS1_S1_S1_S1_PKiPfP15HIP_vector_typeIfLj2EEffffjfiS5_IjLj3EEiiiiiiiiiiiliiliiiiil,"axG",@progbits,_ZL15flash_attn_tileILi80ELi80ELi1ELi2ELb0EEvPKcS1_S1_S1_S1_PKiPfP15HIP_vector_typeIfLj2EEffffjfiS5_IjLj3EEiiiiiiiiiiiliiliiiiil,comdat
	.globl	_ZL15flash_attn_tileILi80ELi80ELi1ELi2ELb0EEvPKcS1_S1_S1_S1_PKiPfP15HIP_vector_typeIfLj2EEffffjfiS5_IjLj3EEiiiiiiiiiiiliiliiiiil ; -- Begin function _ZL15flash_attn_tileILi80ELi80ELi1ELi2ELb0EEvPKcS1_S1_S1_S1_PKiPfP15HIP_vector_typeIfLj2EEffffjfiS5_IjLj3EEiiiiiiiiiiiliiliiiiil
	.p2align	8
	.type	_ZL15flash_attn_tileILi80ELi80ELi1ELi2ELb0EEvPKcS1_S1_S1_S1_PKiPfP15HIP_vector_typeIfLj2EEffffjfiS5_IjLj3EEiiiiiiiiiiiliiliiiiil,@function
_ZL15flash_attn_tileILi80ELi80ELi1ELi2ELb0EEvPKcS1_S1_S1_S1_PKiPfP15HIP_vector_typeIfLj2EEffffjfiS5_IjLj3EEiiiiiiiiiiiliiliiiiil: ; @_ZL15flash_attn_tileILi80ELi80ELi1ELi2ELb0EEvPKcS1_S1_S1_S1_PKiPfP15HIP_vector_typeIfLj2EEffffjfiS5_IjLj3EEiiiiiiiiiiiliiliiiiil
; %bb.0:
	s_clause 0x1
	s_load_b128 s[8:11], s[0:1], 0x5c
	s_load_b64 s[34:35], s[0:1], 0x80
	s_mov_b64 s[36:37], 0
	s_waitcnt lgkmcnt(0)
	s_lshr_b32 s2, s11, 31
	s_delay_alu instid0(SALU_CYCLE_1) | instskip(NEXT) | instid1(SALU_CYCLE_1)
	s_add_i32 s2, s11, s2
	s_ashr_i32 s2, s2, 1
	s_delay_alu instid0(SALU_CYCLE_1) | instskip(SKIP_1) | instid1(VALU_DEP_1)
	v_cvt_f32_u32_e32 v1, s2
	s_sub_i32 s4, 0, s2
	v_rcp_iflag_f32_e32 v1, v1
	s_waitcnt_depctr 0xfff
	v_mul_f32_e32 v1, 0x4f7ffffe, v1
	s_delay_alu instid0(VALU_DEP_1) | instskip(NEXT) | instid1(VALU_DEP_1)
	v_cvt_u32_f32_e32 v1, v1
	v_readfirstlane_b32 s3, v1
	s_delay_alu instid0(VALU_DEP_1) | instskip(NEXT) | instid1(SALU_CYCLE_1)
	s_mul_i32 s4, s4, s3
	s_mul_hi_u32 s4, s3, s4
	s_delay_alu instid0(SALU_CYCLE_1) | instskip(NEXT) | instid1(SALU_CYCLE_1)
	s_add_i32 s3, s3, s4
	s_mul_hi_u32 s3, s15, s3
	s_delay_alu instid0(SALU_CYCLE_1) | instskip(SKIP_2) | instid1(SALU_CYCLE_1)
	s_mul_i32 s4, s3, s2
	s_add_i32 s5, s3, 1
	s_sub_i32 s4, s15, s4
	s_sub_i32 s6, s4, s2
	s_cmp_ge_u32 s4, s2
	s_cselect_b32 s3, s5, s3
	s_cselect_b32 s4, s6, s4
	s_add_i32 s5, s3, 1
	s_cmp_ge_u32 s4, s2
	s_cselect_b32 s12, s5, s3
	s_abs_i32 s2, s35
	s_abs_i32 s5, s11
	v_cvt_f32_u32_e32 v1, s2
	s_sub_i32 s4, 0, s2
	s_xor_b32 s6, s11, s35
	s_delay_alu instid0(SALU_CYCLE_1) | instskip(NEXT) | instid1(VALU_DEP_1)
	s_ashr_i32 s6, s6, 31
	v_rcp_iflag_f32_e32 v1, v1
	s_waitcnt_depctr 0xfff
	v_mul_f32_e32 v1, 0x4f7ffffe, v1
	s_delay_alu instid0(VALU_DEP_1) | instskip(NEXT) | instid1(VALU_DEP_1)
	v_cvt_u32_f32_e32 v1, v1
	v_readfirstlane_b32 s3, v1
	s_delay_alu instid0(VALU_DEP_1) | instskip(NEXT) | instid1(SALU_CYCLE_1)
	s_mul_i32 s4, s4, s3
	s_mul_hi_u32 s4, s3, s4
	s_delay_alu instid0(SALU_CYCLE_1) | instskip(SKIP_2) | instid1(SALU_CYCLE_1)
	s_add_i32 s3, s3, s4
	s_lshl_b32 s4, s15, 1
	s_mul_hi_u32 s3, s5, s3
	s_mul_i32 s7, s3, s2
	s_delay_alu instid0(SALU_CYCLE_1)
	s_sub_i32 s5, s5, s7
	s_add_i32 s7, s3, 1
	s_sub_i32 s15, s5, s2
	s_cmp_ge_u32 s5, s2
	s_cselect_b32 s3, s7, s3
	s_cselect_b32 s5, s15, s5
	s_add_i32 s7, s3, 1
	s_cmp_ge_u32 s5, s2
	s_mul_i32 s5, s12, s11
	s_cselect_b32 s2, s7, s3
	s_delay_alu instid0(SALU_CYCLE_1) | instskip(NEXT) | instid1(SALU_CYCLE_1)
	s_xor_b32 s2, s2, s6
	s_sub_i32 s35, s2, s6
	s_clause 0x1
	s_load_b512 s[16:31], s[0:1], 0x0
	s_load_b64 s[2:3], s[0:1], 0xb8
	s_abs_i32 s33, s35
	s_delay_alu instid0(SALU_CYCLE_1) | instskip(NEXT) | instid1(VALU_DEP_1)
	v_cvt_f32_u32_e32 v1, s33
	v_rcp_iflag_f32_e32 v1, v1
	s_waitcnt_depctr 0xfff
	v_mul_f32_e32 v1, 0x4f7ffffe, v1
	s_waitcnt lgkmcnt(0)
	s_cmp_eq_u64 s[22:23], 0
	s_delay_alu instid0(VALU_DEP_1) | instskip(NEXT) | instid1(VALU_DEP_1)
	v_cvt_u32_f32_e32 v1, v1
	v_readfirstlane_b32 s38, v1
	s_cbranch_scc1 .LBB49_2
; %bb.1:
	s_abs_i32 s2, s2
	s_abs_i32 s15, s12
	v_cvt_f32_u32_e32 v1, s2
	s_sub_i32 s7, 0, s2
	s_delay_alu instid0(VALU_DEP_1) | instskip(SKIP_2) | instid1(VALU_DEP_1)
	v_rcp_iflag_f32_e32 v1, v1
	s_waitcnt_depctr 0xfff
	v_mul_f32_e32 v1, 0x4f7ffffe, v1
	v_cvt_u32_f32_e32 v1, v1
	s_delay_alu instid0(VALU_DEP_1) | instskip(NEXT) | instid1(VALU_DEP_1)
	v_readfirstlane_b32 s6, v1
	s_mul_i32 s7, s7, s6
	s_delay_alu instid0(SALU_CYCLE_1) | instskip(NEXT) | instid1(SALU_CYCLE_1)
	s_mul_hi_u32 s7, s6, s7
	s_add_i32 s36, s6, s7
	s_load_b64 s[6:7], s[0:1], 0xc8
	s_mul_hi_u32 s36, s15, s36
	s_delay_alu instid0(SALU_CYCLE_1) | instskip(NEXT) | instid1(SALU_CYCLE_1)
	s_mul_i32 s36, s36, s2
	s_sub_i32 s15, s15, s36
	s_ashr_i32 s36, s12, 31
	s_sub_i32 s37, s15, s2
	s_cmp_ge_u32 s15, s2
	s_cselect_b32 s15, s37, s15
	s_delay_alu instid0(SALU_CYCLE_1) | instskip(SKIP_2) | instid1(SALU_CYCLE_1)
	s_sub_i32 s37, s15, s2
	s_cmp_ge_u32 s15, s2
	s_cselect_b32 s2, s37, s15
	s_xor_b32 s2, s2, s36
	s_delay_alu instid0(SALU_CYCLE_1)
	s_sub_i32 s2, s2, s36
	s_waitcnt lgkmcnt(0)
	s_mul_i32 s7, s2, s7
	s_mul_hi_u32 s15, s2, s6
	s_ashr_i32 s36, s2, 31
	s_add_i32 s7, s15, s7
	s_mul_i32 s36, s36, s6
	s_mul_i32 s2, s2, s6
	s_add_i32 s7, s7, s36
	s_add_u32 s36, s22, s2
	s_addc_u32 s37, s23, s7
.LBB49_2:
	v_bfe_u32 v1, v0, 10, 10
	v_and_b32_e32 v40, 0x3ff, v0
	s_sub_i32 s15, s4, s5
	s_delay_alu instid0(VALU_DEP_2) | instskip(SKIP_1) | instid1(VALU_DEP_3)
	v_lshrrev_b32_e32 v56, 1, v1
	v_and_b32_e32 v55, 1, v1
	v_cmp_gt_u32_e64 s2, 20, v40
	s_delay_alu instid0(VALU_DEP_3) | instskip(NEXT) | instid1(VALU_DEP_1)
	v_add_nc_u32_e32 v2, s13, v56
	v_mul_hi_u32 v0, s8, v2
	s_delay_alu instid0(VALU_DEP_3)
	s_and_saveexec_b32 s4, s2
	s_cbranch_execz .LBB49_4
; %bb.3:
	s_load_b128 s[40:43], s[0:1], 0x70
	s_delay_alu instid0(VALU_DEP_1) | instskip(SKIP_1) | instid1(VALU_DEP_2)
	v_add_nc_u32_e32 v3, v2, v0
	v_lshlrev_b32_e32 v10, 1, v40
	v_lshrrev_b32_e32 v3, s9, v3
	s_delay_alu instid0(VALU_DEP_1) | instskip(NEXT) | instid1(VALU_DEP_1)
	v_mul_lo_u32 v3, v3, s10
	v_sub_nc_u32_e32 v5, v2, v3
	s_waitcnt lgkmcnt(0)
	s_mul_i32 s5, s12, s42
	s_mul_i32 s6, s15, s41
	s_ashr_i32 s7, s5, 31
	s_add_u32 s5, s16, s5
	s_addc_u32 s7, s17, s7
	s_ashr_i32 s8, s6, 31
	s_add_u32 s5, s5, s6
	s_addc_u32 s6, s7, s8
	s_ashr_i32 s7, s40, 31
	s_ashr_i32 s8, s41, 31
	v_alignbit_b32 v6, s7, s40, 2
	v_alignbit_b32 v9, s8, s41, 2
	s_lshr_b32 s8, s8, 2
	s_lshr_b32 s7, s7, 2
	s_delay_alu instid0(VALU_DEP_2) | instskip(SKIP_1) | instid1(VALU_DEP_2)
	v_mad_u64_u32 v[3:4], null, v6, v5, 0
	v_mul_lo_u32 v6, s8, v55
	v_mad_u64_u32 v[7:8], null, s7, v5, v[4:5]
	v_mul_lo_u32 v5, v9, v55
	v_mul_u32_u24_e32 v9, 40, v1
	s_delay_alu instid0(VALU_DEP_3) | instskip(NEXT) | instid1(VALU_DEP_3)
	v_dual_mov_b32 v4, v7 :: v_dual_lshlrev_b32 v7, 4, v40
	v_lshlrev_b64 v[5:6], 2, v[5:6]
	s_delay_alu instid0(VALU_DEP_2) | instskip(NEXT) | instid1(VALU_DEP_2)
	v_lshlrev_b64 v[3:4], 2, v[3:4]
	v_add_co_u32 v5, vcc_lo, s5, v5
	s_delay_alu instid0(VALU_DEP_3) | instskip(SKIP_1) | instid1(VALU_DEP_2)
	v_add_co_ci_u32_e32 v6, vcc_lo, s6, v6, vcc_lo
	s_load_b32 s5, s[0:1], 0x40
	v_add_co_u32 v3, vcc_lo, v5, v3
	s_delay_alu instid0(VALU_DEP_2) | instskip(NEXT) | instid1(VALU_DEP_2)
	v_add_co_ci_u32_e32 v4, vcc_lo, v6, v4, vcc_lo
	v_add_co_u32 v3, vcc_lo, v3, v7
	s_delay_alu instid0(VALU_DEP_2)
	v_add_co_ci_u32_e32 v4, vcc_lo, 0, v4, vcc_lo
	global_load_b128 v[3:6], v[3:4], off
	s_waitcnt vmcnt(0) lgkmcnt(0)
	v_fma_mixlo_f16 v8, v5, s5, 0
	v_fma_mixlo_f16 v7, v3, s5, 0
	v_add_lshl_u32 v3, v9, v10, 2
	s_delay_alu instid0(VALU_DEP_3) | instskip(NEXT) | instid1(VALU_DEP_3)
	v_fma_mixhi_f16 v8, v6, s5, 0
	v_fma_mixhi_f16 v7, v4, s5, 0
	ds_store_b64 v3, v[7:8] offset:3264
.LBB49_4:
	s_or_b32 exec_lo, exec_lo, s4
	s_cmp_eq_u64 s[26:27], 0
	s_waitcnt lgkmcnt(0)
	s_barrier
	buffer_gl0_inv
	s_cbranch_scc1 .LBB49_6
; %bb.5:
	s_load_b32 s4, s[0:1], 0xd0
	s_mov_b32 s5, 0
	s_waitcnt lgkmcnt(0)
	s_mul_i32 s4, s4, s12
	s_delay_alu instid0(SALU_CYCLE_1) | instskip(NEXT) | instid1(SALU_CYCLE_1)
	s_add_i32 s4, s4, s13
	s_lshl_b64 s[4:5], s[4:5], 2
	s_delay_alu instid0(SALU_CYCLE_1)
	s_add_u32 s4, s26, s4
	s_addc_u32 s5, s27, s5
	s_load_b32 s34, s[4:5], 0x0
.LBB49_6:
	v_mbcnt_lo_u32_b32 v57, -1, 0
	s_lshl_b32 s16, s14, 5
	s_waitcnt lgkmcnt(0)
	s_cmp_lt_i32 s16, s34
	s_cbranch_scc1 .LBB49_8
; %bb.7:
	v_mbcnt_lo_u32_b32 v3, -1, 0
	v_mov_b32_e32 v59, 32
	s_mov_b32 s4, 0
	s_mov_b32 s5, 0xfeffffff
	s_delay_alu instid0(VALU_DEP_2)
	v_xor_b32_e32 v76, 16, v3
	v_xor_b32_e32 v77, 8, v3
	;; [unrolled: 1-line block ×5, first 2 shown]
	s_branch .LBB49_9
.LBB49_8:
	s_mov_b32 s4, -1
                                        ; implicit-def: $sgpr5
                                        ; implicit-def: $vgpr3
                                        ; implicit-def: $vgpr59
                                        ; implicit-def: $vgpr76
                                        ; implicit-def: $vgpr77
                                        ; implicit-def: $vgpr78
                                        ; implicit-def: $vgpr79
                                        ; implicit-def: $vgpr80
.LBB49_9:
	s_delay_alu instid0(SALU_CYCLE_1)
	v_cndmask_b32_e64 v4, 0, 1, s4
	v_mov_b32_e32 v60, s4
	v_mov_b32_e32 v54, s5
	;; [unrolled: 1-line block ×4, first 2 shown]
	v_cmp_ne_u32_e32 vcc_lo, 1, v4
	s_cbranch_vccnz .LBB49_22
; %bb.10:
	s_clause 0x1
	s_load_b128 s[4:7], s[0:1], 0x98
	s_load_b64 s[22:23], s[0:1], 0x8c
	s_sub_i32 s8, 0, s33
	v_dual_mov_b32 v81, 0xfeffffff :: v_dual_add_nc_u32 v0, v2, v0
	s_mul_i32 s8, s8, s38
	s_abs_i32 s39, s15
	s_mul_hi_u32 s8, s38, s8
	s_delay_alu instid0(VALU_DEP_1)
	v_lshrrev_b32_e32 v0, s9, v0
	s_add_i32 s38, s38, s8
	v_lshrrev_b32_e32 v3, 2, v40
	s_mul_hi_u32 s8, s39, s38
	s_ashr_i32 s38, s12, 31
	v_mul_lo_u32 v0, v0, s10
	v_lshrrev_b32_e32 v10, 3, v40
	s_ashr_i32 s40, s15, 31
	s_ashr_i32 s35, s35, 31
	s_load_b64 s[26:27], s[0:1], 0xa8
	s_ashr_i32 s3, s3, 1
	s_mul_i32 s41, s8, s33
	s_waitcnt lgkmcnt(0)
	s_ashr_i32 s17, s6, 2
	s_mul_i32 s5, s12, s5
	s_mul_hi_u32 s6, s12, s4
	s_mul_i32 s42, s38, s4
	s_add_i32 s5, s6, s5
	s_mul_i32 s4, s12, s4
	s_ashr_i32 s22, s22, 2
	s_add_i32 s5, s5, s42
	s_add_u32 s4, s18, s4
	v_dual_mov_b32 v58, 0 :: v_dual_lshlrev_b32 v9, 2, v40
	v_lshrrev_b32_e32 v11, 1, v40
	s_addc_u32 s5, s19, s5
	s_sub_i32 s18, s39, s41
	v_lshl_add_u32 v4, v1, 3, v3
	v_lshl_add_u32 v10, v1, 2, v10
	s_xor_b32 s6, s40, s35
	s_add_i32 s19, s8, 1
	s_sub_i32 s35, s18, s33
	s_cmp_ge_u32 s18, s33
	v_dual_mov_b32 v60, 0 :: v_dual_and_b32 v13, 12, v9
	v_lshl_add_u32 v8, v1, 5, v40
	v_mul_u32_u24_e32 v64, 0xa0, v1
	v_sub_nc_u32_e32 v2, v2, v0
	v_lshl_add_u32 v66, v1, 6, 0xe00
	v_lshl_add_u32 v1, v1, 4, v11
	s_cselect_b32 s8, s19, s8
	s_cselect_b32 s18, s35, s18
	v_mul_lo_u32 v3, s22, v4
	v_mul_lo_u32 v0, s17, v10
	s_add_i32 s19, s8, 1
	s_cmp_ge_u32 s18, s33
	v_lshlrev_b32_e32 v5, 2, v13
	v_mad_u64_u32 v[41:42], null, v2, s3, v[40:41]
	v_dual_mov_b32 v75, 0 :: v_dual_and_b32 v2, 28, v9
	v_and_b32_e32 v68, 4, v9
	v_mul_u32_u24_e32 v12, 0xa0, v1
	s_cselect_b32 s8, s19, s8
	v_mul_lo_u32 v7, s22, v8
	v_mul_lo_u32 v11, s17, v1
	s_xor_b32 s8, s8, s6
	v_mad_u32_u24 v61, 0x60, v4, v5
	s_sub_i32 s6, s8, s6
	v_lshl_add_u32 v5, s22, 4, v3
	v_lshl_add_u32 v9, s17, 3, v0
	v_lshlrev_b32_e32 v14, 2, v2
	v_lshl_or_b32 v12, v68, 2, v12
	s_mul_i32 s18, s6, s23
	s_mul_i32 s27, s12, s27
	s_mul_hi_u32 s8, s12, s26
	s_ashr_i32 s19, s18, 31
	s_add_u32 s18, s4, s18
	v_cmp_gt_u32_e32 vcc_lo, 32, v8
	v_ashrrev_i32_e32 v4, 31, v3
	v_ashrrev_i32_e32 v6, 31, v5
	v_mad_u32_u24 v65, 0x60, v8, 64
	v_ashrrev_i32_e32 v8, 31, v7
	v_cmp_gt_u32_e64 s3, 16, v1
	v_ashrrev_i32_e32 v1, 31, v0
	v_mad_u32_u24 v69, 0xa0, v10, v14
	v_ashrrev_i32_e32 v10, 31, v9
	v_add_nc_u32_e32 v71, 0x80, v12
	v_ashrrev_i32_e32 v12, 31, v11
	s_mul_i32 s38, s38, s26
	s_addc_u32 s19, s5, s19
	s_add_i32 s4, s8, s27
	s_mul_i32 s5, s12, s26
	s_add_i32 s4, s4, s38
	s_mul_i32 s6, s6, s7
	s_add_u32 s5, s20, s5
	s_addc_u32 s4, s21, s4
	s_ashr_i32 s8, s6, 31
	v_lshlrev_b64 v[42:43], 2, v[7:8]
	v_lshlrev_b64 v[44:45], 2, v[3:4]
	;; [unrolled: 1-line block ×6, first 2 shown]
	s_add_u32 s7, s5, s6
	v_dual_mov_b32 v59, 32 :: v_dual_add_nc_u32 v62, 0x600, v61
	v_mul_u32_u24_e32 v63, 0x60, v40
	v_lshl_add_u32 v67, v40, 1, v66
	v_lshlrev_b32_e32 v70, 3, v40
	v_add_nc_u32_e32 v72, 0x500, v69
	v_lshlrev_b32_e32 v73, 2, v13
	v_lshlrev_b32_e32 v74, 2, v2
	s_addc_u32 s20, s4, s8
	s_add_u32 s8, s0, 0xd0
	s_addc_u32 s9, s1, 0
.LBB49_11:                              ; =>This Inner Loop Header: Depth=1
	s_mul_hi_i32 s5, s16, s22
	s_mul_i32 s4, s16, s22
	s_delay_alu instid0(SALU_CYCLE_1) | instskip(NEXT) | instid1(SALU_CYCLE_1)
	s_lshl_b64 s[26:27], s[4:5], 2
	s_add_u32 s5, s18, s26
	s_addc_u32 s6, s19, s27
	s_and_saveexec_b32 s21, vcc_lo
	s_cbranch_execz .LBB49_13
; %bb.12:                               ;   in Loop: Header=BB49_11 Depth=1
	v_add_co_u32 v0, s4, s5, v42
	s_delay_alu instid0(VALU_DEP_1)
	v_add_co_ci_u32_e64 v1, s4, s6, v43, s4
	global_load_b128 v[0:3], v[0:1], off offset:64
	s_waitcnt vmcnt(0)
	ds_store_b128 v65, v[0:3]
.LBB49_13:                              ;   in Loop: Header=BB49_11 Depth=1
	s_or_b32 exec_lo, exec_lo, s21
	v_add_co_u32 v0, s4, s5, v44
	s_delay_alu instid0(VALU_DEP_1) | instskip(SKIP_1) | instid1(VALU_DEP_1)
	v_add_co_ci_u32_e64 v1, s4, s6, v45, s4
	v_add_co_u32 v2, s4, s5, v46
	v_add_co_ci_u32_e64 v3, s4, s6, v47, s4
	s_delay_alu instid0(VALU_DEP_4) | instskip(NEXT) | instid1(VALU_DEP_1)
	v_add_co_u32 v0, s4, v0, v73
	v_add_co_ci_u32_e64 v1, s4, 0, v1, s4
	s_delay_alu instid0(VALU_DEP_4) | instskip(NEXT) | instid1(VALU_DEP_1)
	v_add_co_u32 v2, s4, v2, v73
	v_add_co_ci_u32_e64 v3, s4, 0, v3, s4
	s_clause 0x1
	global_load_b128 v[4:7], v[0:1], off
	global_load_b128 v[8:11], v[2:3], off
	s_waitcnt vmcnt(1)
	ds_store_b128 v61, v[4:7]
	s_waitcnt vmcnt(0)
	ds_store_b128 v62, v[8:11]
	s_waitcnt lgkmcnt(0)
	s_barrier
	buffer_gl0_inv
	ds_load_b128 v[5:8], v63
	ds_load_b128 v[9:12], v64 offset:3264
	v_mov_b32_e32 v4, 0
	s_waitcnt lgkmcnt(0)
	;;#ASMSTART
	v_dot2_f32_f16 v4, v5, v9, v4
	;;#ASMEND
	;;#ASMSTART
	v_dot2_f32_f16 v4, v6, v10, v4
	;;#ASMEND
	;;#ASMSTART
	v_dot2_f32_f16 v4, v7, v11, v4
	;;#ASMEND
	;;#ASMSTART
	v_dot2_f32_f16 v4, v8, v12, v4
	;;#ASMEND
	ds_load_b128 v[5:8], v63 offset:16
	ds_load_b128 v[9:12], v64 offset:3280
	s_waitcnt lgkmcnt(0)
	;;#ASMSTART
	v_dot2_f32_f16 v4, v5, v9, v4
	;;#ASMEND
	;;#ASMSTART
	v_dot2_f32_f16 v4, v6, v10, v4
	;;#ASMEND
	;;#ASMSTART
	v_dot2_f32_f16 v4, v7, v11, v4
	;;#ASMEND
	;;#ASMSTART
	v_dot2_f32_f16 v4, v8, v12, v4
	;;#ASMEND
	ds_load_b128 v[5:8], v63 offset:32
	ds_load_b128 v[9:12], v64 offset:3296
	;; [unrolled: 15-line block ×4, first 2 shown]
	s_waitcnt lgkmcnt(0)
	;;#ASMSTART
	v_dot2_f32_f16 v4, v5, v9, v4
	;;#ASMEND
	;;#ASMSTART
	v_dot2_f32_f16 v4, v6, v10, v4
	;;#ASMEND
	;; [unrolled: 3-line block ×4, first 2 shown]
	s_barrier
	buffer_gl0_inv
	s_and_saveexec_b32 s21, vcc_lo
	s_cbranch_execz .LBB49_15
; %bb.14:                               ;   in Loop: Header=BB49_11 Depth=1
	v_add_co_u32 v5, s4, s5, v42
	s_delay_alu instid0(VALU_DEP_1)
	v_add_co_ci_u32_e64 v6, s4, s6, v43, s4
	global_load_b128 v[5:8], v[5:6], off offset:144
	s_waitcnt vmcnt(0)
	ds_store_b128 v65, v[5:8]
.LBB49_15:                              ;   in Loop: Header=BB49_11 Depth=1
	s_or_b32 exec_lo, exec_lo, s21
	s_clause 0x1
	global_load_b128 v[5:8], v[0:1], off offset:80
	global_load_b128 v[0:3], v[2:3], off offset:80
	v_xor_b32_e32 v76, 16, v57
	v_xor_b32_e32 v77, 8, v57
	;; [unrolled: 1-line block ×5, first 2 shown]
	s_mul_hi_i32 s5, s16, s17
	v_lshlrev_b32_e32 v85, 2, v68
	s_waitcnt vmcnt(1)
	ds_store_b128 v61, v[5:8]
	s_waitcnt vmcnt(0)
	ds_store_b128 v62, v[0:3]
	s_waitcnt lgkmcnt(0)
	s_barrier
	buffer_gl0_inv
	ds_load_b128 v[0:3], v63
	ds_load_b128 v[5:8], v64 offset:3344
	s_waitcnt lgkmcnt(0)
	;;#ASMSTART
	v_dot2_f32_f16 v4, v0, v5, v4
	;;#ASMEND
	;;#ASMSTART
	v_dot2_f32_f16 v4, v1, v6, v4
	;;#ASMEND
	;;#ASMSTART
	v_dot2_f32_f16 v4, v2, v7, v4
	;;#ASMEND
	;;#ASMSTART
	v_dot2_f32_f16 v4, v3, v8, v4
	;;#ASMEND
	ds_load_b128 v[0:3], v63 offset:16
	ds_load_b128 v[5:8], v64 offset:3360
	s_waitcnt lgkmcnt(0)
	;;#ASMSTART
	v_dot2_f32_f16 v4, v0, v5, v4
	;;#ASMEND
	;;#ASMSTART
	v_dot2_f32_f16 v4, v1, v6, v4
	;;#ASMEND
	;;#ASMSTART
	v_dot2_f32_f16 v4, v2, v7, v4
	;;#ASMEND
	;;#ASMSTART
	v_dot2_f32_f16 v4, v3, v8, v4
	;;#ASMEND
	ds_load_b128 v[0:3], v63 offset:32
	;; [unrolled: 15-line block ×4, first 2 shown]
	ds_load_b128 v[5:8], v64 offset:3408
	s_waitcnt lgkmcnt(0)
	;;#ASMSTART
	v_dot2_f32_f16 v4, v0, v5, v4
	;;#ASMEND
	;;#ASMSTART
	v_dot2_f32_f16 v4, v1, v6, v4
	;;#ASMEND
	;; [unrolled: 3-line block ×4, first 2 shown]
	v_add_nc_u32_e32 v9, s16, v41
	s_delay_alu instid0(VALU_DEP_1) | instskip(NEXT) | instid1(VALU_DEP_1)
	v_ashrrev_i32_e32 v10, 31, v9
	v_lshlrev_b64 v[9:10], 1, v[9:10]
	s_delay_alu instid0(VALU_DEP_1) | instskip(NEXT) | instid1(VALU_DEP_1)
	v_add_co_u32 v9, s4, s36, v9
	v_add_co_ci_u32_e64 v10, s4, s37, v10, s4
	v_cmp_gt_i32_e64 s4, 32, v76
	flat_load_u16 v0, v[9:10]
	s_waitcnt vmcnt(0) lgkmcnt(0)
	v_cndmask_b32_e64 v2, v57, v76, s4
	v_max_f32_e32 v1, v81, v81
	v_cmp_gt_i32_e64 s4, 32, v77
	s_barrier
	buffer_gl0_inv
	v_lshlrev_b32_e32 v2, 2, v2
	v_cvt_f32_f16_e32 v0, v0
	s_delay_alu instid0(VALU_DEP_1) | instskip(NEXT) | instid1(VALU_DEP_1)
	v_add_f32_e32 v0, v4, v0
	v_add_f32_e32 v3, 0x40051340, v0
	s_delay_alu instid0(VALU_DEP_1)
	v_max_f32_e32 v1, v1, v3
	v_cndmask_b32_e64 v3, v57, v77, s4
	v_cmp_gt_i32_e64 s4, 32, v78
	ds_bpermute_b32 v2, v2, v1
	s_waitcnt lgkmcnt(0)
	v_dual_max_f32 v2, v2, v2 :: v_dual_lshlrev_b32 v3, 2, v3
	s_delay_alu instid0(VALU_DEP_1) | instskip(SKIP_4) | instid1(VALU_DEP_2)
	v_max_f32_e32 v1, v1, v2
	ds_bpermute_b32 v2, v3, v1
	v_cndmask_b32_e64 v3, v57, v78, s4
	v_cmp_gt_i32_e64 s4, 32, v79
	s_waitcnt lgkmcnt(0)
	v_dual_max_f32 v2, v2, v2 :: v_dual_lshlrev_b32 v3, 2, v3
	s_delay_alu instid0(VALU_DEP_1) | instskip(SKIP_4) | instid1(VALU_DEP_2)
	v_max_f32_e32 v1, v1, v2
	ds_bpermute_b32 v2, v3, v1
	v_cndmask_b32_e64 v3, v57, v79, s4
	v_cmp_gt_i32_e64 s4, 32, v80
	s_waitcnt lgkmcnt(0)
	v_dual_max_f32 v2, v2, v2 :: v_dual_lshlrev_b32 v3, 2, v3
	s_delay_alu instid0(VALU_DEP_1) | instskip(SKIP_4) | instid1(VALU_DEP_1)
	v_max_f32_e32 v1, v1, v2
	ds_bpermute_b32 v2, v3, v1
	v_cndmask_b32_e64 v3, v57, v80, s4
	s_waitcnt lgkmcnt(0)
	v_max_f32_e32 v2, v2, v2
	v_max_f32_e32 v1, v1, v2
	s_delay_alu instid0(VALU_DEP_3) | instskip(SKIP_3) | instid1(VALU_DEP_1)
	v_lshlrev_b32_e32 v3, 2, v3
	ds_bpermute_b32 v2, v3, v1
	s_waitcnt lgkmcnt(0)
	v_max_f32_e32 v2, v2, v2
	v_max_f32_e32 v54, v1, v2
	s_delay_alu instid0(VALU_DEP_1) | instskip(NEXT) | instid1(VALU_DEP_1)
	v_sub_f32_e32 v0, v0, v54
	v_mul_f32_e32 v1, 0x3fb8aa3b, v0
	s_delay_alu instid0(VALU_DEP_1) | instskip(SKIP_1) | instid1(VALU_DEP_1)
	v_fma_f32 v2, 0x3fb8aa3b, v0, -v1
	v_rndne_f32_e32 v3, v1
	v_dual_sub_f32 v1, v1, v3 :: v_dual_fmac_f32 v2, 0x32a5705f, v0
	v_cmp_ngt_f32_e64 s4, 0xc2ce8ed0, v0
	s_delay_alu instid0(VALU_DEP_2) | instskip(SKIP_1) | instid1(VALU_DEP_2)
	v_add_f32_e32 v1, v1, v2
	v_cvt_i32_f32_e32 v2, v3
	v_exp_f32_e32 v1, v1
	s_waitcnt_depctr 0xfff
	v_ldexp_f32 v1, v1, v2
	s_delay_alu instid0(VALU_DEP_1) | instskip(SKIP_1) | instid1(VALU_DEP_1)
	v_cndmask_b32_e64 v1, 0, v1, s4
	v_cmp_nlt_f32_e64 s4, 0x42b17218, v0
	v_cndmask_b32_e64 v82, 0x7f800000, v1, s4
	s_mul_i32 s4, s16, s17
	s_delay_alu instid0(SALU_CYCLE_1) | instskip(NEXT) | instid1(VALU_DEP_1)
	s_lshl_b64 s[26:27], s[4:5], 2
	v_cvt_f16_f32_e32 v0, v82
	s_add_u32 s5, s7, s26
	s_addc_u32 s6, s20, s27
	ds_store_b16 v67, v0
	s_and_saveexec_b32 s21, s3
	s_cbranch_execz .LBB49_17
; %bb.16:                               ;   in Loop: Header=BB49_11 Depth=1
	v_add_co_u32 v0, s4, s5, v48
	s_delay_alu instid0(VALU_DEP_1) | instskip(NEXT) | instid1(VALU_DEP_2)
	v_add_co_ci_u32_e64 v1, s4, s6, v49, s4
	v_add_co_u32 v0, s4, v0, v85
	s_delay_alu instid0(VALU_DEP_1)
	v_add_co_ci_u32_e64 v1, s4, 0, v1, s4
	global_load_b128 v[0:3], v[0:1], off offset:128
	s_waitcnt vmcnt(0)
	ds_store_b128 v71, v[0:3]
.LBB49_17:                              ;   in Loop: Header=BB49_11 Depth=1
	s_or_b32 exec_lo, exec_lo, s21
	v_add_co_u32 v0, s4, s5, v50
	s_delay_alu instid0(VALU_DEP_1) | instskip(SKIP_1) | instid1(VALU_DEP_1)
	v_add_co_ci_u32_e64 v1, s4, s6, v51, s4
	v_add_co_u32 v2, s4, s5, v52
	v_add_co_ci_u32_e64 v3, s4, s6, v53, s4
	s_delay_alu instid0(VALU_DEP_4) | instskip(NEXT) | instid1(VALU_DEP_1)
	v_add_co_u32 v0, s4, v0, v74
	v_add_co_ci_u32_e64 v1, s4, 0, v1, s4
	s_delay_alu instid0(VALU_DEP_4) | instskip(NEXT) | instid1(VALU_DEP_1)
	v_add_co_u32 v4, s4, v2, v74
	v_add_co_ci_u32_e64 v5, s4, 0, v3, s4
	s_clause 0x1
	global_load_b128 v[0:3], v[0:1], off
	global_load_b128 v[4:7], v[4:5], off
	v_add_nc_u32_e32 v84, 0x400, v70
	v_add_nc_u32_e32 v83, 0x800, v70
	v_sub_f32_e32 v81, v81, v54
	s_or_b32 s6, s16, 16
	s_waitcnt vmcnt(1)
	ds_store_b128 v69, v[0:3]
	s_waitcnt vmcnt(0)
	ds_store_b128 v72, v[4:7]
	s_waitcnt lgkmcnt(0)
	s_barrier
	buffer_gl0_inv
	ds_load_2addr_b64 v[36:39], v70 offset1:20
	ds_load_b128 v[16:19], v66
	ds_load_b128 v[0:3], v66 offset:16
	ds_load_2addr_b64 v[32:35], v70 offset0:40 offset1:60
	ds_load_2addr_b64 v[28:31], v70 offset0:80 offset1:100
	;; [unrolled: 1-line block ×7, first 2 shown]
	s_mul_hi_i32 s27, s6, s17
	s_mul_i32 s26, s6, s17
	v_cmp_ngt_f32_e64 s4, 0xc2ce8ed0, v81
	v_cmp_nlt_f32_e64 s5, 0x42b17218, v81
	s_lshl_b64 s[26:27], s[26:27], 2
	s_waitcnt lgkmcnt(0)
	s_add_u32 s21, s7, s26
	s_addc_u32 s23, s20, s27
	s_barrier
	buffer_gl0_inv
	s_and_saveexec_b32 s26, s3
	s_cbranch_execz .LBB49_19
; %bb.18:                               ;   in Loop: Header=BB49_11 Depth=1
	v_add_co_u32 v86, s6, s21, v48
	s_delay_alu instid0(VALU_DEP_1) | instskip(NEXT) | instid1(VALU_DEP_2)
	v_add_co_ci_u32_e64 v87, s6, s23, v49, s6
	v_add_co_u32 v85, s6, v86, v85
	s_delay_alu instid0(VALU_DEP_1)
	v_add_co_ci_u32_e64 v86, s6, 0, v87, s6
	global_load_b128 v[85:88], v[85:86], off offset:128
	s_waitcnt vmcnt(0)
	ds_store_b128 v71, v[85:88]
.LBB49_19:                              ;   in Loop: Header=BB49_11 Depth=1
	s_or_b32 exec_lo, exec_lo, s26
	v_add_co_u32 v85, s6, s21, v50
	s_delay_alu instid0(VALU_DEP_1) | instskip(SKIP_1) | instid1(VALU_DEP_1)
	v_add_co_ci_u32_e64 v86, s6, s23, v51, s6
	v_add_co_u32 v87, s6, s21, v52
	v_add_co_ci_u32_e64 v88, s6, s23, v53, s6
	s_delay_alu instid0(VALU_DEP_4) | instskip(NEXT) | instid1(VALU_DEP_1)
	v_add_co_u32 v85, s6, v85, v74
	v_add_co_ci_u32_e64 v86, s6, 0, v86, s6
	s_delay_alu instid0(VALU_DEP_4) | instskip(NEXT) | instid1(VALU_DEP_1)
	v_add_co_u32 v89, s6, v87, v74
	v_add_co_ci_u32_e64 v90, s6, 0, v88, s6
	s_clause 0x1
	global_load_b128 v[85:88], v[85:86], off
	global_load_b128 v[89:92], v[89:90], off
	v_mul_f32_e32 v93, 0x3fb8aa3b, v81
	v_pk_mul_f16 v36, v36, v16 op_sel_hi:[1,0]
	v_pk_mul_f16 v37, v37, v16 op_sel_hi:[1,0]
	s_waitcnt vmcnt(1)
	ds_store_b128 v69, v[85:88]
	s_waitcnt vmcnt(0)
	ds_store_b128 v72, v[89:92]
	v_fma_f32 v94, 0x3fb8aa3b, v81, -v93
	v_rndne_f32_e32 v95, v93
	s_waitcnt lgkmcnt(0)
	s_barrier
	buffer_gl0_inv
	v_dual_fmac_f32 v94, 0x32a5705f, v81 :: v_dual_sub_f32 v81, v93, v95
	v_cvt_i32_f32_e32 v93, v95
	s_delay_alu instid0(VALU_DEP_2) | instskip(NEXT) | instid1(VALU_DEP_1)
	v_add_f32_e32 v81, v81, v94
	v_exp_f32_e32 v81, v81
	s_waitcnt_depctr 0xfff
	v_ldexp_f32 v81, v81, v93
	s_delay_alu instid0(VALU_DEP_1) | instskip(NEXT) | instid1(VALU_DEP_1)
	v_cndmask_b32_e64 v81, 0, v81, s4
	v_cndmask_b32_e64 v81, 0x7f800000, v81, s5
	s_delay_alu instid0(VALU_DEP_1) | instskip(SKIP_1) | instid1(VALU_DEP_2)
	v_cvt_f16_f32_e32 v93, v81
	v_fmac_f32_e32 v82, v75, v81
	v_pk_fma_f16 v36, v58, v93, v36 op_sel_hi:[1,0,1]
	v_pk_fma_f16 v37, v60, v93, v37 op_sel_hi:[1,0,1]
	s_delay_alu instid0(VALU_DEP_2) | instskip(NEXT) | instid1(VALU_DEP_2)
	v_pk_fma_f16 v36, v38, v16, v36 op_sel:[0,1,0]
	v_pk_fma_f16 v16, v39, v16, v37 op_sel:[0,1,0]
	s_delay_alu instid0(VALU_DEP_2) | instskip(NEXT) | instid1(VALU_DEP_2)
	v_pk_fma_f16 v32, v32, v17, v36 op_sel_hi:[1,0,1]
	v_pk_fma_f16 v16, v33, v17, v16 op_sel_hi:[1,0,1]
	s_delay_alu instid0(VALU_DEP_2) | instskip(NEXT) | instid1(VALU_DEP_2)
	v_pk_fma_f16 v32, v34, v17, v32 op_sel:[0,1,0]
	v_pk_fma_f16 v16, v35, v17, v16 op_sel:[0,1,0]
	s_delay_alu instid0(VALU_DEP_2) | instskip(NEXT) | instid1(VALU_DEP_2)
	v_pk_fma_f16 v17, v28, v18, v32 op_sel_hi:[1,0,1]
	v_pk_fma_f16 v16, v29, v18, v16 op_sel_hi:[1,0,1]
	s_delay_alu instid0(VALU_DEP_2) | instskip(NEXT) | instid1(VALU_DEP_2)
	v_pk_fma_f16 v17, v30, v18, v17 op_sel:[0,1,0]
	v_pk_fma_f16 v16, v31, v18, v16 op_sel:[0,1,0]
	s_delay_alu instid0(VALU_DEP_2) | instskip(NEXT) | instid1(VALU_DEP_2)
	v_pk_fma_f16 v17, v24, v19, v17 op_sel_hi:[1,0,1]
	v_pk_fma_f16 v16, v25, v19, v16 op_sel_hi:[1,0,1]
	s_delay_alu instid0(VALU_DEP_2) | instskip(NEXT) | instid1(VALU_DEP_2)
	v_pk_fma_f16 v17, v26, v19, v17 op_sel:[0,1,0]
	v_pk_fma_f16 v16, v27, v19, v16 op_sel:[0,1,0]
	s_delay_alu instid0(VALU_DEP_2) | instskip(NEXT) | instid1(VALU_DEP_2)
	v_pk_fma_f16 v17, v20, v0, v17 op_sel_hi:[1,0,1]
	v_pk_fma_f16 v16, v21, v0, v16 op_sel_hi:[1,0,1]
	s_delay_alu instid0(VALU_DEP_2) | instskip(NEXT) | instid1(VALU_DEP_2)
	v_pk_fma_f16 v17, v22, v0, v17 op_sel:[0,1,0]
	v_pk_fma_f16 v0, v23, v0, v16 op_sel:[0,1,0]
	s_delay_alu instid0(VALU_DEP_2) | instskip(NEXT) | instid1(VALU_DEP_2)
	v_pk_fma_f16 v12, v12, v1, v17 op_sel_hi:[1,0,1]
	v_pk_fma_f16 v0, v13, v1, v0 op_sel_hi:[1,0,1]
	s_delay_alu instid0(VALU_DEP_2) | instskip(NEXT) | instid1(VALU_DEP_2)
	v_pk_fma_f16 v12, v14, v1, v12 op_sel:[0,1,0]
	v_pk_fma_f16 v0, v15, v1, v0 op_sel:[0,1,0]
	s_delay_alu instid0(VALU_DEP_2) | instskip(SKIP_4) | instid1(VALU_DEP_2)
	v_pk_fma_f16 v1, v8, v2, v12 op_sel_hi:[1,0,1]
	ds_load_2addr_b64 v[12:15], v70 offset1:20
	ds_load_b128 v[16:19], v66 offset:32
	v_pk_fma_f16 v0, v9, v2, v0 op_sel_hi:[1,0,1]
	v_pk_fma_f16 v1, v10, v2, v1 op_sel:[0,1,0]
	v_pk_fma_f16 v0, v11, v2, v0 op_sel:[0,1,0]
	ds_load_2addr_b64 v[8:11], v70 offset0:40 offset1:60
	v_pk_fma_f16 v1, v4, v3, v1 op_sel_hi:[1,0,1]
	v_pk_fma_f16 v0, v5, v3, v0 op_sel_hi:[1,0,1]
	s_delay_alu instid0(VALU_DEP_2) | instskip(NEXT) | instid1(VALU_DEP_2)
	v_pk_fma_f16 v20, v6, v3, v1 op_sel:[0,1,0]
	v_pk_fma_f16 v21, v7, v3, v0 op_sel:[0,1,0]
	ds_load_b128 v[0:3], v66 offset:48
	ds_load_2addr_b64 v[4:7], v70 offset0:80 offset1:100
	s_waitcnt lgkmcnt(3)
	v_pk_fma_f16 v12, v12, v16, v20 op_sel_hi:[1,0,1]
	v_pk_fma_f16 v13, v13, v16, v21 op_sel_hi:[1,0,1]
	s_delay_alu instid0(VALU_DEP_2) | instskip(NEXT) | instid1(VALU_DEP_2)
	v_pk_fma_f16 v20, v14, v16, v12 op_sel:[0,1,0]
	v_pk_fma_f16 v16, v15, v16, v13 op_sel:[0,1,0]
	ds_load_2addr_b64 v[12:15], v70 offset0:120 offset1:140
	s_waitcnt lgkmcnt(3)
	v_pk_fma_f16 v8, v8, v17, v20 op_sel_hi:[1,0,1]
	v_pk_fma_f16 v9, v9, v17, v16 op_sel_hi:[1,0,1]
	s_delay_alu instid0(VALU_DEP_2) | instskip(NEXT) | instid1(VALU_DEP_2)
	v_pk_fma_f16 v16, v10, v17, v8 op_sel:[0,1,0]
	v_pk_fma_f16 v17, v11, v17, v9 op_sel:[0,1,0]
	;; [unrolled: 7-line block ×5, first 2 shown]
	ds_load_2addr_b64 v[8:11], v83 offset0:24 offset1:44
	s_waitcnt lgkmcnt(0)
	s_barrier
	v_pk_fma_f16 v4, v4, v1, v16 op_sel_hi:[1,0,1]
	v_pk_fma_f16 v0, v5, v1, v0 op_sel_hi:[1,0,1]
	buffer_gl0_inv
	s_load_b32 s4, s[8:9], 0x4
	v_pk_fma_f16 v4, v6, v1, v4 op_sel:[0,1,0]
	v_pk_fma_f16 v0, v7, v1, v0 op_sel:[0,1,0]
	s_delay_alu instid0(VALU_DEP_2) | instskip(NEXT) | instid1(VALU_DEP_2)
	v_pk_fma_f16 v1, v12, v2, v4 op_sel_hi:[1,0,1]
	v_pk_fma_f16 v0, v13, v2, v0 op_sel_hi:[1,0,1]
	s_delay_alu instid0(VALU_DEP_2) | instskip(NEXT) | instid1(VALU_DEP_2)
	v_pk_fma_f16 v1, v14, v2, v1 op_sel:[0,1,0]
	v_pk_fma_f16 v0, v15, v2, v0 op_sel:[0,1,0]
	s_delay_alu instid0(VALU_DEP_2) | instskip(NEXT) | instid1(VALU_DEP_2)
	v_pk_fma_f16 v1, v8, v3, v1 op_sel_hi:[1,0,1]
	v_pk_fma_f16 v0, v9, v3, v0 op_sel_hi:[1,0,1]
	s_waitcnt lgkmcnt(0)
	s_lshl_b32 s4, s4, 5
	s_delay_alu instid0(VALU_DEP_2) | instskip(NEXT) | instid1(VALU_DEP_2)
	v_pk_fma_f16 v58, v10, v3, v1 op_sel:[0,1,0]
	v_pk_fma_f16 v60, v11, v3, v0 op_sel:[0,1,0]
	s_add_i32 s16, s4, s16
	s_delay_alu instid0(SALU_CYCLE_1)
	s_cmp_lt_i32 s16, s34
	s_cbranch_scc0 .LBB49_21
; %bb.20:                               ;   in Loop: Header=BB49_11 Depth=1
	v_mov_b32_e32 v81, v54
	v_mov_b32_e32 v75, v82
	s_branch .LBB49_11
.LBB49_21:
	v_mov_b32_e32 v3, v57
.LBB49_22:
	v_cmp_lt_i32_e32 vcc_lo, v76, v59
	s_cmp_eq_u64 s[24:25], 0
	s_cselect_b32 s3, -1, 0
	s_cmp_lg_u32 s14, 0
	v_cndmask_b32_e32 v0, v3, v76, vcc_lo
	v_cmp_lt_i32_e32 vcc_lo, v77, v59
	s_cselect_b32 s4, -1, 0
	s_delay_alu instid0(SALU_CYCLE_1) | instskip(SKIP_2) | instid1(VALU_DEP_2)
	s_or_b32 s3, s4, s3
	v_cndmask_b32_e32 v1, v3, v77, vcc_lo
	v_cmp_lt_i32_e32 vcc_lo, v78, v59
	v_lshlrev_b32_e32 v1, 2, v1
	v_lshlrev_b32_e32 v0, 2, v0
	v_cndmask_b32_e32 v2, v3, v78, vcc_lo
	v_cmp_lt_i32_e32 vcc_lo, v79, v59
	ds_bpermute_b32 v0, v0, v82
	v_lshlrev_b32_e32 v2, 2, v2
	s_waitcnt lgkmcnt(0)
	v_add_f32_e32 v0, v82, v0
	ds_bpermute_b32 v1, v1, v0
	s_waitcnt lgkmcnt(0)
	v_add_f32_e32 v0, v0, v1
	ds_bpermute_b32 v1, v2, v0
	v_cndmask_b32_e32 v2, v3, v79, vcc_lo
	v_cmp_lt_i32_e32 vcc_lo, v80, v59
	s_delay_alu instid0(VALU_DEP_2)
	v_lshlrev_b32_e32 v2, 2, v2
	s_waitcnt lgkmcnt(0)
	v_add_f32_e32 v0, v0, v1
	ds_bpermute_b32 v1, v2, v0
	v_cndmask_b32_e32 v2, v3, v80, vcc_lo
	s_and_b32 vcc_lo, exec_lo, s3
	s_waitcnt lgkmcnt(0)
	s_delay_alu instid0(VALU_DEP_1)
	v_dual_add_f32 v1, v0, v1 :: v_dual_lshlrev_b32 v2, 2, v2
	v_add_nc_u32_e32 v0, s15, v55
	ds_bpermute_b32 v2, v2, v1
	s_waitcnt lgkmcnt(0)
	v_add_f32_e32 v55, v1, v2
	s_cbranch_vccnz .LBB49_24
; %bb.23:
	v_ashrrev_i32_e32 v1, 31, v0
	s_delay_alu instid0(VALU_DEP_1) | instskip(NEXT) | instid1(VALU_DEP_1)
	v_lshlrev_b64 v[1:2], 2, v[0:1]
	v_add_co_u32 v1, vcc_lo, s24, v1
	s_delay_alu instid0(VALU_DEP_2) | instskip(SKIP_3) | instid1(VALU_DEP_1)
	v_add_co_ci_u32_e32 v2, vcc_lo, s25, v2, vcc_lo
	global_load_b32 v1, v[1:2], off
	s_waitcnt vmcnt(0)
	v_dual_max_f32 v2, v54, v54 :: v_dual_max_f32 v3, v1, v1
	v_max_f32_e32 v2, v2, v3
	s_delay_alu instid0(VALU_DEP_1) | instskip(NEXT) | instid1(VALU_DEP_1)
	v_sub_f32_e32 v1, v1, v2
	v_mul_f32_e32 v5, 0x3fb8aa3b, v1
	v_sub_f32_e32 v3, v54, v2
	v_mov_b32_e32 v54, v2
	s_delay_alu instid0(VALU_DEP_3) | instskip(NEXT) | instid1(VALU_DEP_3)
	v_rndne_f32_e32 v9, v5
	v_mul_f32_e32 v4, 0x3fb8aa3b, v3
	v_fma_f32 v8, 0x3fb8aa3b, v1, -v5
	s_delay_alu instid0(VALU_DEP_3) | instskip(NEXT) | instid1(VALU_DEP_3)
	v_sub_f32_e32 v5, v5, v9
	v_fma_f32 v6, 0x3fb8aa3b, v3, -v4
	v_rndne_f32_e32 v7, v4
	s_delay_alu instid0(VALU_DEP_4) | instskip(NEXT) | instid1(VALU_DEP_2)
	v_fmac_f32_e32 v8, 0x32a5705f, v1
	v_sub_f32_e32 v4, v4, v7
	s_delay_alu instid0(VALU_DEP_2) | instskip(SKIP_1) | instid1(VALU_DEP_2)
	v_dual_fmac_f32 v6, 0x32a5705f, v3 :: v_dual_add_f32 v5, v5, v8
	v_cmp_ngt_f32_e32 vcc_lo, 0xc2ce8ed0, v3
	v_add_f32_e32 v4, v4, v6
	s_delay_alu instid0(VALU_DEP_3) | instskip(SKIP_2) | instid1(VALU_DEP_3)
	v_exp_f32_e32 v5, v5
	v_cvt_i32_f32_e32 v6, v7
	v_cvt_i32_f32_e32 v7, v9
	v_exp_f32_e32 v4, v4
	s_waitcnt_depctr 0xfff
	v_ldexp_f32 v5, v5, v7
	v_ldexp_f32 v4, v4, v6
	s_delay_alu instid0(VALU_DEP_1) | instskip(SKIP_1) | instid1(VALU_DEP_4)
	v_cndmask_b32_e32 v4, 0, v4, vcc_lo
	v_cmp_ngt_f32_e32 vcc_lo, 0xc2ce8ed0, v1
	v_cndmask_b32_e32 v5, 0, v5, vcc_lo
	v_cmp_nlt_f32_e32 vcc_lo, 0x42b17218, v3
	s_delay_alu instid0(VALU_DEP_4) | instskip(SKIP_1) | instid1(VALU_DEP_2)
	v_cndmask_b32_e32 v3, 0x7f800000, v4, vcc_lo
	v_cmp_nlt_f32_e32 vcc_lo, 0x42b17218, v1
	v_cvt_f16_f32_e32 v4, v3
	v_cndmask_b32_e32 v1, 0x7f800000, v5, vcc_lo
	s_delay_alu instid0(VALU_DEP_2) | instskip(NEXT) | instid1(VALU_DEP_2)
	v_pk_mul_f16 v58, v4, v58 op_sel_hi:[0,1]
	v_fmac_f32_e32 v1, v55, v3
	v_pk_mul_f16 v60, v4, v60 op_sel_hi:[0,1]
	s_delay_alu instid0(VALU_DEP_2)
	v_mov_b32_e32 v55, v1
.LBB49_24:
	s_load_b32 s0, s[0:1], 0xd4
	s_mul_i32 s12, s12, s10
	s_delay_alu instid0(SALU_CYCLE_1) | instskip(NEXT) | instid1(VALU_DEP_1)
	v_add3_u32 v1, s12, s13, v56
	v_mad_u64_u32 v[2:3], null, v1, s11, v[0:1]
	s_waitcnt lgkmcnt(0)
	s_delay_alu instid0(VALU_DEP_1)
	v_mad_u64_u32 v[0:1], null, s0, v2, s[14:15]
	s_cmp_lg_u32 s0, 1
	s_cselect_b32 s0, -1, 0
	s_and_saveexec_b32 s1, s2
	s_cbranch_execz .LBB49_26
; %bb.25:
	v_div_scale_f32 v1, null, v55, v55, 1.0
	v_div_scale_f32 v4, vcc_lo, 1.0, v55, 1.0
	v_lshrrev_b32_e32 v6, 16, v58
	s_delay_alu instid0(VALU_DEP_3) | instskip(SKIP_1) | instid1(VALU_DEP_2)
	v_rcp_f32_e32 v2, v1
	v_cvt_f32_f16_e32 v9, v58
	v_cvt_f32_f16_e32 v8, v6
	s_waitcnt_depctr 0xfff
	v_fma_f32 v3, -v1, v2, 1.0
	s_delay_alu instid0(VALU_DEP_1) | instskip(NEXT) | instid1(VALU_DEP_1)
	v_fmac_f32_e32 v2, v3, v2
	v_mul_f32_e32 v3, v4, v2
	s_delay_alu instid0(VALU_DEP_1) | instskip(NEXT) | instid1(VALU_DEP_1)
	v_fma_f32 v5, -v1, v3, v4
	v_fmac_f32_e32 v3, v5, v2
	s_delay_alu instid0(VALU_DEP_1) | instskip(SKIP_1) | instid1(VALU_DEP_2)
	v_fma_f32 v1, -v1, v3, v4
	v_lshrrev_b32_e32 v4, 16, v60
	v_div_fmas_f32 v1, v1, v2, v3
	v_mul_lo_u32 v3, 0x50, v0
	v_mov_b32_e32 v2, 0
	s_delay_alu instid0(VALU_DEP_4) | instskip(NEXT) | instid1(VALU_DEP_4)
	v_cvt_f32_f16_e32 v4, v4
	v_div_fixup_f32 v5, v1, v55, 1.0
	s_delay_alu instid0(VALU_DEP_4) | instskip(NEXT) | instid1(VALU_DEP_2)
	v_lshl_add_u32 v1, v40, 2, v3
	v_cndmask_b32_e64 v7, v5, 1.0, s0
	v_cvt_f32_f16_e32 v3, v60
	s_delay_alu instid0(VALU_DEP_3) | instskip(NEXT) | instid1(VALU_DEP_3)
	v_lshlrev_b64 v[5:6], 2, v[1:2]
	v_mul_f32_e32 v4, v7, v4
	s_delay_alu instid0(VALU_DEP_3)
	v_mul_f32_e32 v3, v7, v3
	v_mul_f32_e32 v2, v7, v8
	;; [unrolled: 1-line block ×3, first 2 shown]
	v_add_co_u32 v5, vcc_lo, s28, v5
	v_add_co_ci_u32_e32 v6, vcc_lo, s29, v6, vcc_lo
	global_store_b128 v[5:6], v[1:4], off
.LBB49_26:
	s_or_b32 exec_lo, exec_lo, s1
	v_cmp_eq_u32_e32 vcc_lo, 0, v40
	s_and_b32 s0, vcc_lo, s0
	s_delay_alu instid0(SALU_CYCLE_1)
	s_and_saveexec_b32 s1, s0
	s_cbranch_execz .LBB49_28
; %bb.27:
	v_ashrrev_i32_e32 v1, 31, v0
	s_delay_alu instid0(VALU_DEP_1) | instskip(NEXT) | instid1(VALU_DEP_1)
	v_lshlrev_b64 v[0:1], 3, v[0:1]
	v_add_co_u32 v0, vcc_lo, s30, v0
	s_delay_alu instid0(VALU_DEP_2)
	v_add_co_ci_u32_e32 v1, vcc_lo, s31, v1, vcc_lo
	global_store_b64 v[0:1], v[54:55], off
.LBB49_28:
	s_nop 0
	s_sendmsg sendmsg(MSG_DEALLOC_VGPRS)
	s_endpgm
	.section	.rodata,"a",@progbits
	.p2align	6, 0x0
	.amdhsa_kernel _ZL15flash_attn_tileILi80ELi80ELi1ELi2ELb0EEvPKcS1_S1_S1_S1_PKiPfP15HIP_vector_typeIfLj2EEffffjfiS5_IjLj3EEiiiiiiiiiiiliiliiiiil
		.amdhsa_group_segment_fixed_size 3712
		.amdhsa_private_segment_fixed_size 0
		.amdhsa_kernarg_size 464
		.amdhsa_user_sgpr_count 13
		.amdhsa_user_sgpr_dispatch_ptr 0
		.amdhsa_user_sgpr_queue_ptr 0
		.amdhsa_user_sgpr_kernarg_segment_ptr 1
		.amdhsa_user_sgpr_dispatch_id 0
		.amdhsa_user_sgpr_private_segment_size 0
		.amdhsa_wavefront_size32 1
		.amdhsa_uses_dynamic_stack 0
		.amdhsa_enable_private_segment 0
		.amdhsa_system_sgpr_workgroup_id_x 1
		.amdhsa_system_sgpr_workgroup_id_y 1
		.amdhsa_system_sgpr_workgroup_id_z 1
		.amdhsa_system_sgpr_workgroup_info 0
		.amdhsa_system_vgpr_workitem_id 1
		.amdhsa_next_free_vgpr 96
		.amdhsa_next_free_sgpr 44
		.amdhsa_reserve_vcc 1
		.amdhsa_float_round_mode_32 0
		.amdhsa_float_round_mode_16_64 0
		.amdhsa_float_denorm_mode_32 3
		.amdhsa_float_denorm_mode_16_64 3
		.amdhsa_dx10_clamp 1
		.amdhsa_ieee_mode 1
		.amdhsa_fp16_overflow 0
		.amdhsa_workgroup_processor_mode 1
		.amdhsa_memory_ordered 1
		.amdhsa_forward_progress 0
		.amdhsa_shared_vgpr_count 0
		.amdhsa_exception_fp_ieee_invalid_op 0
		.amdhsa_exception_fp_denorm_src 0
		.amdhsa_exception_fp_ieee_div_zero 0
		.amdhsa_exception_fp_ieee_overflow 0
		.amdhsa_exception_fp_ieee_underflow 0
		.amdhsa_exception_fp_ieee_inexact 0
		.amdhsa_exception_int_div_zero 0
	.end_amdhsa_kernel
	.section	.text._ZL15flash_attn_tileILi80ELi80ELi1ELi2ELb0EEvPKcS1_S1_S1_S1_PKiPfP15HIP_vector_typeIfLj2EEffffjfiS5_IjLj3EEiiiiiiiiiiiliiliiiiil,"axG",@progbits,_ZL15flash_attn_tileILi80ELi80ELi1ELi2ELb0EEvPKcS1_S1_S1_S1_PKiPfP15HIP_vector_typeIfLj2EEffffjfiS5_IjLj3EEiiiiiiiiiiiliiliiiiil,comdat
.Lfunc_end49:
	.size	_ZL15flash_attn_tileILi80ELi80ELi1ELi2ELb0EEvPKcS1_S1_S1_S1_PKiPfP15HIP_vector_typeIfLj2EEffffjfiS5_IjLj3EEiiiiiiiiiiiliiliiiiil, .Lfunc_end49-_ZL15flash_attn_tileILi80ELi80ELi1ELi2ELb0EEvPKcS1_S1_S1_S1_PKiPfP15HIP_vector_typeIfLj2EEffffjfiS5_IjLj3EEiiiiiiiiiiiliiliiiiil
                                        ; -- End function
	.section	.AMDGPU.csdata,"",@progbits
; Kernel info:
; codeLenInByte = 5860
; NumSgprs: 46
; NumVgprs: 96
; ScratchSize: 0
; MemoryBound: 0
; FloatMode: 240
; IeeeMode: 1
; LDSByteSize: 3712 bytes/workgroup (compile time only)
; SGPRBlocks: 5
; VGPRBlocks: 11
; NumSGPRsForWavesPerEU: 46
; NumVGPRsForWavesPerEU: 96
; Occupancy: 16
; WaveLimiterHint : 1
; COMPUTE_PGM_RSRC2:SCRATCH_EN: 0
; COMPUTE_PGM_RSRC2:USER_SGPR: 13
; COMPUTE_PGM_RSRC2:TRAP_HANDLER: 0
; COMPUTE_PGM_RSRC2:TGID_X_EN: 1
; COMPUTE_PGM_RSRC2:TGID_Y_EN: 1
; COMPUTE_PGM_RSRC2:TGID_Z_EN: 1
; COMPUTE_PGM_RSRC2:TIDIG_COMP_CNT: 1
	.section	.text._ZL33flash_attn_stream_k_fixup_uniformILi80ELi1ELi2EEvPfPK15HIP_vector_typeIfLj2EEiiiiiiS1_IjLj3EES5_S5_,"axG",@progbits,_ZL33flash_attn_stream_k_fixup_uniformILi80ELi1ELi2EEvPfPK15HIP_vector_typeIfLj2EEiiiiiiS1_IjLj3EES5_S5_,comdat
	.globl	_ZL33flash_attn_stream_k_fixup_uniformILi80ELi1ELi2EEvPfPK15HIP_vector_typeIfLj2EEiiiiiiS1_IjLj3EES5_S5_ ; -- Begin function _ZL33flash_attn_stream_k_fixup_uniformILi80ELi1ELi2EEvPfPK15HIP_vector_typeIfLj2EEiiiiiiS1_IjLj3EES5_S5_
	.p2align	8
	.type	_ZL33flash_attn_stream_k_fixup_uniformILi80ELi1ELi2EEvPfPK15HIP_vector_typeIfLj2EEiiiiiiS1_IjLj3EES5_S5_,@function
_ZL33flash_attn_stream_k_fixup_uniformILi80ELi1ELi2EEvPfPK15HIP_vector_typeIfLj2EEiiiiiiS1_IjLj3EES5_S5_: ; @_ZL33flash_attn_stream_k_fixup_uniformILi80ELi1ELi2EEvPfPK15HIP_vector_typeIfLj2EEiiiiiiS1_IjLj3EES5_S5_
; %bb.0:
	s_clause 0x1
	s_load_b256 s[4:11], s[0:1], 0x1c
	s_load_b128 s[16:19], s[0:1], 0x3c
	s_waitcnt lgkmcnt(0)
	s_mul_hi_u32 s2, s7, s13
	s_delay_alu instid0(SALU_CYCLE_1) | instskip(NEXT) | instid1(SALU_CYCLE_1)
	s_add_i32 s2, s13, s2
	s_lshr_b32 s7, s2, s8
	s_delay_alu instid0(SALU_CYCLE_1) | instskip(NEXT) | instid1(SALU_CYCLE_1)
	s_mul_i32 s2, s7, s9
	s_sub_i32 s9, s13, s2
	s_load_b64 s[2:3], s[0:1], 0x10
	s_mul_hi_u32 s8, s9, s10
	s_delay_alu instid0(SALU_CYCLE_1) | instskip(NEXT) | instid1(SALU_CYCLE_1)
	s_add_i32 s8, s9, s8
	s_lshr_b32 s8, s8, s11
	s_delay_alu instid0(SALU_CYCLE_1) | instskip(NEXT) | instid1(SALU_CYCLE_1)
	s_mul_i32 s10, s8, s16
	s_sub_i32 s9, s9, s10
	s_delay_alu instid0(SALU_CYCLE_1) | instskip(NEXT) | instid1(SALU_CYCLE_1)
	s_mul_hi_u32 s10, s9, s17
	s_add_i32 s10, s9, s10
	s_delay_alu instid0(SALU_CYCLE_1) | instskip(NEXT) | instid1(SALU_CYCLE_1)
	s_lshr_b32 s10, s10, s18
	s_mul_i32 s11, s10, s19
	s_lshl_b32 s10, s10, 1
	s_sub_i32 s9, s9, s11
	s_delay_alu instid0(SALU_CYCLE_1) | instskip(SKIP_4) | instid1(SALU_CYCLE_1)
	s_add_i32 s9, s9, s14
	s_waitcnt lgkmcnt(0)
	s_cmp_lt_i32 s9, s2
	s_cselect_b32 s11, -1, 0
	s_add_i32 s10, s10, s15
	s_cmp_lt_i32 s10, s5
	s_cselect_b32 s12, -1, 0
	s_delay_alu instid0(SALU_CYCLE_1) | instskip(NEXT) | instid1(SALU_CYCLE_1)
	s_and_b32 s11, s11, s12
	s_and_not1_b32 vcc_lo, exec_lo, s11
	s_cbranch_vccnz .LBB50_6
; %bb.1:
	s_mul_i32 s7, s7, s2
	s_mul_i32 s8, s8, s5
	s_add_i32 s2, s9, s7
	s_add_i32 s5, s10, s8
	s_mul_i32 s7, s2, s3
	s_load_b128 s[0:3], s[0:1], 0x0
	s_add_i32 s5, s5, s7
	s_delay_alu instid0(SALU_CYCLE_1) | instskip(SKIP_1) | instid1(SALU_CYCLE_1)
	v_mad_u64_u32 v[1:2], null, 0x50, s5, v[0:1]
	s_mul_i32 s5, s13, s6
	s_add_i32 s9, s5, s6
	s_delay_alu instid0(VALU_DEP_1) | instskip(NEXT) | instid1(VALU_DEP_1)
	v_ashrrev_i32_e32 v2, 31, v1
	v_lshlrev_b64 v[1:2], 2, v[1:2]
	s_waitcnt lgkmcnt(0)
	s_delay_alu instid0(VALU_DEP_1) | instskip(NEXT) | instid1(VALU_DEP_2)
	v_add_co_u32 v1, vcc_lo, s0, v1
	v_add_co_ci_u32_e32 v2, vcc_lo, s1, v2, vcc_lo
	s_add_i32 s0, s14, s9
	s_delay_alu instid0(SALU_CYCLE_1) | instskip(SKIP_2) | instid1(SALU_CYCLE_1)
	s_lshl_b32 s0, s0, 1
	global_load_b32 v5, v[1:2], off
	s_add_i32 s0, s0, s15
	s_add_i32 s0, s0, -2
	s_delay_alu instid0(SALU_CYCLE_1) | instskip(NEXT) | instid1(SALU_CYCLE_1)
	s_ashr_i32 s1, s0, 31
	s_lshl_b64 s[0:1], s[0:1], 3
	s_delay_alu instid0(SALU_CYCLE_1)
	s_add_u32 s0, s2, s0
	s_addc_u32 s1, s3, s1
	s_add_i32 s7, s9, -2
	s_load_b32 s10, s[0:1], 0x4
	s_cmp_lt_i32 s7, s5
	s_cbranch_scc1 .LBB50_4
; %bb.2:
	s_load_b32 s11, s[0:1], 0x0
	s_lshl_b32 s16, s4, 3
	s_waitcnt lgkmcnt(0)
	v_mov_b32_e32 v6, s10
	s_ashr_i32 s17, s16, 31
	s_delay_alu instid0(SALU_CYCLE_1) | instskip(NEXT) | instid1(SALU_CYCLE_1)
	s_lshl_b64 s[0:1], s[16:17], 2
	s_add_u32 s7, s2, s0
	s_addc_u32 s8, s3, s1
	s_add_i32 s13, s13, 1
	s_mul_i32 s1, s14, 0xa0
	s_mul_i32 s0, s6, s13
	;; [unrolled: 1-line block ×3, first 2 shown]
	s_add_i32 s4, s14, s4
	s_mulk_i32 s0, 0xa0
	s_add_i32 s1, s6, s1
	s_add_i32 s4, s4, s9
	s_add_i32 s1, s1, s0
	s_lshl_b32 s0, s4, 1
	v_add3_u32 v3, s1, v0, 0xfffffec0
	v_mov_b32_e32 v0, s11
	s_add_i32 s0, s15, s0
	s_add_i32 s4, s9, -1
	s_add_i32 s0, s0, -4
.LBB50_3:                               ; =>This Inner Loop Header: Depth=1
	s_delay_alu instid0(VALU_DEP_2) | instskip(SKIP_1) | instid1(SALU_CYCLE_1)
	v_ashrrev_i32_e32 v4, 31, v3
	s_ashr_i32 s1, s0, 31
	s_lshl_b64 s[10:11], s[0:1], 3
	s_delay_alu instid0(SALU_CYCLE_1) | instskip(NEXT) | instid1(VALU_DEP_1)
	s_add_u32 s10, s2, s10
	v_lshlrev_b64 v[7:8], 2, v[3:4]
	s_addc_u32 s11, s3, s11
	s_add_i32 s4, s4, -1
	s_add_i32 s0, s0, -2
	s_cmp_le_i32 s4, s5
	s_load_b64 s[10:11], s[10:11], 0x0
	v_add_co_u32 v7, vcc_lo, s7, v7
	v_add_co_ci_u32_e32 v8, vcc_lo, s8, v8, vcc_lo
	global_load_b32 v4, v[7:8], off
	v_max_f32_e32 v7, v0, v0
	s_waitcnt lgkmcnt(0)
	v_max_f32_e64 v8, s10, s10
	s_delay_alu instid0(VALU_DEP_1) | instskip(NEXT) | instid1(VALU_DEP_1)
	v_max_f32_e32 v7, v7, v8
	v_sub_f32_e32 v8, s10, v7
	s_delay_alu instid0(VALU_DEP_1) | instskip(NEXT) | instid1(VALU_DEP_1)
	v_dual_sub_f32 v0, v0, v7 :: v_dual_mul_f32 v9, 0x3fb8aa3b, v8
	v_fma_f32 v10, 0x3fb8aa3b, v8, -v9
	v_rndne_f32_e32 v11, v9
	s_delay_alu instid0(VALU_DEP_3) | instskip(NEXT) | instid1(VALU_DEP_2)
	v_mul_f32_e32 v12, 0x3fb8aa3b, v0
	v_dual_fmac_f32 v10, 0x32a5705f, v8 :: v_dual_sub_f32 v9, v9, v11
	v_cvt_i32_f32_e32 v11, v11
	s_delay_alu instid0(VALU_DEP_3) | instskip(SKIP_1) | instid1(VALU_DEP_4)
	v_fma_f32 v13, 0x3fb8aa3b, v0, -v12
	v_rndne_f32_e32 v14, v12
	v_add_f32_e32 v9, v9, v10
	v_cmp_ngt_f32_e32 vcc_lo, 0xc2ce8ed0, v8
	s_delay_alu instid0(VALU_DEP_3) | instskip(NEXT) | instid1(VALU_DEP_3)
	v_sub_f32_e32 v10, v12, v14
	v_exp_f32_e32 v9, v9
	s_waitcnt_depctr 0xfff
	v_ldexp_f32 v9, v9, v11
	v_cvt_i32_f32_e32 v11, v14
	s_delay_alu instid0(VALU_DEP_2) | instskip(SKIP_1) | instid1(VALU_DEP_2)
	v_cndmask_b32_e32 v9, 0, v9, vcc_lo
	v_cmp_nlt_f32_e32 vcc_lo, 0x42b17218, v8
	v_cndmask_b32_e32 v9, 0x7f800000, v9, vcc_lo
	v_cmp_ngt_f32_e32 vcc_lo, 0xc2ce8ed0, v0
	v_fmac_f32_e32 v13, 0x32a5705f, v0
	s_delay_alu instid0(VALU_DEP_1) | instskip(NEXT) | instid1(VALU_DEP_1)
	v_add_f32_e32 v10, v10, v13
	v_exp_f32_e32 v10, v10
	s_waitcnt_depctr 0xfff
	v_ldexp_f32 v10, v10, v11
	s_delay_alu instid0(VALU_DEP_1)
	v_dual_mov_b32 v11, v6 :: v_dual_cndmask_b32 v10, 0, v10
	v_cmp_le_f32_e32 vcc_lo, 0xc1a00000, v8
	s_waitcnt vmcnt(1)
	v_dual_cndmask_b32 v8, 0, v9 :: v_dual_mov_b32 v9, v5
	v_cmp_nlt_f32_e32 vcc_lo, 0x42b17218, v0
	v_cndmask_b32_e32 v5, 0x7f800000, v10, vcc_lo
	s_delay_alu instid0(VALU_DEP_3) | instskip(SKIP_2) | instid1(VALU_DEP_3)
	v_mul_f32_e32 v10, s11, v8
	v_cmp_le_f32_e32 vcc_lo, 0xc1a00000, v0
	v_mov_b32_e32 v0, v7
	v_mov_b32_e32 v6, v10
	s_waitcnt vmcnt(0)
	v_dual_cndmask_b32 v12, 0, v5 :: v_dual_mul_f32 v5, v4, v8
	s_delay_alu instid0(VALU_DEP_1) | instskip(NEXT) | instid1(VALU_DEP_2)
	v_dual_fmac_f32 v6, v11, v12 :: v_dual_add_nc_u32 v3, 0xffffff60, v3
	v_fmac_f32_e32 v5, v9, v12
	s_cbranch_scc0 .LBB50_3
	s_branch .LBB50_5
.LBB50_4:
	s_waitcnt lgkmcnt(0)
	v_mov_b32_e32 v6, s10
.LBB50_5:
	s_waitcnt vmcnt(0)
	s_delay_alu instid0(VALU_DEP_1) | instskip(NEXT) | instid1(VALU_DEP_1)
	v_div_scale_f32 v0, null, v6, v6, v5
	v_rcp_f32_e32 v3, v0
	s_waitcnt_depctr 0xfff
	v_fma_f32 v4, -v0, v3, 1.0
	s_delay_alu instid0(VALU_DEP_1) | instskip(SKIP_1) | instid1(VALU_DEP_1)
	v_fmac_f32_e32 v3, v4, v3
	v_div_scale_f32 v4, vcc_lo, v5, v6, v5
	v_mul_f32_e32 v7, v4, v3
	s_delay_alu instid0(VALU_DEP_1) | instskip(NEXT) | instid1(VALU_DEP_1)
	v_fma_f32 v8, -v0, v7, v4
	v_fmac_f32_e32 v7, v8, v3
	s_delay_alu instid0(VALU_DEP_1) | instskip(NEXT) | instid1(VALU_DEP_1)
	v_fma_f32 v0, -v0, v7, v4
	v_div_fmas_f32 v0, v0, v3, v7
	s_delay_alu instid0(VALU_DEP_1)
	v_div_fixup_f32 v0, v0, v6, v5
	global_store_b32 v[1:2], v0, off
.LBB50_6:
	s_nop 0
	s_sendmsg sendmsg(MSG_DEALLOC_VGPRS)
	s_endpgm
	.section	.rodata,"a",@progbits
	.p2align	6, 0x0
	.amdhsa_kernel _ZL33flash_attn_stream_k_fixup_uniformILi80ELi1ELi2EEvPfPK15HIP_vector_typeIfLj2EEiiiiiiS1_IjLj3EES5_S5_
		.amdhsa_group_segment_fixed_size 0
		.amdhsa_private_segment_fixed_size 0
		.amdhsa_kernarg_size 76
		.amdhsa_user_sgpr_count 13
		.amdhsa_user_sgpr_dispatch_ptr 0
		.amdhsa_user_sgpr_queue_ptr 0
		.amdhsa_user_sgpr_kernarg_segment_ptr 1
		.amdhsa_user_sgpr_dispatch_id 0
		.amdhsa_user_sgpr_private_segment_size 0
		.amdhsa_wavefront_size32 1
		.amdhsa_uses_dynamic_stack 0
		.amdhsa_enable_private_segment 0
		.amdhsa_system_sgpr_workgroup_id_x 1
		.amdhsa_system_sgpr_workgroup_id_y 1
		.amdhsa_system_sgpr_workgroup_id_z 1
		.amdhsa_system_sgpr_workgroup_info 0
		.amdhsa_system_vgpr_workitem_id 0
		.amdhsa_next_free_vgpr 15
		.amdhsa_next_free_sgpr 20
		.amdhsa_reserve_vcc 1
		.amdhsa_float_round_mode_32 0
		.amdhsa_float_round_mode_16_64 0
		.amdhsa_float_denorm_mode_32 3
		.amdhsa_float_denorm_mode_16_64 3
		.amdhsa_dx10_clamp 1
		.amdhsa_ieee_mode 1
		.amdhsa_fp16_overflow 0
		.amdhsa_workgroup_processor_mode 1
		.amdhsa_memory_ordered 1
		.amdhsa_forward_progress 0
		.amdhsa_shared_vgpr_count 0
		.amdhsa_exception_fp_ieee_invalid_op 0
		.amdhsa_exception_fp_denorm_src 0
		.amdhsa_exception_fp_ieee_div_zero 0
		.amdhsa_exception_fp_ieee_overflow 0
		.amdhsa_exception_fp_ieee_underflow 0
		.amdhsa_exception_fp_ieee_inexact 0
		.amdhsa_exception_int_div_zero 0
	.end_amdhsa_kernel
	.section	.text._ZL33flash_attn_stream_k_fixup_uniformILi80ELi1ELi2EEvPfPK15HIP_vector_typeIfLj2EEiiiiiiS1_IjLj3EES5_S5_,"axG",@progbits,_ZL33flash_attn_stream_k_fixup_uniformILi80ELi1ELi2EEvPfPK15HIP_vector_typeIfLj2EEiiiiiiS1_IjLj3EES5_S5_,comdat
.Lfunc_end50:
	.size	_ZL33flash_attn_stream_k_fixup_uniformILi80ELi1ELi2EEvPfPK15HIP_vector_typeIfLj2EEiiiiiiS1_IjLj3EES5_S5_, .Lfunc_end50-_ZL33flash_attn_stream_k_fixup_uniformILi80ELi1ELi2EEvPfPK15HIP_vector_typeIfLj2EEiiiiiiS1_IjLj3EES5_S5_
                                        ; -- End function
	.section	.AMDGPU.csdata,"",@progbits
; Kernel info:
; codeLenInByte = 976
; NumSgprs: 22
; NumVgprs: 15
; ScratchSize: 0
; MemoryBound: 0
; FloatMode: 240
; IeeeMode: 1
; LDSByteSize: 0 bytes/workgroup (compile time only)
; SGPRBlocks: 2
; VGPRBlocks: 1
; NumSGPRsForWavesPerEU: 22
; NumVGPRsForWavesPerEU: 15
; Occupancy: 16
; WaveLimiterHint : 0
; COMPUTE_PGM_RSRC2:SCRATCH_EN: 0
; COMPUTE_PGM_RSRC2:USER_SGPR: 13
; COMPUTE_PGM_RSRC2:TRAP_HANDLER: 0
; COMPUTE_PGM_RSRC2:TGID_X_EN: 1
; COMPUTE_PGM_RSRC2:TGID_Y_EN: 1
; COMPUTE_PGM_RSRC2:TGID_Z_EN: 1
; COMPUTE_PGM_RSRC2:TIDIG_COMP_CNT: 0
	.section	.text._ZL33flash_attn_stream_k_fixup_generalILi80ELi1ELi2EEvPfPK15HIP_vector_typeIfLj2EEiiiiS1_IjLj3EES5_S5_S5_,"axG",@progbits,_ZL33flash_attn_stream_k_fixup_generalILi80ELi1ELi2EEvPfPK15HIP_vector_typeIfLj2EEiiiiS1_IjLj3EES5_S5_S5_,comdat
	.globl	_ZL33flash_attn_stream_k_fixup_generalILi80ELi1ELi2EEvPfPK15HIP_vector_typeIfLj2EEiiiiS1_IjLj3EES5_S5_S5_ ; -- Begin function _ZL33flash_attn_stream_k_fixup_generalILi80ELi1ELi2EEvPfPK15HIP_vector_typeIfLj2EEiiiiS1_IjLj3EES5_S5_S5_
	.p2align	8
	.type	_ZL33flash_attn_stream_k_fixup_generalILi80ELi1ELi2EEvPfPK15HIP_vector_typeIfLj2EEiiiiS1_IjLj3EES5_S5_S5_,@function
_ZL33flash_attn_stream_k_fixup_generalILi80ELi1ELi2EEvPfPK15HIP_vector_typeIfLj2EEiiiiS1_IjLj3EES5_S5_S5_: ; @_ZL33flash_attn_stream_k_fixup_generalILi80ELi1ELi2EEvPfPK15HIP_vector_typeIfLj2EEiiiiS1_IjLj3EES5_S5_S5_
; %bb.0:
	s_clause 0x1
	s_load_b128 s[4:7], s[0:1], 0x10
	s_load_b32 s20, s[0:1], 0x50
	s_mov_b32 s2, 0
	s_waitcnt lgkmcnt(0)
	s_mul_hi_i32 s3, s7, s13
	s_mul_i32 s12, s7, s13
	s_cmp_lg_u64 s[2:3], 0
	s_cbranch_scc0 .LBB51_21
; %bb.1:
	v_cvt_f32_ubyte0_e32 v1, 0
	v_cvt_f32_u32_e32 v2, s20
	s_sub_u32 s10, 0, s20
	s_subb_u32 s11, 0, 0
	s_delay_alu instid0(VALU_DEP_1) | instskip(NEXT) | instid1(VALU_DEP_1)
	v_fmamk_f32 v1, v1, 0x4f800000, v2
	v_rcp_f32_e32 v1, v1
	s_waitcnt_depctr 0xfff
	v_mul_f32_e32 v1, 0x5f7ffffc, v1
	s_delay_alu instid0(VALU_DEP_1) | instskip(NEXT) | instid1(VALU_DEP_1)
	v_mul_f32_e32 v2, 0x2f800000, v1
	v_trunc_f32_e32 v2, v2
	s_delay_alu instid0(VALU_DEP_1) | instskip(SKIP_1) | instid1(VALU_DEP_2)
	v_fmamk_f32 v1, v2, 0xcf800000, v1
	v_cvt_u32_f32_e32 v2, v2
	v_cvt_u32_f32_e32 v1, v1
	s_delay_alu instid0(VALU_DEP_2) | instskip(NEXT) | instid1(VALU_DEP_2)
	v_readfirstlane_b32 s8, v2
	v_readfirstlane_b32 s9, v1
	s_delay_alu instid0(VALU_DEP_2) | instskip(NEXT) | instid1(VALU_DEP_1)
	s_mul_i32 s16, s10, s8
	s_mul_hi_u32 s18, s10, s9
	s_mul_i32 s17, s11, s9
	s_add_i32 s16, s18, s16
	s_mul_i32 s19, s10, s9
	s_add_i32 s16, s16, s17
	s_mul_hi_u32 s18, s9, s19
	s_mul_hi_u32 s21, s8, s19
	s_mul_i32 s17, s8, s19
	s_mul_hi_u32 s19, s9, s16
	s_mul_i32 s9, s9, s16
	s_mul_hi_u32 s22, s8, s16
	s_add_u32 s9, s18, s9
	s_addc_u32 s18, 0, s19
	s_add_u32 s9, s9, s17
	s_mul_i32 s16, s8, s16
	s_addc_u32 s9, s18, s21
	s_addc_u32 s17, s22, 0
	s_add_u32 s9, s9, s16
	s_addc_u32 s16, 0, s17
	v_add_co_u32 v1, s9, v1, s9
	s_delay_alu instid0(VALU_DEP_1) | instskip(SKIP_1) | instid1(VALU_DEP_1)
	s_cmp_lg_u32 s9, 0
	s_addc_u32 s8, s8, s16
	v_readfirstlane_b32 s9, v1
	s_mul_i32 s16, s10, s8
	s_delay_alu instid0(VALU_DEP_1)
	s_mul_hi_u32 s17, s10, s9
	s_mul_i32 s11, s11, s9
	s_add_i32 s16, s17, s16
	s_mul_i32 s10, s10, s9
	s_add_i32 s16, s16, s11
	s_mul_hi_u32 s17, s8, s10
	s_mul_i32 s18, s8, s10
	s_mul_hi_u32 s10, s9, s10
	s_mul_hi_u32 s19, s9, s16
	s_mul_i32 s9, s9, s16
	s_mul_hi_u32 s11, s8, s16
	s_add_u32 s9, s10, s9
	s_addc_u32 s10, 0, s19
	s_add_u32 s9, s9, s18
	s_mul_i32 s16, s8, s16
	s_addc_u32 s9, s10, s17
	s_addc_u32 s10, s11, 0
	s_add_u32 s9, s9, s16
	s_addc_u32 s10, 0, s10
	v_add_co_u32 v1, s9, v1, s9
	s_delay_alu instid0(VALU_DEP_1) | instskip(SKIP_2) | instid1(SALU_CYCLE_1)
	s_cmp_lg_u32 s9, 0
	s_addc_u32 s16, s8, s10
	s_ashr_i32 s8, s3, 31
	s_add_u32 s10, s12, s8
	s_addc_u32 s11, s3, s8
	v_readfirstlane_b32 s3, v1
	s_mov_b32 s9, s8
	s_delay_alu instid0(SALU_CYCLE_1) | instskip(NEXT) | instid1(SALU_CYCLE_1)
	s_xor_b64 s[10:11], s[10:11], s[8:9]
	s_mul_i32 s18, s10, s16
	s_delay_alu instid0(VALU_DEP_1)
	s_mul_hi_u32 s19, s10, s3
	s_mul_hi_u32 s17, s10, s16
	;; [unrolled: 1-line block ×3, first 2 shown]
	s_mul_i32 s3, s11, s3
	s_add_u32 s18, s19, s18
	s_addc_u32 s17, 0, s17
	s_mul_hi_u32 s21, s11, s16
	s_add_u32 s3, s18, s3
	s_mul_i32 s16, s11, s16
	s_addc_u32 s3, s17, s22
	s_addc_u32 s17, s21, 0
	s_add_u32 s3, s3, s16
	s_addc_u32 s16, 0, s17
	s_mul_i32 s18, s20, s3
	s_add_u32 s17, s3, 1
	v_sub_co_u32 v1, s10, s10, s18
	s_mul_hi_u32 s18, s20, s3
	s_addc_u32 s19, s16, 0
	s_mul_i32 s21, s20, s16
	s_delay_alu instid0(VALU_DEP_1)
	v_sub_co_u32 v2, s22, v1, s20
	s_add_u32 s23, s3, 2
	s_addc_u32 s24, s16, 0
	s_add_i32 s18, s18, s21
	s_cmp_lg_u32 s10, 0
	v_readfirstlane_b32 s10, v2
	s_subb_u32 s11, s11, s18
	s_cmp_lg_u32 s22, 0
	s_subb_u32 s18, s11, 0
	s_delay_alu instid0(VALU_DEP_1) | instskip(SKIP_4) | instid1(SALU_CYCLE_1)
	s_cmp_ge_u32 s10, s20
	s_cselect_b32 s10, -1, 0
	s_cmp_eq_u32 s18, 0
	v_readfirstlane_b32 s18, v1
	s_cselect_b32 s10, s10, -1
	s_cmp_lg_u32 s10, 0
	s_cselect_b32 s10, s23, s17
	s_cselect_b32 s17, s24, s19
	s_cmp_ge_u32 s18, s20
	s_cselect_b32 s18, -1, 0
	s_cmp_eq_u32 s11, 0
	s_cselect_b32 s11, s18, -1
	s_delay_alu instid0(SALU_CYCLE_1) | instskip(SKIP_2) | instid1(SALU_CYCLE_1)
	s_cmp_lg_u32 s11, 0
	s_cselect_b32 s11, s17, s16
	s_cselect_b32 s10, s10, s3
	s_xor_b64 s[10:11], s[10:11], s[8:9]
	s_delay_alu instid0(SALU_CYCLE_1)
	s_sub_u32 s16, s10, s8
	s_load_b128 s[8:11], s[0:1], 0x44
	s_and_not1_b32 vcc_lo, exec_lo, s2
	s_cbranch_vccnz .LBB51_3
.LBB51_2:
	v_cvt_f32_u32_e32 v1, s20
	s_sub_i32 s3, 0, s20
	s_delay_alu instid0(VALU_DEP_1) | instskip(SKIP_2) | instid1(VALU_DEP_1)
	v_rcp_iflag_f32_e32 v1, v1
	s_waitcnt_depctr 0xfff
	v_mul_f32_e32 v1, 0x4f7ffffe, v1
	v_cvt_u32_f32_e32 v1, v1
	s_delay_alu instid0(VALU_DEP_1) | instskip(NEXT) | instid1(VALU_DEP_1)
	v_readfirstlane_b32 s2, v1
	s_mul_i32 s3, s3, s2
	s_delay_alu instid0(SALU_CYCLE_1) | instskip(NEXT) | instid1(SALU_CYCLE_1)
	s_mul_hi_u32 s3, s2, s3
	s_add_i32 s2, s2, s3
	s_delay_alu instid0(SALU_CYCLE_1) | instskip(NEXT) | instid1(SALU_CYCLE_1)
	s_mul_hi_u32 s2, s12, s2
	s_mul_i32 s3, s2, s20
	s_waitcnt lgkmcnt(0)
	s_add_i32 s11, s2, 1
	s_sub_i32 s3, s12, s3
	s_delay_alu instid0(SALU_CYCLE_1)
	s_sub_i32 s12, s3, s20
	s_cmp_ge_u32 s3, s20
	s_cselect_b32 s2, s11, s2
	s_cselect_b32 s3, s12, s3
	s_add_i32 s11, s2, 1
	s_cmp_ge_u32 s3, s20
	s_cselect_b32 s16, s11, s2
.LBB51_3:
	s_waitcnt lgkmcnt(0)
	s_add_i32 s11, s13, 1
	s_mov_b32 s2, 0
	s_mul_hi_i32 s3, s7, s11
	s_mul_i32 s11, s7, s11
	s_cmp_lg_u64 s[2:3], 0
	s_cbranch_scc0 .LBB51_22
; %bb.4:
	v_cvt_f32_ubyte0_e32 v1, 0
	v_cvt_f32_u32_e32 v2, s20
	s_sub_u32 s18, 0, s20
	s_subb_u32 s19, 0, 0
	s_delay_alu instid0(VALU_DEP_1) | instskip(NEXT) | instid1(VALU_DEP_1)
	v_fmamk_f32 v1, v1, 0x4f800000, v2
	v_rcp_f32_e32 v1, v1
	s_waitcnt_depctr 0xfff
	v_mul_f32_e32 v1, 0x5f7ffffc, v1
	s_delay_alu instid0(VALU_DEP_1) | instskip(NEXT) | instid1(VALU_DEP_1)
	v_mul_f32_e32 v2, 0x2f800000, v1
	v_trunc_f32_e32 v2, v2
	s_delay_alu instid0(VALU_DEP_1) | instskip(SKIP_1) | instid1(VALU_DEP_2)
	v_fmamk_f32 v1, v2, 0xcf800000, v1
	v_cvt_u32_f32_e32 v2, v2
	v_cvt_u32_f32_e32 v1, v1
	s_delay_alu instid0(VALU_DEP_2) | instskip(NEXT) | instid1(VALU_DEP_2)
	v_readfirstlane_b32 s12, v2
	v_readfirstlane_b32 s17, v1
	s_delay_alu instid0(VALU_DEP_2) | instskip(NEXT) | instid1(VALU_DEP_1)
	s_mul_i32 s21, s18, s12
	s_mul_hi_u32 s23, s18, s17
	s_mul_i32 s22, s19, s17
	s_add_i32 s21, s23, s21
	s_mul_i32 s24, s18, s17
	s_add_i32 s21, s21, s22
	s_mul_hi_u32 s23, s17, s24
	s_mul_hi_u32 s25, s12, s24
	s_mul_i32 s22, s12, s24
	s_mul_hi_u32 s24, s17, s21
	s_mul_i32 s17, s17, s21
	s_mul_hi_u32 s26, s12, s21
	s_add_u32 s17, s23, s17
	s_addc_u32 s23, 0, s24
	s_add_u32 s17, s17, s22
	s_mul_i32 s21, s12, s21
	s_addc_u32 s17, s23, s25
	s_addc_u32 s22, s26, 0
	s_add_u32 s17, s17, s21
	s_addc_u32 s21, 0, s22
	v_add_co_u32 v1, s17, v1, s17
	s_delay_alu instid0(VALU_DEP_1) | instskip(SKIP_1) | instid1(VALU_DEP_1)
	s_cmp_lg_u32 s17, 0
	s_addc_u32 s12, s12, s21
	v_readfirstlane_b32 s17, v1
	s_mul_i32 s21, s18, s12
	s_delay_alu instid0(VALU_DEP_1)
	s_mul_hi_u32 s22, s18, s17
	s_mul_i32 s19, s19, s17
	s_add_i32 s21, s22, s21
	s_mul_i32 s18, s18, s17
	s_add_i32 s21, s21, s19
	s_mul_hi_u32 s22, s12, s18
	s_mul_i32 s23, s12, s18
	s_mul_hi_u32 s18, s17, s18
	s_mul_hi_u32 s24, s17, s21
	s_mul_i32 s17, s17, s21
	s_mul_hi_u32 s19, s12, s21
	s_add_u32 s17, s18, s17
	s_addc_u32 s18, 0, s24
	s_add_u32 s17, s17, s23
	s_mul_i32 s21, s12, s21
	s_addc_u32 s17, s18, s22
	s_addc_u32 s18, s19, 0
	s_add_u32 s17, s17, s21
	s_addc_u32 s18, 0, s18
	v_add_co_u32 v1, s17, v1, s17
	s_delay_alu instid0(VALU_DEP_1) | instskip(SKIP_2) | instid1(SALU_CYCLE_1)
	s_cmp_lg_u32 s17, 0
	s_addc_u32 s12, s12, s18
	s_ashr_i32 s18, s3, 31
	s_add_u32 s22, s11, s18
	s_addc_u32 s23, s3, s18
	v_readfirstlane_b32 s3, v1
	s_mov_b32 s19, s18
	s_delay_alu instid0(SALU_CYCLE_1) | instskip(NEXT) | instid1(SALU_CYCLE_1)
	s_xor_b64 s[22:23], s[22:23], s[18:19]
	s_mul_i32 s21, s22, s12
	s_delay_alu instid0(VALU_DEP_1)
	s_mul_hi_u32 s24, s22, s3
	s_mul_hi_u32 s17, s22, s12
	;; [unrolled: 1-line block ×3, first 2 shown]
	s_mul_i32 s3, s23, s3
	s_add_u32 s21, s24, s21
	s_addc_u32 s17, 0, s17
	s_mul_hi_u32 s25, s23, s12
	s_add_u32 s3, s21, s3
	s_mul_i32 s12, s23, s12
	s_addc_u32 s3, s17, s26
	s_addc_u32 s17, s25, 0
	s_add_u32 s3, s3, s12
	s_addc_u32 s12, 0, s17
	s_mul_i32 s21, s20, s3
	s_add_u32 s17, s3, 1
	v_sub_co_u32 v1, s21, s22, s21
	s_mul_hi_u32 s22, s20, s3
	s_addc_u32 s24, s12, 0
	s_mul_i32 s25, s20, s12
	s_delay_alu instid0(VALU_DEP_1)
	v_sub_co_u32 v2, s26, v1, s20
	s_add_u32 s27, s3, 2
	s_addc_u32 s28, s12, 0
	s_add_i32 s22, s22, s25
	s_cmp_lg_u32 s21, 0
	v_readfirstlane_b32 s21, v2
	s_subb_u32 s22, s23, s22
	s_cmp_lg_u32 s26, 0
	s_subb_u32 s23, s22, 0
	s_delay_alu instid0(VALU_DEP_1) | instskip(SKIP_4) | instid1(SALU_CYCLE_1)
	s_cmp_ge_u32 s21, s20
	s_cselect_b32 s21, -1, 0
	s_cmp_eq_u32 s23, 0
	v_readfirstlane_b32 s23, v1
	s_cselect_b32 s21, s21, -1
	s_cmp_lg_u32 s21, 0
	s_cselect_b32 s17, s27, s17
	s_cselect_b32 s21, s28, s24
	s_cmp_ge_u32 s23, s20
	s_cselect_b32 s23, -1, 0
	s_cmp_eq_u32 s22, 0
	s_cselect_b32 s22, s23, -1
	s_delay_alu instid0(SALU_CYCLE_1) | instskip(SKIP_2) | instid1(SALU_CYCLE_1)
	s_cmp_lg_u32 s22, 0
	s_cselect_b32 s23, s21, s12
	s_cselect_b32 s22, s17, s3
	s_xor_b64 s[22:23], s[22:23], s[18:19]
	s_delay_alu instid0(SALU_CYCLE_1)
	s_sub_u32 s18, s22, s18
	s_and_not1_b32 vcc_lo, exec_lo, s2
	s_cbranch_vccnz .LBB51_6
.LBB51_5:
	v_cvt_f32_u32_e32 v1, s20
	s_sub_i32 s3, 0, s20
	s_delay_alu instid0(VALU_DEP_1) | instskip(SKIP_2) | instid1(VALU_DEP_1)
	v_rcp_iflag_f32_e32 v1, v1
	s_waitcnt_depctr 0xfff
	v_mul_f32_e32 v1, 0x4f7ffffe, v1
	v_cvt_u32_f32_e32 v1, v1
	s_delay_alu instid0(VALU_DEP_1) | instskip(NEXT) | instid1(VALU_DEP_1)
	v_readfirstlane_b32 s2, v1
	s_mul_i32 s3, s3, s2
	s_delay_alu instid0(SALU_CYCLE_1) | instskip(NEXT) | instid1(SALU_CYCLE_1)
	s_mul_hi_u32 s3, s2, s3
	s_add_i32 s2, s2, s3
	s_delay_alu instid0(SALU_CYCLE_1) | instskip(NEXT) | instid1(SALU_CYCLE_1)
	s_mul_hi_u32 s2, s11, s2
	s_mul_i32 s3, s2, s20
	s_delay_alu instid0(SALU_CYCLE_1)
	s_sub_i32 s3, s11, s3
	s_add_i32 s11, s2, 1
	s_sub_i32 s12, s3, s20
	s_cmp_ge_u32 s3, s20
	s_cselect_b32 s2, s11, s2
	s_cselect_b32 s3, s12, s3
	s_add_i32 s11, s2, 1
	s_cmp_ge_u32 s3, s20
	s_cselect_b32 s18, s11, s2
.LBB51_6:
	s_delay_alu instid0(SALU_CYCLE_1) | instskip(SKIP_3) | instid1(SALU_CYCLE_1)
	s_cmp_eq_u32 s16, s18
	s_mul_hi_u32 s2, s16, s8
	s_cselect_b32 s3, -1, 0
	s_add_i32 s2, s2, s16
	s_lshr_b32 s11, s2, s9
	s_delay_alu instid0(SALU_CYCLE_1) | instskip(NEXT) | instid1(SALU_CYCLE_1)
	s_mul_i32 s2, s11, s10
	s_cmp_eq_u32 s2, s16
	s_mul_hi_u32 s2, s18, s8
	s_cselect_b32 s12, -1, 0
	s_add_i32 s2, s2, s18
	s_delay_alu instid0(SALU_CYCLE_1) | instskip(NEXT) | instid1(SALU_CYCLE_1)
	s_lshr_b32 s2, s2, s9
	s_cmp_eq_u32 s11, s2
	s_mul_i32 s2, s2, s10
	s_cselect_b32 s17, -1, 0
	s_cmp_lg_u32 s2, s18
	s_cselect_b32 s2, -1, 0
	s_or_b32 s3, s3, s12
	s_and_b32 s2, s17, s2
	s_delay_alu instid0(SALU_CYCLE_1) | instskip(NEXT) | instid1(SALU_CYCLE_1)
	s_or_b32 s2, s3, s2
	s_and_b32 vcc_lo, exec_lo, s2
	s_cbranch_vccnz .LBB51_24
; %bb.7:
	s_load_b256 s[24:31], s[0:1], 0x20
	s_waitcnt lgkmcnt(0)
	s_mul_hi_u32 s2, s16, s24
	s_delay_alu instid0(SALU_CYCLE_1) | instskip(NEXT) | instid1(SALU_CYCLE_1)
	s_add_i32 s2, s2, s16
	s_lshr_b32 s17, s2, s25
	s_load_b32 s2, s[0:1], 0x40
	s_mul_i32 s3, s17, s26
	s_delay_alu instid0(SALU_CYCLE_1) | instskip(NEXT) | instid1(SALU_CYCLE_1)
	s_sub_i32 s3, s16, s3
	s_mul_hi_u32 s12, s3, s27
	s_delay_alu instid0(SALU_CYCLE_1) | instskip(NEXT) | instid1(SALU_CYCLE_1)
	s_add_i32 s12, s3, s12
	s_lshr_b32 s18, s12, s28
	s_delay_alu instid0(SALU_CYCLE_1) | instskip(NEXT) | instid1(SALU_CYCLE_1)
	s_mul_i32 s12, s18, s29
	s_sub_i32 s3, s3, s12
	s_delay_alu instid0(SALU_CYCLE_1) | instskip(NEXT) | instid1(SALU_CYCLE_1)
	s_mul_hi_u32 s12, s3, s30
	s_add_i32 s12, s3, s12
	s_delay_alu instid0(SALU_CYCLE_1)
	s_lshr_b32 s12, s12, s31
	s_waitcnt lgkmcnt(0)
	s_mul_i32 s2, s12, s2
	s_lshl_b32 s21, s12, 1
	s_sub_i32 s2, s3, s2
	s_mov_b32 s12, 0
	s_mul_hi_u32 s3, s2, s8
	s_delay_alu instid0(SALU_CYCLE_1) | instskip(NEXT) | instid1(SALU_CYCLE_1)
	s_add_i32 s2, s2, s3
	s_lshr_b32 s19, s2, s9
	s_delay_alu instid0(SALU_CYCLE_1) | instskip(NEXT) | instid1(SALU_CYCLE_1)
	s_add_i32 s19, s19, s14
	s_cmp_lt_i32 s19, s4
	s_cselect_b32 s2, -1, 0
	s_add_i32 s21, s21, s15
	s_delay_alu instid0(SALU_CYCLE_1) | instskip(SKIP_1) | instid1(SALU_CYCLE_1)
	s_cmp_lt_i32 s21, s6
	s_cselect_b32 s3, -1, 0
	s_and_b32 s2, s2, s3
	s_delay_alu instid0(SALU_CYCLE_1)
	s_and_not1_b32 vcc_lo, exec_lo, s2
	s_cbranch_vccnz .LBB51_24
; %bb.8:
	s_load_b128 s[0:3], s[0:1], 0x0
	s_lshl_b32 s22, s20, 3
	s_mov_b32 s23, s12
	s_lshl_b32 s24, s14, 1
	s_lshl_b64 s[22:23], s[22:23], 2
	s_mul_i32 s4, s17, s4
	s_add_i32 s24, s24, s15
	s_mul_i32 s18, s18, s6
	v_cvt_f32_ubyte0_e32 v3, 0
	v_cvt_f32_u32_e32 v4, s20
	s_waitcnt lgkmcnt(0)
	s_add_u32 s6, s2, s22
	s_addc_u32 s17, s3, s23
	s_add_i32 s4, s19, s4
	s_add_i32 s18, s21, s18
	s_mul_i32 s4, s4, s5
	s_delay_alu instid0(SALU_CYCLE_1) | instskip(NEXT) | instid1(SALU_CYCLE_1)
	s_add_i32 s18, s18, s4
	v_mad_u64_u32 v[1:2], null, 0x50, s18, v[0:1]
	s_delay_alu instid0(VALU_DEP_1) | instskip(NEXT) | instid1(VALU_DEP_1)
	v_ashrrev_i32_e32 v2, 31, v1
	v_lshlrev_b64 v[1:2], 2, v[1:2]
	s_delay_alu instid0(VALU_DEP_1) | instskip(NEXT) | instid1(VALU_DEP_2)
	v_add_co_u32 v1, vcc_lo, s0, v1
	v_add_co_ci_u32_e32 v2, vcc_lo, s1, v2, vcc_lo
	s_add_i32 s0, s14, s13
	s_delay_alu instid0(SALU_CYCLE_1) | instskip(SKIP_2) | instid1(SALU_CYCLE_1)
	s_lshl_b32 s0, s0, 1
	global_load_b32 v5, v[1:2], off
	s_add_i32 s0, s0, s15
	s_ashr_i32 s1, s0, 31
	s_delay_alu instid0(SALU_CYCLE_1) | instskip(NEXT) | instid1(SALU_CYCLE_1)
	s_lshl_b64 s[0:1], s[0:1], 3
	s_add_u32 s0, s2, s0
	s_addc_u32 s1, s3, s1
	s_add_i32 s19, s13, -1
	s_load_b64 s[0:1], s[0:1], 0x0
	v_fmamk_f32 v3, v3, 0x4f800000, v4
	v_cvt_f32_u32_e32 v4, s20
	s_add_i32 s14, s20, s14
	s_sub_i32 s18, 0, s20
	s_delay_alu instid0(VALU_DEP_1)
	v_rcp_iflag_f32_e32 v7, v4
	s_waitcnt_depctr 0xfff
	v_mul_f32_e32 v10, 0x4f7ffffe, v7
	s_waitcnt lgkmcnt(0)
	v_mov_b32_e32 v8, s0
	v_rcp_f32_e32 v3, v3
	v_mov_b32_e32 v7, s1
	s_waitcnt_depctr 0xfff
	v_mul_f32_e32 v3, 0x5f7ffffc, v3
	s_delay_alu instid0(VALU_DEP_1) | instskip(NEXT) | instid1(VALU_DEP_1)
	v_mul_f32_e32 v6, 0x2f800000, v3
	v_trunc_f32_e32 v6, v6
	s_delay_alu instid0(VALU_DEP_1) | instskip(SKIP_3) | instid1(VALU_DEP_4)
	v_fmamk_f32 v9, v6, 0xcf800000, v3
	v_mad_u64_u32 v[3:4], null, 0x50, s24, v[0:1]
	v_cvt_u32_f32_e32 v4, v6
	v_cvt_u32_f32_e32 v6, v10
	;; [unrolled: 1-line block ×3, first 2 shown]
.LBB51_9:                               ; =>This Inner Loop Header: Depth=1
	s_mul_hi_i32 s13, s19, s7
	s_mul_i32 s4, s19, s7
	s_cmp_lg_u64 s[12:13], 0
	s_mov_b32 s5, -1
                                        ; implicit-def: $sgpr0_sgpr1
	s_cbranch_scc0 .LBB51_11
; %bb.10:                               ;   in Loop: Header=BB51_9 Depth=1
	v_readfirstlane_b32 s0, v0
	v_readfirstlane_b32 s1, v4
	s_sub_u32 s5, 0, s20
	s_subb_u32 s21, 0, 0
	s_delay_alu instid0(VALU_DEP_2) | instskip(NEXT) | instid1(VALU_DEP_1)
	s_mul_hi_u32 s22, s5, s0
	s_mul_i32 s23, s5, s1
	s_mul_i32 s24, s21, s0
	s_add_i32 s22, s22, s23
	s_mul_i32 s23, s5, s0
	s_add_i32 s22, s22, s24
	s_mul_hi_u32 s24, s0, s23
	s_mul_i32 s25, s0, s22
	s_mul_hi_u32 s0, s0, s22
	s_add_u32 s24, s24, s25
	s_mul_i32 s26, s1, s23
	s_addc_u32 s0, 0, s0
	s_mul_hi_u32 s23, s1, s23
	s_mul_hi_u32 s25, s1, s22
	s_add_u32 s24, s24, s26
	s_addc_u32 s0, s0, s23
	s_mul_i32 s22, s1, s22
	s_addc_u32 s23, s25, 0
	s_add_u32 s0, s0, s22
	s_addc_u32 s22, 0, s23
	v_add_co_u32 v9, s0, v0, s0
	s_delay_alu instid0(VALU_DEP_1) | instskip(SKIP_1) | instid1(VALU_DEP_1)
	s_cmp_lg_u32 s0, 0
	s_addc_u32 s1, s1, s22
	v_readfirstlane_b32 s0, v9
	s_mul_i32 s22, s5, s1
	s_delay_alu instid0(VALU_DEP_1)
	s_mul_hi_u32 s23, s5, s0
	s_mul_i32 s21, s21, s0
	s_add_i32 s22, s23, s22
	s_mul_i32 s5, s5, s0
	s_add_i32 s22, s22, s21
	s_mul_hi_u32 s21, s1, s5
	s_mul_i32 s24, s1, s5
	s_mul_i32 s25, s0, s22
	s_mul_hi_u32 s5, s0, s5
	s_mul_hi_u32 s0, s0, s22
	s_add_u32 s5, s5, s25
	s_addc_u32 s0, 0, s0
	s_mul_hi_u32 s23, s1, s22
	s_add_u32 s5, s5, s24
	s_addc_u32 s0, s0, s21
	s_mul_i32 s5, s1, s22
	s_addc_u32 s21, s23, 0
	s_add_u32 s0, s0, s5
	s_addc_u32 s5, 0, s21
	v_add_co_u32 v9, s0, v9, s0
	s_delay_alu instid0(VALU_DEP_1) | instskip(SKIP_2) | instid1(SALU_CYCLE_1)
	s_cmp_lg_u32 s0, 0
	s_addc_u32 s5, s1, s5
	s_ashr_i32 s0, s13, 31
	s_add_u32 s22, s4, s0
	s_addc_u32 s23, s13, s0
	v_readfirstlane_b32 s13, v9
	s_mov_b32 s1, s0
	s_delay_alu instid0(SALU_CYCLE_1) | instskip(NEXT) | instid1(SALU_CYCLE_1)
	s_xor_b64 s[22:23], s[22:23], s[0:1]
	s_mul_i32 s21, s22, s5
	s_delay_alu instid0(VALU_DEP_1)
	s_mul_hi_u32 s24, s22, s13
	s_mul_hi_u32 s25, s22, s5
	s_add_u32 s21, s24, s21
	s_mul_i32 s26, s23, s13
	s_addc_u32 s24, 0, s25
	s_mul_hi_u32 s13, s23, s13
	s_mul_hi_u32 s25, s23, s5
	s_add_u32 s21, s21, s26
	s_addc_u32 s13, s24, s13
	s_mul_i32 s5, s23, s5
	s_addc_u32 s21, s25, 0
	s_add_u32 s5, s13, s5
	s_addc_u32 s13, 0, s21
	s_mul_i32 s24, s20, s5
	s_add_u32 s21, s5, 1
	v_sub_co_u32 v9, s22, s22, s24
	s_addc_u32 s24, s13, 0
	s_mul_i32 s26, s20, s13
	s_mul_hi_u32 s28, s20, s5
	s_delay_alu instid0(VALU_DEP_1)
	v_sub_co_u32 v10, s27, v9, s20
	s_add_u32 s25, s5, 2
	s_addc_u32 s29, s13, 0
	s_add_i32 s28, s28, s26
	s_cmp_lg_u32 s22, 0
	v_readfirstlane_b32 s22, v10
	s_subb_u32 s23, s23, s28
	s_cmp_lg_u32 s27, 0
	s_subb_u32 s26, s23, 0
	s_delay_alu instid0(VALU_DEP_1) | instskip(SKIP_4) | instid1(SALU_CYCLE_1)
	s_cmp_ge_u32 s22, s20
	s_cselect_b32 s22, -1, 0
	s_cmp_eq_u32 s26, 0
	v_readfirstlane_b32 s26, v9
	s_cselect_b32 s22, s22, -1
	s_cmp_lg_u32 s22, 0
	s_cselect_b32 s21, s25, s21
	s_cselect_b32 s22, s29, s24
	s_cmp_ge_u32 s26, s20
	s_cselect_b32 s24, -1, 0
	s_cmp_eq_u32 s23, 0
	s_cselect_b32 s23, s24, -1
	s_delay_alu instid0(SALU_CYCLE_1) | instskip(SKIP_4) | instid1(SALU_CYCLE_1)
	s_cmp_lg_u32 s23, 0
	s_cselect_b32 s23, s22, s13
	s_cselect_b32 s22, s21, s5
	s_mov_b32 s5, 0
	s_xor_b64 s[22:23], s[22:23], s[0:1]
	s_sub_u32 s0, s22, s0
.LBB51_11:                              ;   in Loop: Header=BB51_9 Depth=1
	s_and_not1_b32 vcc_lo, exec_lo, s5
	s_cbranch_vccnz .LBB51_13
; %bb.12:                               ;   in Loop: Header=BB51_9 Depth=1
	v_readfirstlane_b32 s0, v6
	s_delay_alu instid0(VALU_DEP_1) | instskip(NEXT) | instid1(SALU_CYCLE_1)
	s_mul_i32 s1, s18, s0
	s_mul_hi_u32 s1, s0, s1
	s_delay_alu instid0(SALU_CYCLE_1) | instskip(NEXT) | instid1(SALU_CYCLE_1)
	s_add_i32 s0, s0, s1
	s_mul_hi_u32 s0, s4, s0
	s_delay_alu instid0(SALU_CYCLE_1) | instskip(NEXT) | instid1(SALU_CYCLE_1)
	s_mul_i32 s1, s0, s20
	s_sub_i32 s1, s4, s1
	s_add_i32 s4, s0, 1
	s_sub_i32 s5, s1, s20
	s_cmp_ge_u32 s1, s20
	s_cselect_b32 s0, s4, s0
	s_cselect_b32 s1, s5, s1
	s_add_i32 s4, s0, 1
	s_cmp_ge_u32 s1, s20
	s_cselect_b32 s0, s4, s0
.LBB51_13:                              ;   in Loop: Header=BB51_9 Depth=1
	s_delay_alu instid0(SALU_CYCLE_1)
	s_cmp_lg_u32 s16, s0
	s_cbranch_scc0 .LBB51_17
; %bb.14:                               ;   in Loop: Header=BB51_9 Depth=1
	s_add_i32 s1, s14, s19
	s_mov_b32 s5, s12
	s_lshl_b32 s1, s1, 1
	s_mov_b32 s21, s16
	s_add_i32 s4, s1, s15
	s_mul_hi_u32 s1, s0, s8
	s_lshl_b64 s[4:5], s[4:5], 3
	s_delay_alu instid0(SALU_CYCLE_1) | instskip(SKIP_2) | instid1(SALU_CYCLE_1)
	s_add_u32 s4, s2, s4
	s_addc_u32 s5, s3, s5
	s_add_i32 s1, s1, s0
	s_lshr_b32 s1, s1, s9
	s_delay_alu instid0(SALU_CYCLE_1) | instskip(NEXT) | instid1(SALU_CYCLE_1)
	s_mul_i32 s13, s1, s10
	s_cmp_eq_u32 s13, s0
	s_cselect_b32 s13, -1, 0
	s_cmp_lt_u32 s1, s11
	s_cselect_b32 s1, -1, 0
	s_delay_alu instid0(SALU_CYCLE_1)
	s_or_b32 s1, s1, s13
	s_mov_b32 s13, -1
	s_and_b32 vcc_lo, exec_lo, s1
	s_mov_b32 s1, s19
	s_cbranch_vccnz .LBB51_16
; %bb.15:                               ;   in Loop: Header=BB51_9 Depth=1
	s_add_i32 s1, s19, -1
	s_mov_b32 s13, 0
	s_mov_b32 s21, s0
.LBB51_16:                              ;   in Loop: Header=BB51_9 Depth=1
	v_mad_u64_u32 v[9:10], null, 0xa0, s19, v[3:4]
	s_load_b64 s[4:5], s[4:5], 0x0
	s_delay_alu instid0(VALU_DEP_1) | instskip(NEXT) | instid1(VALU_DEP_1)
	v_ashrrev_i32_e32 v10, 31, v9
	v_lshlrev_b64 v[9:10], 2, v[9:10]
	s_delay_alu instid0(VALU_DEP_1) | instskip(NEXT) | instid1(VALU_DEP_2)
	v_add_co_u32 v9, vcc_lo, s6, v9
	v_add_co_ci_u32_e32 v10, vcc_lo, s17, v10, vcc_lo
	s_waitcnt lgkmcnt(0)
	v_max_f32_e64 v11, s4, s4
	global_load_b32 v10, v[9:10], off
	v_max_f32_e32 v9, v8, v8
	s_delay_alu instid0(VALU_DEP_1) | instskip(NEXT) | instid1(VALU_DEP_1)
	v_max_f32_e32 v9, v9, v11
	v_sub_f32_e32 v12, v8, v9
	s_delay_alu instid0(VALU_DEP_1) | instskip(NEXT) | instid1(VALU_DEP_1)
	v_dual_mul_f32 v14, 0x3fb8aa3b, v12 :: v_dual_sub_f32 v11, s4, v9
	v_rndne_f32_e32 v18, v14
	s_delay_alu instid0(VALU_DEP_2) | instskip(SKIP_2) | instid1(VALU_DEP_4)
	v_mul_f32_e32 v13, 0x3fb8aa3b, v11
	v_fma_f32 v17, 0x3fb8aa3b, v12, -v14
	v_cmp_ngt_f32_e32 vcc_lo, 0xc2ce8ed0, v11
	v_sub_f32_e32 v14, v14, v18
	s_delay_alu instid0(VALU_DEP_4) | instskip(SKIP_2) | instid1(VALU_DEP_3)
	v_fma_f32 v15, 0x3fb8aa3b, v11, -v13
	v_rndne_f32_e32 v16, v13
	v_fmac_f32_e32 v17, 0x32a5705f, v12
	v_fmac_f32_e32 v15, 0x32a5705f, v11
	s_delay_alu instid0(VALU_DEP_2) | instskip(NEXT) | instid1(VALU_DEP_1)
	v_dual_sub_f32 v13, v13, v16 :: v_dual_add_f32 v14, v14, v17
	v_add_f32_e32 v13, v13, v15
	s_delay_alu instid0(VALU_DEP_2) | instskip(SKIP_2) | instid1(VALU_DEP_3)
	v_exp_f32_e32 v14, v14
	v_cvt_i32_f32_e32 v15, v16
	v_cvt_i32_f32_e32 v16, v18
	v_exp_f32_e32 v13, v13
	s_waitcnt_depctr 0xfff
	v_ldexp_f32 v14, v14, v16
	v_ldexp_f32 v13, v13, v15
	s_delay_alu instid0(VALU_DEP_1) | instskip(SKIP_1) | instid1(VALU_DEP_4)
	v_cndmask_b32_e32 v13, 0, v13, vcc_lo
	v_cmp_ngt_f32_e32 vcc_lo, 0xc2ce8ed0, v12
	v_cndmask_b32_e32 v14, 0, v14, vcc_lo
	v_cmp_nlt_f32_e32 vcc_lo, 0x42b17218, v11
	s_delay_alu instid0(VALU_DEP_4) | instskip(SKIP_1) | instid1(VALU_DEP_4)
	v_cndmask_b32_e32 v13, 0x7f800000, v13, vcc_lo
	v_cmp_nlt_f32_e32 vcc_lo, 0x42b17218, v12
	v_cndmask_b32_e32 v14, 0x7f800000, v14, vcc_lo
	v_cmp_le_f32_e32 vcc_lo, 0xc1a00000, v11
	s_delay_alu instid0(VALU_DEP_4) | instskip(SKIP_1) | instid1(VALU_DEP_4)
	v_cndmask_b32_e32 v11, 0, v13, vcc_lo
	v_cmp_le_f32_e32 vcc_lo, 0xc1a00000, v12
	v_cndmask_b32_e32 v12, 0, v14, vcc_lo
	s_waitcnt vmcnt(0)
	s_delay_alu instid0(VALU_DEP_3) | instskip(NEXT) | instid1(VALU_DEP_1)
	v_mul_f32_e32 v10, v10, v11
	v_dual_mul_f32 v11, s5, v11 :: v_dual_fmac_f32 v10, v5, v12
	s_delay_alu instid0(VALU_DEP_1)
	v_fmac_f32_e32 v11, v7, v12
	s_cbranch_execz .LBB51_18
	s_branch .LBB51_19
.LBB51_17:                              ;   in Loop: Header=BB51_9 Depth=1
                                        ; implicit-def: $sgpr13
                                        ; implicit-def: $vgpr10
                                        ; implicit-def: $vgpr9
                                        ; implicit-def: $vgpr11
                                        ; implicit-def: $sgpr1
                                        ; implicit-def: $sgpr21
.LBB51_18:                              ;   in Loop: Header=BB51_9 Depth=1
	s_waitcnt vmcnt(0)
	v_dual_mov_b32 v11, v7 :: v_dual_mov_b32 v10, v5
	v_mov_b32_e32 v9, v8
	s_add_i32 s1, s19, -1
	s_mov_b32 s13, 0
	s_mov_b32 s21, s16
.LBB51_19:                              ;   in Loop: Header=BB51_9 Depth=1
	s_and_not1_b32 vcc_lo, exec_lo, s13
	s_cbranch_vccz .LBB51_23
; %bb.20:                               ;   in Loop: Header=BB51_9 Depth=1
	v_dual_mov_b32 v7, v11 :: v_dual_mov_b32 v8, v9
	s_waitcnt vmcnt(0)
	v_mov_b32_e32 v5, v10
	s_mov_b32 s16, s21
	s_mov_b32 s19, s1
	s_branch .LBB51_9
.LBB51_21:
                                        ; implicit-def: $sgpr16_sgpr17
	s_load_b128 s[8:11], s[0:1], 0x44
	s_branch .LBB51_2
.LBB51_22:
                                        ; implicit-def: $sgpr18_sgpr19
	s_branch .LBB51_5
.LBB51_23:
	v_div_scale_f32 v0, null, v11, v11, v10
	s_delay_alu instid0(VALU_DEP_1) | instskip(SKIP_2) | instid1(VALU_DEP_1)
	v_rcp_f32_e32 v3, v0
	s_waitcnt_depctr 0xfff
	v_fma_f32 v4, -v0, v3, 1.0
	v_fmac_f32_e32 v3, v4, v3
	v_div_scale_f32 v4, vcc_lo, v10, v11, v10
	s_waitcnt vmcnt(0)
	s_delay_alu instid0(VALU_DEP_1) | instskip(NEXT) | instid1(VALU_DEP_1)
	v_mul_f32_e32 v5, v4, v3
	v_fma_f32 v6, -v0, v5, v4
	s_delay_alu instid0(VALU_DEP_1) | instskip(NEXT) | instid1(VALU_DEP_1)
	v_fmac_f32_e32 v5, v6, v3
	v_fma_f32 v0, -v0, v5, v4
	s_delay_alu instid0(VALU_DEP_1) | instskip(NEXT) | instid1(VALU_DEP_1)
	v_div_fmas_f32 v0, v0, v3, v5
	v_div_fixup_f32 v0, v0, v11, v10
	global_store_b32 v[1:2], v0, off
.LBB51_24:
	s_nop 0
	s_sendmsg sendmsg(MSG_DEALLOC_VGPRS)
	s_endpgm
	.section	.rodata,"a",@progbits
	.p2align	6, 0x0
	.amdhsa_kernel _ZL33flash_attn_stream_k_fixup_generalILi80ELi1ELi2EEvPfPK15HIP_vector_typeIfLj2EEiiiiS1_IjLj3EES5_S5_S5_
		.amdhsa_group_segment_fixed_size 0
		.amdhsa_private_segment_fixed_size 0
		.amdhsa_kernarg_size 336
		.amdhsa_user_sgpr_count 13
		.amdhsa_user_sgpr_dispatch_ptr 0
		.amdhsa_user_sgpr_queue_ptr 0
		.amdhsa_user_sgpr_kernarg_segment_ptr 1
		.amdhsa_user_sgpr_dispatch_id 0
		.amdhsa_user_sgpr_private_segment_size 0
		.amdhsa_wavefront_size32 1
		.amdhsa_uses_dynamic_stack 0
		.amdhsa_enable_private_segment 0
		.amdhsa_system_sgpr_workgroup_id_x 1
		.amdhsa_system_sgpr_workgroup_id_y 1
		.amdhsa_system_sgpr_workgroup_id_z 1
		.amdhsa_system_sgpr_workgroup_info 0
		.amdhsa_system_vgpr_workitem_id 0
		.amdhsa_next_free_vgpr 19
		.amdhsa_next_free_sgpr 32
		.amdhsa_reserve_vcc 1
		.amdhsa_float_round_mode_32 0
		.amdhsa_float_round_mode_16_64 0
		.amdhsa_float_denorm_mode_32 3
		.amdhsa_float_denorm_mode_16_64 3
		.amdhsa_dx10_clamp 1
		.amdhsa_ieee_mode 1
		.amdhsa_fp16_overflow 0
		.amdhsa_workgroup_processor_mode 1
		.amdhsa_memory_ordered 1
		.amdhsa_forward_progress 0
		.amdhsa_shared_vgpr_count 0
		.amdhsa_exception_fp_ieee_invalid_op 0
		.amdhsa_exception_fp_denorm_src 0
		.amdhsa_exception_fp_ieee_div_zero 0
		.amdhsa_exception_fp_ieee_overflow 0
		.amdhsa_exception_fp_ieee_underflow 0
		.amdhsa_exception_fp_ieee_inexact 0
		.amdhsa_exception_int_div_zero 0
	.end_amdhsa_kernel
	.section	.text._ZL33flash_attn_stream_k_fixup_generalILi80ELi1ELi2EEvPfPK15HIP_vector_typeIfLj2EEiiiiS1_IjLj3EES5_S5_S5_,"axG",@progbits,_ZL33flash_attn_stream_k_fixup_generalILi80ELi1ELi2EEvPfPK15HIP_vector_typeIfLj2EEiiiiS1_IjLj3EES5_S5_S5_,comdat
.Lfunc_end51:
	.size	_ZL33flash_attn_stream_k_fixup_generalILi80ELi1ELi2EEvPfPK15HIP_vector_typeIfLj2EEiiiiS1_IjLj3EES5_S5_S5_, .Lfunc_end51-_ZL33flash_attn_stream_k_fixup_generalILi80ELi1ELi2EEvPfPK15HIP_vector_typeIfLj2EEiiiiS1_IjLj3EES5_S5_S5_
                                        ; -- End function
	.section	.AMDGPU.csdata,"",@progbits
; Kernel info:
; codeLenInByte = 3220
; NumSgprs: 34
; NumVgprs: 19
; ScratchSize: 0
; MemoryBound: 0
; FloatMode: 240
; IeeeMode: 1
; LDSByteSize: 0 bytes/workgroup (compile time only)
; SGPRBlocks: 4
; VGPRBlocks: 2
; NumSGPRsForWavesPerEU: 34
; NumVGPRsForWavesPerEU: 19
; Occupancy: 16
; WaveLimiterHint : 0
; COMPUTE_PGM_RSRC2:SCRATCH_EN: 0
; COMPUTE_PGM_RSRC2:USER_SGPR: 13
; COMPUTE_PGM_RSRC2:TRAP_HANDLER: 0
; COMPUTE_PGM_RSRC2:TGID_X_EN: 1
; COMPUTE_PGM_RSRC2:TGID_Y_EN: 1
; COMPUTE_PGM_RSRC2:TGID_Z_EN: 1
; COMPUTE_PGM_RSRC2:TIDIG_COMP_CNT: 0
	.section	.text._ZL15flash_attn_tileILi80ELi80ELi64ELi1ELb0EEvPKcS1_S1_S1_S1_PKiPfP15HIP_vector_typeIfLj2EEffffjfiS5_IjLj3EEiiiiiiiiiiiliiliiiiil,"axG",@progbits,_ZL15flash_attn_tileILi80ELi80ELi64ELi1ELb0EEvPKcS1_S1_S1_S1_PKiPfP15HIP_vector_typeIfLj2EEffffjfiS5_IjLj3EEiiiiiiiiiiiliiliiiiil,comdat
	.globl	_ZL15flash_attn_tileILi80ELi80ELi64ELi1ELb0EEvPKcS1_S1_S1_S1_PKiPfP15HIP_vector_typeIfLj2EEffffjfiS5_IjLj3EEiiiiiiiiiiiliiliiiiil ; -- Begin function _ZL15flash_attn_tileILi80ELi80ELi64ELi1ELb0EEvPKcS1_S1_S1_S1_PKiPfP15HIP_vector_typeIfLj2EEffffjfiS5_IjLj3EEiiiiiiiiiiiliiliiiiil
	.p2align	8
	.type	_ZL15flash_attn_tileILi80ELi80ELi64ELi1ELb0EEvPKcS1_S1_S1_S1_PKiPfP15HIP_vector_typeIfLj2EEffffjfiS5_IjLj3EEiiiiiiiiiiiliiliiiiil,@function
_ZL15flash_attn_tileILi80ELi80ELi64ELi1ELb0EEvPKcS1_S1_S1_S1_PKiPfP15HIP_vector_typeIfLj2EEffffjfiS5_IjLj3EEiiiiiiiiiiiliiliiiiil: ; @_ZL15flash_attn_tileILi80ELi80ELi64ELi1ELb0EEvPKcS1_S1_S1_S1_PKiPfP15HIP_vector_typeIfLj2EEffffjfiS5_IjLj3EEiiiiiiiiiiiliiliiiiil
; %bb.0:
	s_clause 0x1
	s_load_b128 s[36:39], s[0:1], 0x5c
	s_load_b64 s[42:43], s[0:1], 0x80
	s_mov_b64 s[40:41], 0
	s_waitcnt lgkmcnt(0)
	v_cvt_f32_u32_e32 v1, s39
	s_sub_i32 s3, 0, s39
	s_delay_alu instid0(VALU_DEP_1) | instskip(SKIP_2) | instid1(VALU_DEP_1)
	v_rcp_iflag_f32_e32 v1, v1
	s_waitcnt_depctr 0xfff
	v_mul_f32_e32 v1, 0x4f7ffffe, v1
	v_cvt_u32_f32_e32 v1, v1
	s_delay_alu instid0(VALU_DEP_1) | instskip(NEXT) | instid1(VALU_DEP_1)
	v_readfirstlane_b32 s2, v1
	s_mul_i32 s3, s3, s2
	s_delay_alu instid0(SALU_CYCLE_1) | instskip(NEXT) | instid1(SALU_CYCLE_1)
	s_mul_hi_u32 s3, s2, s3
	s_add_i32 s2, s2, s3
	s_delay_alu instid0(SALU_CYCLE_1) | instskip(NEXT) | instid1(SALU_CYCLE_1)
	s_mul_hi_u32 s2, s15, s2
	s_mul_i32 s3, s2, s39
	s_add_i32 s4, s2, 1
	s_sub_i32 s3, s15, s3
	s_delay_alu instid0(SALU_CYCLE_1)
	s_sub_i32 s5, s3, s39
	s_cmp_ge_u32 s3, s39
	s_cselect_b32 s2, s4, s2
	s_cselect_b32 s3, s5, s3
	s_add_i32 s4, s2, 1
	s_cmp_ge_u32 s3, s39
	s_cselect_b32 s46, s4, s2
	s_abs_i32 s2, s43
	s_abs_i32 s5, s39
	v_cvt_f32_u32_e32 v1, s2
	s_sub_i32 s4, 0, s2
	s_delay_alu instid0(VALU_DEP_1) | instskip(SKIP_2) | instid1(VALU_DEP_1)
	v_rcp_iflag_f32_e32 v1, v1
	s_waitcnt_depctr 0xfff
	v_mul_f32_e32 v1, 0x4f7ffffe, v1
	v_cvt_u32_f32_e32 v1, v1
	s_delay_alu instid0(VALU_DEP_1) | instskip(NEXT) | instid1(VALU_DEP_1)
	v_readfirstlane_b32 s3, v1
	s_mul_i32 s4, s4, s3
	s_delay_alu instid0(SALU_CYCLE_1) | instskip(NEXT) | instid1(SALU_CYCLE_1)
	s_mul_hi_u32 s4, s3, s4
	s_add_i32 s3, s3, s4
	s_xor_b32 s4, s39, s43
	s_mul_hi_u32 s3, s5, s3
	s_ashr_i32 s4, s4, 31
	s_mul_i32 s6, s3, s2
	s_delay_alu instid0(SALU_CYCLE_1)
	s_sub_i32 s5, s5, s6
	s_add_i32 s6, s3, 1
	s_sub_i32 s7, s5, s2
	s_cmp_ge_u32 s5, s2
	s_cselect_b32 s3, s6, s3
	s_cselect_b32 s5, s7, s5
	s_add_i32 s6, s3, 1
	s_cmp_ge_u32 s5, s2
	s_cselect_b32 s2, s6, s3
	s_delay_alu instid0(SALU_CYCLE_1) | instskip(NEXT) | instid1(SALU_CYCLE_1)
	s_xor_b32 s2, s2, s4
	s_sub_i32 s43, s2, s4
	s_clause 0x1
	s_load_b512 s[16:31], s[0:1], 0x0
	s_load_b64 s[4:5], s[0:1], 0xb8
	s_abs_i32 s12, s43
	s_mul_i32 s2, s46, s39
	v_cvt_f32_u32_e32 v1, s12
	s_delay_alu instid0(VALU_DEP_1) | instskip(SKIP_4) | instid1(VALU_DEP_1)
	v_rcp_iflag_f32_e32 v1, v1
	s_waitcnt_depctr 0xfff
	v_mul_f32_e32 v1, 0x4f7ffffe, v1
	s_waitcnt lgkmcnt(0)
	s_cmp_eq_u64 s[22:23], 0
	v_cvt_u32_f32_e32 v1, v1
	s_delay_alu instid0(VALU_DEP_1)
	v_readfirstlane_b32 s35, v1
	s_cbranch_scc1 .LBB52_2
; %bb.1:
	s_abs_i32 s3, s4
	s_abs_i32 s8, s46
	v_cvt_f32_u32_e32 v1, s3
	s_sub_i32 s6, 0, s3
	s_delay_alu instid0(VALU_DEP_1) | instskip(SKIP_2) | instid1(VALU_DEP_1)
	v_rcp_iflag_f32_e32 v1, v1
	s_waitcnt_depctr 0xfff
	v_mul_f32_e32 v1, 0x4f7ffffe, v1
	v_cvt_u32_f32_e32 v1, v1
	s_delay_alu instid0(VALU_DEP_1) | instskip(NEXT) | instid1(VALU_DEP_1)
	v_readfirstlane_b32 s4, v1
	s_mul_i32 s6, s6, s4
	s_delay_alu instid0(SALU_CYCLE_1) | instskip(NEXT) | instid1(SALU_CYCLE_1)
	s_mul_hi_u32 s6, s4, s6
	s_add_i32 s4, s4, s6
	s_load_b64 s[6:7], s[0:1], 0xc8
	s_mul_hi_u32 s4, s8, s4
	s_delay_alu instid0(SALU_CYCLE_1) | instskip(NEXT) | instid1(SALU_CYCLE_1)
	s_mul_i32 s4, s4, s3
	s_sub_i32 s4, s8, s4
	s_ashr_i32 s8, s46, 31
	s_sub_i32 s9, s4, s3
	s_cmp_ge_u32 s4, s3
	s_cselect_b32 s4, s9, s4
	s_delay_alu instid0(SALU_CYCLE_1) | instskip(SKIP_2) | instid1(SALU_CYCLE_1)
	s_sub_i32 s9, s4, s3
	s_cmp_ge_u32 s4, s3
	s_cselect_b32 s3, s9, s4
	s_xor_b32 s3, s3, s8
	s_delay_alu instid0(SALU_CYCLE_1)
	s_sub_i32 s3, s3, s8
	s_waitcnt lgkmcnt(0)
	s_mul_i32 s4, s3, s7
	s_mul_hi_u32 s7, s3, s6
	s_ashr_i32 s8, s3, 31
	s_add_i32 s4, s7, s4
	s_mul_i32 s8, s8, s6
	s_mul_i32 s3, s3, s6
	s_add_i32 s4, s4, s8
	s_add_u32 s40, s22, s3
	s_addc_u32 s41, s23, s4
.LBB52_2:
	s_clause 0x1
	s_load_b128 s[8:11], s[0:1], 0x40
	s_load_b32 s3, s[0:1], 0x50
	v_mov_b32_e32 v144, 1.0
	s_sub_i32 s34, s15, s2
	s_waitcnt lgkmcnt(0)
	v_cmp_le_f32_e64 s4, s9, 0
	s_delay_alu instid0(VALU_DEP_1)
	s_and_b32 vcc_lo, exec_lo, s4
	s_cbranch_vccnz .LBB52_4
; %bb.3:
	s_sub_i32 s2, s34, s3
	s_add_i32 s4, s34, 1
	s_lshl_b32 s2, s2, 1
	v_mov_b32_e32 v1, s10
	s_or_b32 s2, s2, 1
	s_cmp_lt_u32 s34, s3
	s_cselect_b32 vcc_lo, -1, 0
	s_delay_alu instid0(VALU_DEP_1)
	v_cndmask_b32_e32 v3, s11, v1, vcc_lo
	s_and_b32 s3, vcc_lo, exec_lo
	s_cselect_b32 s2, s4, s2
	s_mov_b32 s3, 0x3e76c4e1
	v_cvt_f32_i32_e32 v1, s2
	v_cmp_neq_f32_e32 vcc_lo, 1.0, v3
	s_delay_alu instid0(VALU_DEP_2) | instskip(NEXT) | instid1(VALU_DEP_1)
	v_cndmask_b32_e32 v4, 1.0, v1, vcc_lo
	v_cmp_eq_f32_e32 vcc_lo, 0, v4
	v_cndmask_b32_e64 v5, |v3|, 1.0, vcc_lo
	s_delay_alu instid0(VALU_DEP_1) | instskip(NEXT) | instid1(VALU_DEP_1)
	v_frexp_mant_f32_e32 v1, v5
	v_cmp_gt_f32_e64 s2, 0x3f2aaaab, v1
	s_delay_alu instid0(VALU_DEP_1) | instskip(NEXT) | instid1(VALU_DEP_1)
	v_cndmask_b32_e64 v2, 1.0, 2.0, s2
	v_mul_f32_e32 v1, v1, v2
	s_delay_alu instid0(VALU_DEP_1) | instskip(SKIP_1) | instid1(VALU_DEP_2)
	v_add_f32_e32 v2, 1.0, v1
	v_add_f32_e32 v7, -1.0, v1
	v_rcp_f32_e32 v6, v2
	s_waitcnt_depctr 0xfff
	v_mul_f32_e32 v8, v7, v6
	s_delay_alu instid0(VALU_DEP_1) | instskip(NEXT) | instid1(VALU_DEP_1)
	v_dual_add_f32 v9, -1.0, v2 :: v_dual_mul_f32 v10, v2, v8
	v_sub_f32_e32 v1, v1, v9
	v_cndmask_b32_e64 v3, v3, 1.0, vcc_lo
	s_delay_alu instid0(VALU_DEP_3) | instskip(NEXT) | instid1(VALU_DEP_2)
	v_fma_f32 v2, v8, v2, -v10
	v_cmp_eq_f32_e64 s4, 0, v3
	s_delay_alu instid0(VALU_DEP_2) | instskip(NEXT) | instid1(VALU_DEP_1)
	v_fmac_f32_e32 v2, v8, v1
	v_add_f32_e32 v1, v10, v2
	s_delay_alu instid0(VALU_DEP_1) | instskip(NEXT) | instid1(VALU_DEP_1)
	v_dual_sub_f32 v10, v1, v10 :: v_dual_sub_f32 v9, v7, v1
	v_dual_sub_f32 v2, v10, v2 :: v_dual_sub_f32 v7, v7, v9
	s_delay_alu instid0(VALU_DEP_1) | instskip(NEXT) | instid1(VALU_DEP_1)
	v_sub_f32_e32 v1, v7, v1
	v_add_f32_e32 v1, v2, v1
	s_delay_alu instid0(VALU_DEP_1) | instskip(NEXT) | instid1(VALU_DEP_1)
	v_add_f32_e32 v1, v9, v1
	v_mul_f32_e32 v1, v6, v1
	s_delay_alu instid0(VALU_DEP_1) | instskip(NEXT) | instid1(VALU_DEP_1)
	v_add_f32_e32 v6, v8, v1
	v_sub_f32_e32 v2, v6, v8
	v_mul_f32_e32 v7, v6, v6
	s_delay_alu instid0(VALU_DEP_2) | instskip(NEXT) | instid1(VALU_DEP_2)
	v_sub_f32_e32 v8, v1, v2
	v_fma_f32 v9, v6, v6, -v7
	s_delay_alu instid0(VALU_DEP_2) | instskip(NEXT) | instid1(VALU_DEP_1)
	v_add_f32_e32 v1, v8, v8
	v_fmac_f32_e32 v9, v6, v1
	v_cvt_f64_f32_e32 v[1:2], v5
	s_delay_alu instid0(VALU_DEP_2) | instskip(NEXT) | instid1(VALU_DEP_1)
	v_add_f32_e32 v10, v7, v9
	v_fmaak_f32 v11, s3, v10, 0x3e91f4c4
	v_sub_f32_e32 v7, v10, v7
	v_mul_f32_e32 v14, v6, v10
	s_delay_alu instid0(VALU_DEP_3) | instskip(NEXT) | instid1(VALU_DEP_3)
	v_fmaak_f32 v11, v10, v11, 0x3ecccdef
	v_sub_f32_e32 v7, v9, v7
	s_delay_alu instid0(VALU_DEP_2) | instskip(NEXT) | instid1(VALU_DEP_1)
	v_mul_f32_e32 v12, v10, v11
	v_fma_f32 v9, v10, v11, -v12
	s_delay_alu instid0(VALU_DEP_1) | instskip(NEXT) | instid1(VALU_DEP_1)
	v_fmac_f32_e32 v9, v7, v11
	v_add_f32_e32 v11, v12, v9
	v_frexp_exp_i32_f64_e32 v1, v[1:2]
	s_delay_alu instid0(VALU_DEP_2) | instskip(NEXT) | instid1(VALU_DEP_1)
	v_sub_f32_e32 v12, v11, v12
	v_sub_f32_e32 v2, v9, v12
	v_fma_f32 v12, v10, v6, -v14
	s_delay_alu instid0(VALU_DEP_2) | instskip(NEXT) | instid1(VALU_DEP_2)
	v_add_f32_e32 v2, 0x31739010, v2
	v_dual_add_f32 v13, 0x3f2aaaaa, v11 :: v_dual_fmac_f32 v12, v10, v8
	v_ldexp_f32 v8, v8, 1
	s_delay_alu instid0(VALU_DEP_2) | instskip(NEXT) | instid1(VALU_DEP_1)
	v_dual_add_f32 v9, 0xbf2aaaaa, v13 :: v_dual_fmac_f32 v12, v7, v6
	v_sub_f32_e32 v9, v11, v9
	s_delay_alu instid0(VALU_DEP_1) | instskip(NEXT) | instid1(VALU_DEP_3)
	v_add_f32_e32 v2, v2, v9
	v_add_f32_e32 v9, v14, v12
	s_delay_alu instid0(VALU_DEP_2) | instskip(NEXT) | instid1(VALU_DEP_1)
	v_add_f32_e32 v7, v13, v2
	v_sub_f32_e32 v10, v13, v7
	s_delay_alu instid0(VALU_DEP_3) | instskip(SKIP_2) | instid1(VALU_DEP_4)
	v_mul_f32_e32 v11, v9, v7
	v_sub_f32_e32 v13, v9, v14
	v_subrev_co_ci_u32_e64 v1, s2, 0, v1, s2
	v_add_f32_e32 v2, v2, v10
	s_delay_alu instid0(VALU_DEP_4) | instskip(NEXT) | instid1(VALU_DEP_4)
	v_fma_f32 v10, v9, v7, -v11
	v_sub_f32_e32 v12, v12, v13
	s_delay_alu instid0(VALU_DEP_4) | instskip(NEXT) | instid1(VALU_DEP_3)
	v_cvt_f32_i32_e32 v1, v1
	v_fmac_f32_e32 v10, v9, v2
	v_ldexp_f32 v2, v6, 1
	s_delay_alu instid0(VALU_DEP_2) | instskip(NEXT) | instid1(VALU_DEP_1)
	v_fmac_f32_e32 v10, v12, v7
	v_add_f32_e32 v6, v11, v10
	s_delay_alu instid0(VALU_DEP_1) | instskip(NEXT) | instid1(VALU_DEP_1)
	v_add_f32_e32 v7, v2, v6
	v_dual_sub_f32 v2, v7, v2 :: v_dual_sub_f32 v9, v6, v11
	s_delay_alu instid0(VALU_DEP_1) | instskip(NEXT) | instid1(VALU_DEP_2)
	v_sub_f32_e32 v2, v6, v2
	v_sub_f32_e32 v9, v10, v9
	s_delay_alu instid0(VALU_DEP_1) | instskip(NEXT) | instid1(VALU_DEP_1)
	v_add_f32_e32 v6, v8, v9
	v_dual_mul_f32 v11, 0x3f317218, v1 :: v_dual_add_f32 v2, v6, v2
	s_delay_alu instid0(VALU_DEP_1) | instskip(NEXT) | instid1(VALU_DEP_2)
	v_fma_f32 v10, 0x3f317218, v1, -v11
	v_add_f32_e32 v8, v7, v2
	s_delay_alu instid0(VALU_DEP_1) | instskip(NEXT) | instid1(VALU_DEP_1)
	v_sub_f32_e32 v7, v8, v7
	v_dual_fmamk_f32 v1, v1, 0xb102e308, v10 :: v_dual_sub_f32 v2, v2, v7
	s_delay_alu instid0(VALU_DEP_1) | instskip(NEXT) | instid1(VALU_DEP_1)
	v_add_f32_e32 v6, v11, v1
	v_add_f32_e32 v9, v6, v8
	s_delay_alu instid0(VALU_DEP_1) | instskip(NEXT) | instid1(VALU_DEP_1)
	v_dual_sub_f32 v11, v6, v11 :: v_dual_sub_f32 v10, v9, v6
	v_sub_f32_e32 v12, v9, v10
	s_delay_alu instid0(VALU_DEP_2) | instskip(NEXT) | instid1(VALU_DEP_2)
	v_sub_f32_e32 v1, v1, v11
	v_dual_sub_f32 v7, v8, v10 :: v_dual_sub_f32 v6, v6, v12
	s_delay_alu instid0(VALU_DEP_2) | instskip(NEXT) | instid1(VALU_DEP_2)
	v_add_f32_e32 v8, v1, v2
	v_add_f32_e32 v6, v7, v6
	s_delay_alu instid0(VALU_DEP_1) | instskip(NEXT) | instid1(VALU_DEP_1)
	v_add_f32_e32 v6, v8, v6
	v_dual_sub_f32 v7, v8, v1 :: v_dual_add_f32 v10, v9, v6
	s_delay_alu instid0(VALU_DEP_1) | instskip(SKIP_1) | instid1(VALU_DEP_3)
	v_sub_f32_e32 v8, v8, v7
	v_sub_f32_e32 v2, v2, v7
	v_sub_f32_e32 v7, v10, v9
	s_delay_alu instid0(VALU_DEP_3) | instskip(NEXT) | instid1(VALU_DEP_1)
	v_sub_f32_e32 v1, v1, v8
	v_add_f32_e32 v1, v2, v1
	s_delay_alu instid0(VALU_DEP_3) | instskip(NEXT) | instid1(VALU_DEP_1)
	v_sub_f32_e32 v2, v6, v7
	v_add_f32_e32 v1, v1, v2
	s_delay_alu instid0(VALU_DEP_1) | instskip(NEXT) | instid1(VALU_DEP_1)
	v_add_f32_e32 v2, v10, v1
	v_mul_f32_e32 v7, v4, v2
	v_sub_f32_e32 v6, v2, v10
	s_delay_alu instid0(VALU_DEP_2) | instskip(NEXT) | instid1(VALU_DEP_2)
	v_fma_f32 v2, v4, v2, -v7
	v_sub_f32_e32 v1, v1, v6
	v_cmp_class_f32_e64 s2, v7, 0x204
	s_delay_alu instid0(VALU_DEP_2) | instskip(NEXT) | instid1(VALU_DEP_1)
	v_fmac_f32_e32 v2, v4, v1
	v_add_f32_e32 v1, v7, v2
	s_delay_alu instid0(VALU_DEP_1) | instskip(NEXT) | instid1(VALU_DEP_1)
	v_cndmask_b32_e64 v6, v1, v7, s2
	v_cmp_eq_f32_e64 s2, 0x42b17218, v6
	s_delay_alu instid0(VALU_DEP_1) | instskip(SKIP_1) | instid1(VALU_DEP_2)
	v_cndmask_b32_e64 v8, 0, 0x37000000, s2
	v_cmp_neq_f32_e64 s2, 0x7f800000, |v6|
	v_sub_f32_e32 v9, v6, v8
	v_trunc_f32_e32 v6, v4
	s_delay_alu instid0(VALU_DEP_2) | instskip(NEXT) | instid1(VALU_DEP_1)
	v_mul_f32_e32 v10, 0x3fb8aa3b, v9
	v_fma_f32 v11, 0x3fb8aa3b, v9, -v10
	v_rndne_f32_e32 v12, v10
	s_delay_alu instid0(VALU_DEP_1) | instskip(NEXT) | instid1(VALU_DEP_1)
	v_dual_fmamk_f32 v11, v9, 0x32a5705f, v11 :: v_dual_sub_f32 v10, v10, v12
	v_add_f32_e32 v10, v10, v11
	v_sub_f32_e32 v1, v1, v7
	v_cvt_i32_f32_e32 v7, v12
	s_delay_alu instid0(VALU_DEP_3) | instskip(NEXT) | instid1(VALU_DEP_2)
	v_exp_f32_e32 v10, v10
	v_sub_f32_e32 v1, v2, v1
	s_delay_alu instid0(VALU_DEP_1)
	v_cndmask_b32_e64 v1, 0, v1, s2
	v_cmp_ngt_f32_e64 s2, 0xc2ce8ed0, v9
	s_waitcnt_depctr 0xfff
	v_ldexp_f32 v2, v10, v7
	v_mul_f32_e32 v7, 0.5, v4
	v_add_f32_e32 v1, v8, v1
	s_delay_alu instid0(VALU_DEP_3) | instskip(NEXT) | instid1(VALU_DEP_3)
	v_cndmask_b32_e64 v2, 0, v2, s2
	v_trunc_f32_e32 v10, v7
	v_cmp_nlt_f32_e64 s2, 0x42b17218, v9
	s_delay_alu instid0(VALU_DEP_2) | instskip(NEXT) | instid1(VALU_DEP_2)
	v_cmp_neq_f32_e64 s3, v10, v7
	v_cndmask_b32_e64 v2, 0x7f800000, v2, s2
	v_cmp_eq_f32_e64 s2, v6, v4
	s_delay_alu instid0(VALU_DEP_2) | instskip(NEXT) | instid1(VALU_DEP_2)
	v_fma_f32 v1, v2, v1, v2
	s_and_b32 vcc_lo, s2, s3
	v_cmp_class_f32_e64 s3, v2, 0x204
	v_cndmask_b32_e32 v6, 1.0, v3, vcc_lo
	s_delay_alu instid0(VALU_DEP_2) | instskip(SKIP_1) | instid1(VALU_DEP_2)
	v_cndmask_b32_e64 v1, v1, v2, s3
	v_cmp_gt_f32_e64 s3, 0, v4
	v_bfi_b32 v1, 0x7fffffff, v1, v6
	s_delay_alu instid0(VALU_DEP_2)
	s_xor_b32 s3, s3, s4
	v_cndmask_b32_e32 v6, 0, v3, vcc_lo
	v_cndmask_b32_e64 v2, 0x7f800000, 0, s3
	v_cmp_eq_f32_e32 vcc_lo, 0x7f800000, v5
	v_cndmask_b32_e64 v4, 0x7fc00000, v1, s2
	v_cmp_gt_f32_e64 s2, 0, v3
	s_delay_alu instid0(VALU_DEP_4) | instskip(SKIP_1) | instid1(VALU_DEP_2)
	v_bfi_b32 v2, 0x7fffffff, v2, v6
	s_or_b32 vcc_lo, vcc_lo, s4
	v_cndmask_b32_e64 v1, v1, v4, s2
	s_delay_alu instid0(VALU_DEP_1) | instskip(SKIP_1) | instid1(VALU_DEP_2)
	v_cndmask_b32_e32 v1, v1, v2, vcc_lo
	v_cmp_o_f32_e32 vcc_lo, v3, v3
	v_cndmask_b32_e32 v144, 0x7fc00000, v1, vcc_lo
.LBB52_4:
	s_load_b128 s[48:51], s[0:1], 0x70
	v_and_b32_e32 v119, 0x3ff, v0
	v_bfe_u32 v139, v0, 10, 10
	s_lshl_b32 s33, s13, 6
	s_delay_alu instid0(VALU_DEP_2) | instskip(NEXT) | instid1(VALU_DEP_2)
	v_lshlrev_b32_e32 v8, 4, v119
	v_lshlrev_b32_e32 v122, 3, v139
	v_cmp_gt_u32_e64 s2, 20, v119
	v_lshlrev_b32_e32 v0, 1, v119
	s_delay_alu instid0(VALU_DEP_3)
	v_add_nc_u32_e32 v123, s33, v122
	s_waitcnt lgkmcnt(0)
	s_mul_i32 s3, s46, s50
	s_mul_i32 s4, s34, s49
	s_ashr_i32 s6, s3, 31
	s_add_u32 s3, s16, s3
	s_addc_u32 s6, s17, s6
	s_ashr_i32 s7, s4, 31
	s_add_u32 s3, s3, s4
	s_addc_u32 s4, s6, s7
	v_add_co_u32 v1, s3, s3, v8
	s_delay_alu instid0(VALU_DEP_1) | instskip(SKIP_1) | instid1(SALU_CYCLE_1)
	v_add_co_ci_u32_e64 v2, null, s4, 0, s3
	s_ashr_i32 s49, s48, 31
	s_lshr_b64 s[6:7], s[48:49], 2
	s_and_saveexec_b32 s3, s2
	s_cbranch_execz .LBB52_6
; %bb.5:
	v_mul_hi_u32 v3, v123, s36
	s_delay_alu instid0(VALU_DEP_1) | instskip(NEXT) | instid1(VALU_DEP_1)
	v_add_nc_u32_e32 v3, v123, v3
	v_lshrrev_b32_e32 v3, s37, v3
	s_delay_alu instid0(VALU_DEP_1) | instskip(NEXT) | instid1(VALU_DEP_1)
	v_mul_lo_u32 v3, v3, s38
	v_sub_nc_u32_e32 v7, v123, v3
	s_delay_alu instid0(VALU_DEP_1) | instskip(NEXT) | instid1(VALU_DEP_1)
	v_mad_u64_u32 v[3:4], null, s6, v7, 0
	v_mad_u64_u32 v[5:6], null, s7, v7, v[4:5]
	v_mul_u32_u24_e32 v7, 0x140, v139
	s_delay_alu instid0(VALU_DEP_1) | instskip(NEXT) | instid1(VALU_DEP_3)
	v_or_b32_e32 v7, v7, v0
	v_mov_b32_e32 v4, v5
	s_delay_alu instid0(VALU_DEP_1) | instskip(NEXT) | instid1(VALU_DEP_1)
	v_lshlrev_b64 v[3:4], 2, v[3:4]
	v_add_co_u32 v3, vcc_lo, v1, v3
	s_delay_alu instid0(VALU_DEP_2)
	v_add_co_ci_u32_e32 v4, vcc_lo, v2, v4, vcc_lo
	global_load_b128 v[3:6], v[3:4], off
	s_waitcnt vmcnt(0)
	v_fma_mixlo_f16 v10, v5, s8, 0
	v_fma_mixlo_f16 v9, v3, s8, 0
	v_lshlrev_b32_e32 v3, 2, v7
	s_delay_alu instid0(VALU_DEP_3) | instskip(NEXT) | instid1(VALU_DEP_3)
	v_fma_mixhi_f16 v10, v6, s8, 0
	v_fma_mixhi_f16 v9, v4, s8, 0
	ds_store_b64 v3, v[9:10]
.LBB52_6:
	s_or_b32 exec_lo, exec_lo, s3
	v_or_b32_e32 v120, 1, v122
	s_delay_alu instid0(VALU_DEP_1)
	v_add_nc_u32_e32 v121, s33, v120
	s_and_saveexec_b32 s3, s2
	s_cbranch_execz .LBB52_8
; %bb.7:
	s_delay_alu instid0(VALU_DEP_1) | instskip(NEXT) | instid1(VALU_DEP_1)
	v_mul_hi_u32 v3, v121, s36
	v_add_nc_u32_e32 v3, v121, v3
	s_delay_alu instid0(VALU_DEP_1) | instskip(NEXT) | instid1(VALU_DEP_1)
	v_lshrrev_b32_e32 v3, s37, v3
	v_mul_lo_u32 v3, v3, s38
	s_delay_alu instid0(VALU_DEP_1) | instskip(NEXT) | instid1(VALU_DEP_1)
	v_sub_nc_u32_e32 v7, v121, v3
	v_mad_u64_u32 v[3:4], null, s6, v7, 0
	s_delay_alu instid0(VALU_DEP_1) | instskip(SKIP_1) | instid1(VALU_DEP_2)
	v_mad_u64_u32 v[5:6], null, s7, v7, v[4:5]
	v_mul_u32_u24_e32 v7, 40, v120
	v_mov_b32_e32 v4, v5
	s_delay_alu instid0(VALU_DEP_1) | instskip(NEXT) | instid1(VALU_DEP_1)
	v_lshlrev_b64 v[3:4], 2, v[3:4]
	v_add_co_u32 v3, vcc_lo, v1, v3
	s_delay_alu instid0(VALU_DEP_2)
	v_add_co_ci_u32_e32 v4, vcc_lo, v2, v4, vcc_lo
	global_load_b128 v[3:6], v[3:4], off
	s_waitcnt vmcnt(0)
	v_fma_mixlo_f16 v10, v5, s8, 0
	v_fma_mixlo_f16 v9, v3, s8, 0
	v_add_lshl_u32 v3, v7, v0, 2
	s_delay_alu instid0(VALU_DEP_3) | instskip(NEXT) | instid1(VALU_DEP_3)
	v_fma_mixhi_f16 v10, v6, s8, 0
	v_fma_mixhi_f16 v9, v4, s8, 0
	ds_store_b64 v3, v[9:10]
.LBB52_8:
	s_or_b32 exec_lo, exec_lo, s3
	v_or_b32_e32 v118, 2, v122
	s_and_saveexec_b32 s3, s2
	s_cbranch_execz .LBB52_10
; %bb.9:
	s_delay_alu instid0(VALU_DEP_1) | instskip(NEXT) | instid1(VALU_DEP_1)
	v_add_nc_u32_e32 v3, s33, v118
	v_mul_hi_u32 v4, v3, s36
	s_delay_alu instid0(VALU_DEP_1) | instskip(NEXT) | instid1(VALU_DEP_1)
	v_add_nc_u32_e32 v4, v3, v4
	v_lshrrev_b32_e32 v4, s37, v4
	s_delay_alu instid0(VALU_DEP_1) | instskip(NEXT) | instid1(VALU_DEP_1)
	v_mul_lo_u32 v4, v4, s38
	v_sub_nc_u32_e32 v7, v3, v4
	s_delay_alu instid0(VALU_DEP_1) | instskip(NEXT) | instid1(VALU_DEP_1)
	v_mad_u64_u32 v[3:4], null, s6, v7, 0
	v_mad_u64_u32 v[5:6], null, s7, v7, v[4:5]
	v_mul_u32_u24_e32 v7, 40, v118
	s_delay_alu instid0(VALU_DEP_2) | instskip(NEXT) | instid1(VALU_DEP_1)
	v_mov_b32_e32 v4, v5
	v_lshlrev_b64 v[3:4], 2, v[3:4]
	s_delay_alu instid0(VALU_DEP_1) | instskip(NEXT) | instid1(VALU_DEP_2)
	v_add_co_u32 v3, vcc_lo, v1, v3
	v_add_co_ci_u32_e32 v4, vcc_lo, v2, v4, vcc_lo
	global_load_b128 v[3:6], v[3:4], off
	s_waitcnt vmcnt(0)
	v_fma_mixlo_f16 v10, v5, s8, 0
	v_fma_mixlo_f16 v9, v3, s8, 0
	v_add_lshl_u32 v3, v7, v0, 2
	s_delay_alu instid0(VALU_DEP_3) | instskip(NEXT) | instid1(VALU_DEP_3)
	v_fma_mixhi_f16 v10, v6, s8, 0
	v_fma_mixhi_f16 v9, v4, s8, 0
	ds_store_b64 v3, v[9:10]
.LBB52_10:
	s_or_b32 exec_lo, exec_lo, s3
	v_or_b32_e32 v117, 3, v122
	s_sub_i32 s3, 0, s12
	s_and_saveexec_b32 s4, s2
	s_cbranch_execz .LBB52_12
; %bb.11:
	s_delay_alu instid0(VALU_DEP_1) | instskip(NEXT) | instid1(VALU_DEP_1)
	v_add_nc_u32_e32 v3, s33, v117
	v_mul_hi_u32 v4, v3, s36
	s_delay_alu instid0(VALU_DEP_1) | instskip(NEXT) | instid1(VALU_DEP_1)
	v_add_nc_u32_e32 v4, v3, v4
	v_lshrrev_b32_e32 v4, s37, v4
	s_delay_alu instid0(VALU_DEP_1) | instskip(NEXT) | instid1(VALU_DEP_1)
	v_mul_lo_u32 v4, v4, s38
	v_sub_nc_u32_e32 v7, v3, v4
	s_delay_alu instid0(VALU_DEP_1) | instskip(NEXT) | instid1(VALU_DEP_1)
	v_mad_u64_u32 v[3:4], null, s6, v7, 0
	v_mad_u64_u32 v[5:6], null, s7, v7, v[4:5]
	v_mul_u32_u24_e32 v7, 40, v117
	s_delay_alu instid0(VALU_DEP_2) | instskip(NEXT) | instid1(VALU_DEP_1)
	v_mov_b32_e32 v4, v5
	v_lshlrev_b64 v[3:4], 2, v[3:4]
	s_delay_alu instid0(VALU_DEP_1) | instskip(NEXT) | instid1(VALU_DEP_2)
	v_add_co_u32 v3, vcc_lo, v1, v3
	v_add_co_ci_u32_e32 v4, vcc_lo, v2, v4, vcc_lo
	global_load_b128 v[3:6], v[3:4], off
	s_waitcnt vmcnt(0)
	v_fma_mixlo_f16 v10, v5, s8, 0
	v_fma_mixlo_f16 v9, v3, s8, 0
	v_add_lshl_u32 v3, v7, v0, 2
	s_delay_alu instid0(VALU_DEP_3) | instskip(NEXT) | instid1(VALU_DEP_3)
	v_fma_mixhi_f16 v10, v6, s8, 0
	v_fma_mixhi_f16 v9, v4, s8, 0
	ds_store_b64 v3, v[9:10]
.LBB52_12:
	s_or_b32 exec_lo, exec_lo, s4
	v_or_b32_e32 v116, 4, v122
	s_mul_i32 s3, s3, s35
	s_and_saveexec_b32 s4, s2
	s_cbranch_execz .LBB52_14
; %bb.13:
	s_delay_alu instid0(VALU_DEP_1) | instskip(NEXT) | instid1(VALU_DEP_1)
	v_add_nc_u32_e32 v3, s33, v116
	v_mul_hi_u32 v4, v3, s36
	s_delay_alu instid0(VALU_DEP_1) | instskip(NEXT) | instid1(VALU_DEP_1)
	v_add_nc_u32_e32 v4, v3, v4
	v_lshrrev_b32_e32 v4, s37, v4
	s_delay_alu instid0(VALU_DEP_1) | instskip(NEXT) | instid1(VALU_DEP_1)
	v_mul_lo_u32 v4, v4, s38
	v_sub_nc_u32_e32 v7, v3, v4
	s_delay_alu instid0(VALU_DEP_1) | instskip(NEXT) | instid1(VALU_DEP_1)
	v_mad_u64_u32 v[3:4], null, s6, v7, 0
	v_mad_u64_u32 v[5:6], null, s7, v7, v[4:5]
	v_mul_u32_u24_e32 v7, 40, v116
	s_delay_alu instid0(VALU_DEP_2) | instskip(NEXT) | instid1(VALU_DEP_1)
	v_mov_b32_e32 v4, v5
	v_lshlrev_b64 v[3:4], 2, v[3:4]
	s_delay_alu instid0(VALU_DEP_1) | instskip(NEXT) | instid1(VALU_DEP_2)
	v_add_co_u32 v3, vcc_lo, v1, v3
	v_add_co_ci_u32_e32 v4, vcc_lo, v2, v4, vcc_lo
	global_load_b128 v[3:6], v[3:4], off
	s_waitcnt vmcnt(0)
	v_fma_mixlo_f16 v10, v5, s8, 0
	v_fma_mixlo_f16 v9, v3, s8, 0
	v_add_lshl_u32 v3, v7, v0, 2
	s_delay_alu instid0(VALU_DEP_3) | instskip(NEXT) | instid1(VALU_DEP_3)
	v_fma_mixhi_f16 v10, v6, s8, 0
	v_fma_mixhi_f16 v9, v4, s8, 0
	ds_store_b64 v3, v[9:10]
.LBB52_14:
	s_or_b32 exec_lo, exec_lo, s4
	v_or_b32_e32 v115, 5, v122
	s_mul_hi_u32 s4, s35, s3
	s_and_saveexec_b32 s3, s2
	s_cbranch_execz .LBB52_16
; %bb.15:
	s_delay_alu instid0(VALU_DEP_1) | instskip(NEXT) | instid1(VALU_DEP_1)
	v_add_nc_u32_e32 v3, s33, v115
	v_mul_hi_u32 v4, v3, s36
	s_delay_alu instid0(VALU_DEP_1) | instskip(NEXT) | instid1(VALU_DEP_1)
	v_add_nc_u32_e32 v4, v3, v4
	v_lshrrev_b32_e32 v4, s37, v4
	s_delay_alu instid0(VALU_DEP_1) | instskip(NEXT) | instid1(VALU_DEP_1)
	v_mul_lo_u32 v4, v4, s38
	v_sub_nc_u32_e32 v7, v3, v4
	s_delay_alu instid0(VALU_DEP_1) | instskip(NEXT) | instid1(VALU_DEP_1)
	v_mad_u64_u32 v[3:4], null, s6, v7, 0
	v_mad_u64_u32 v[5:6], null, s7, v7, v[4:5]
	v_mul_u32_u24_e32 v7, 40, v115
	s_delay_alu instid0(VALU_DEP_2) | instskip(NEXT) | instid1(VALU_DEP_1)
	v_mov_b32_e32 v4, v5
	v_lshlrev_b64 v[3:4], 2, v[3:4]
	s_delay_alu instid0(VALU_DEP_1) | instskip(NEXT) | instid1(VALU_DEP_2)
	v_add_co_u32 v3, vcc_lo, v1, v3
	v_add_co_ci_u32_e32 v4, vcc_lo, v2, v4, vcc_lo
	global_load_b128 v[3:6], v[3:4], off
	s_waitcnt vmcnt(0)
	v_fma_mixlo_f16 v10, v5, s8, 0
	v_fma_mixlo_f16 v9, v3, s8, 0
	v_add_lshl_u32 v3, v7, v0, 2
	s_delay_alu instid0(VALU_DEP_3) | instskip(NEXT) | instid1(VALU_DEP_3)
	v_fma_mixhi_f16 v10, v6, s8, 0
	v_fma_mixhi_f16 v9, v4, s8, 0
	ds_store_b64 v3, v[9:10]
.LBB52_16:
	s_or_b32 exec_lo, exec_lo, s3
	v_or_b32_e32 v114, 6, v122
	s_abs_i32 s3, s34
	s_add_i32 s35, s35, s4
	s_and_saveexec_b32 s4, s2
	s_cbranch_execz .LBB52_18
; %bb.17:
	v_add_nc_u32_e32 v3, s33, v114
	s_delay_alu instid0(VALU_DEP_1) | instskip(NEXT) | instid1(VALU_DEP_1)
	v_mul_hi_u32 v4, v3, s36
	v_add_nc_u32_e32 v4, v3, v4
	s_delay_alu instid0(VALU_DEP_1) | instskip(NEXT) | instid1(VALU_DEP_1)
	v_lshrrev_b32_e32 v4, s37, v4
	v_mul_lo_u32 v4, v4, s38
	s_delay_alu instid0(VALU_DEP_1) | instskip(NEXT) | instid1(VALU_DEP_1)
	v_sub_nc_u32_e32 v7, v3, v4
	v_mad_u64_u32 v[3:4], null, s6, v7, 0
	s_delay_alu instid0(VALU_DEP_1) | instskip(SKIP_1) | instid1(VALU_DEP_2)
	v_mad_u64_u32 v[5:6], null, s7, v7, v[4:5]
	v_mul_u32_u24_e32 v7, 40, v114
	v_mov_b32_e32 v4, v5
	s_delay_alu instid0(VALU_DEP_1) | instskip(NEXT) | instid1(VALU_DEP_1)
	v_lshlrev_b64 v[3:4], 2, v[3:4]
	v_add_co_u32 v3, vcc_lo, v1, v3
	s_delay_alu instid0(VALU_DEP_2)
	v_add_co_ci_u32_e32 v4, vcc_lo, v2, v4, vcc_lo
	global_load_b128 v[3:6], v[3:4], off
	s_waitcnt vmcnt(0)
	v_fma_mixlo_f16 v10, v5, s8, 0
	v_fma_mixlo_f16 v9, v3, s8, 0
	v_add_lshl_u32 v3, v7, v0, 2
	s_delay_alu instid0(VALU_DEP_3) | instskip(NEXT) | instid1(VALU_DEP_3)
	v_fma_mixhi_f16 v10, v6, s8, 0
	v_fma_mixhi_f16 v9, v4, s8, 0
	ds_store_b64 v3, v[9:10]
.LBB52_18:
	s_or_b32 exec_lo, exec_lo, s4
	v_or_b32_e32 v113, 7, v122
	s_mul_hi_u32 s15, s3, s35
	s_and_saveexec_b32 s4, s2
	s_cbranch_execz .LBB52_20
; %bb.19:
	s_delay_alu instid0(VALU_DEP_1) | instskip(NEXT) | instid1(VALU_DEP_1)
	v_add_nc_u32_e32 v3, s33, v113
	v_mul_hi_u32 v4, v3, s36
	s_delay_alu instid0(VALU_DEP_1) | instskip(NEXT) | instid1(VALU_DEP_1)
	v_add_nc_u32_e32 v4, v3, v4
	v_lshrrev_b32_e32 v4, s37, v4
	s_delay_alu instid0(VALU_DEP_1) | instskip(NEXT) | instid1(VALU_DEP_1)
	v_mul_lo_u32 v4, v4, s38
	v_sub_nc_u32_e32 v7, v3, v4
	s_delay_alu instid0(VALU_DEP_1) | instskip(NEXT) | instid1(VALU_DEP_1)
	v_mad_u64_u32 v[3:4], null, s6, v7, 0
	v_mad_u64_u32 v[5:6], null, s7, v7, v[4:5]
	v_mul_u32_u24_e32 v7, 40, v113
	s_delay_alu instid0(VALU_DEP_1) | instskip(NEXT) | instid1(VALU_DEP_3)
	v_add_lshl_u32 v0, v7, v0, 2
	v_mov_b32_e32 v4, v5
	s_delay_alu instid0(VALU_DEP_1) | instskip(NEXT) | instid1(VALU_DEP_1)
	v_lshlrev_b64 v[3:4], 2, v[3:4]
	v_add_co_u32 v1, vcc_lo, v1, v3
	s_delay_alu instid0(VALU_DEP_2) | instskip(SKIP_4) | instid1(VALU_DEP_2)
	v_add_co_ci_u32_e32 v2, vcc_lo, v2, v4, vcc_lo
	global_load_b128 v[1:4], v[1:2], off
	s_waitcnt vmcnt(0)
	v_fma_mixlo_f16 v6, v3, s8, 0
	v_fma_mixlo_f16 v5, v1, s8, 0
	v_fma_mixhi_f16 v6, v4, s8, 0
	s_delay_alu instid0(VALU_DEP_2)
	v_fma_mixhi_f16 v5, v2, s8, 0
	ds_store_b64 v0, v[5:6]
.LBB52_20:
	s_or_b32 exec_lo, exec_lo, s4
	s_ashr_i32 s35, s34, 31
	s_ashr_i32 s16, s43, 31
	s_cmp_eq_u64 s[26:27], 0
	s_waitcnt lgkmcnt(0)
	s_barrier
	buffer_gl0_inv
	s_cbranch_scc1 .LBB52_22
; %bb.21:
	s_load_b32 s4, s[0:1], 0xd0
	s_mov_b32 s7, 0
	s_waitcnt lgkmcnt(0)
	s_mul_i32 s4, s4, s46
	s_delay_alu instid0(SALU_CYCLE_1) | instskip(NEXT) | instid1(SALU_CYCLE_1)
	s_add_i32 s6, s4, s13
	s_lshl_b64 s[6:7], s[6:7], 2
	s_delay_alu instid0(SALU_CYCLE_1)
	s_add_u32 s6, s26, s6
	s_addc_u32 s7, s27, s7
	s_load_b32 s42, s[6:7], 0x0
.LBB52_22:
	s_clause 0x1
	s_load_b64 s[22:23], s[0:1], 0x8c
	s_load_b128 s[8:11], s[0:1], 0x98
	s_ashr_i32 s13, s46, 31
	s_load_b64 s[26:27], s[0:1], 0xa8
	s_ashr_i32 s50, s5, 1
	s_mul_i32 s17, s15, s12
	v_dual_mov_b32 v151, 0 :: v_dual_lshlrev_b32 v104, 2, v119
	v_mov_b32_e32 v142, 0
	v_lshl_add_u32 v161, v139, 5, v119
	v_lshrrev_b32_e32 v160, 2, v119
	s_delay_alu instid0(VALU_DEP_4)
	v_and_b32_e32 v159, 12, v104
	v_mul_u32_u24_e32 v150, 0x60, v119
	v_mul_u32_u24_e32 v149, 0x500, v139
	v_lshl_add_u32 v126, v139, 9, 0x2800
	v_lshrrev_b32_e32 v148, 1, v119
	v_lshrrev_b32_e32 v146, 3, v119
	v_lshlrev_b32_e32 v127, 3, v119
	v_and_b32_e32 v147, 4, v104
	v_and_b32_e32 v145, 28, v104
	s_waitcnt lgkmcnt(0)
	s_ashr_i32 s51, s22, 2
	s_ashr_i32 s43, s10, 2
	s_mul_i32 s9, s46, s9
	s_mul_hi_u32 s10, s46, s8
	s_mul_i32 s22, s13, s8
	s_add_i32 s9, s10, s9
	s_mul_i32 s8, s46, s8
	s_add_i32 s9, s9, s22
	s_add_u32 s10, s18, s8
	s_addc_u32 s18, s19, s9
	s_sub_i32 s3, s3, s17
	s_xor_b32 s16, s35, s16
	s_add_i32 s9, s15, 1
	s_sub_i32 s17, s3, s12
	s_cmp_ge_u32 s3, s12
	s_mul_i32 s13, s13, s26
	s_cselect_b32 s15, s9, s15
	s_cselect_b32 s3, s17, s3
	s_add_i32 s17, s15, 1
	s_cmp_ge_u32 s3, s12
	s_mul_i32 s12, s46, s27
	s_cselect_b32 s3, s17, s15
	s_mul_hi_u32 s15, s46, s26
	s_xor_b32 s3, s3, s16
	s_mul_i32 s17, s46, s26
	s_sub_i32 s3, s3, s16
	v_mbcnt_lo_u32_b32 v125, -1, 0
	s_mul_i32 s16, s3, s23
	s_mul_i32 s3, s3, s11
	s_ashr_i32 s19, s16, 31
	s_add_u32 s52, s10, s16
	s_addc_u32 s53, s18, s19
	s_add_i32 s10, s15, s12
	s_mov_b32 s4, 0xfeffffff
	s_add_i32 s10, s10, s13
	s_add_u32 s11, s20, s17
	s_addc_u32 s10, s21, s10
	s_ashr_i32 s12, s3, 31
	s_add_u32 s47, s11, s3
	s_addc_u32 s48, s10, s12
	s_lshl_b32 s49, s14, 5
	s_sub_i32 s54, s42, 32
	s_delay_alu instid0(SALU_CYCLE_1)
	s_cmp_ge_i32 s49, s54
	s_cbranch_scc1 .LBB52_58
; %bb.23:
	v_mul_hi_u32 v1, s36, v123
	v_or_b32_e32 v5, 1, v123
	v_or_b32_e32 v6, 2, v123
	;; [unrolled: 1-line block ×3, first 2 shown]
	v_dual_mov_b32 v124, 0 :: v_dual_add_nc_u32 v3, v122, v160
	s_delay_alu instid0(VALU_DEP_4) | instskip(NEXT) | instid1(VALU_DEP_4)
	v_mul_hi_u32 v9, s36, v5
	v_mul_hi_u32 v13, s36, v6
	v_dual_mov_b32 v128, 0 :: v_dual_add_nc_u32 v1, v123, v1
	v_mul_hi_u32 v14, s36, v7
	s_movk_i32 s4, 0x3840
	v_lshlrev_b32_e32 v4, 2, v159
	s_delay_alu instid0(VALU_DEP_3) | instskip(SKIP_3) | instid1(VALU_DEP_4)
	v_lshrrev_b32_e32 v1, s37, v1
	v_dual_mov_b32 v130, 0 :: v_dual_add_nc_u32 v9, v5, v9
	v_or_b32_e32 v10, 4, v123
	v_mad_u32_u24 v162, 0x60, v161, s4
	v_mul_lo_u32 v12, v1, s38
	v_cmp_gt_u32_e64 s4, 32, v3
	v_mul_lo_u32 v2, s51, v3
	v_mul_u32_u24_e32 v3, 0x60, v3
	v_or_b32_e32 v11, 5, v123
	v_lshrrev_b32_e32 v9, s37, v9
	v_or_b32_e32 v15, 7, v123
	v_mov_b32_e32 v129, 0
	v_sub_nc_u32_e32 v12, v123, v12
	v_add3_u32 v163, v3, v4, 0x3800
	v_add_nc_u32_e32 v4, v6, v13
	v_mul_hi_u32 v13, s36, v10
	v_mul_lo_u32 v9, v9, s38
	v_mul_lo_u32 v164, v12, s50
	v_dual_mov_b32 v131, 0 :: v_dual_add_nc_u32 v12, v7, v14
	v_or_b32_e32 v14, 6, v123
	v_mul_hi_u32 v16, s36, v11
	v_mul_hi_u32 v18, s36, v15
	v_dual_mov_b32 v132, 0 :: v_dual_add_nc_u32 v13, v10, v13
	s_delay_alu instid0(VALU_DEP_4)
	v_mul_hi_u32 v17, s36, v14
	v_lshrrev_b32_e32 v4, s37, v4
	v_lshrrev_b32_e32 v12, s37, v12
	v_sub_nc_u32_e32 v5, v5, v9
	v_dual_mov_b32 v134, 0 :: v_dual_add_nc_u32 v9, v11, v16
	v_lshrrev_b32_e32 v13, s37, v13
	v_mul_lo_u32 v4, v4, s38
	v_dual_mov_b32 v133, 0 :: v_dual_add_nc_u32 v16, v14, v17
	v_dual_mov_b32 v136, 0 :: v_dual_add_nc_u32 v17, v15, v18
	v_mul_lo_u32 v12, v12, s38
	v_lshrrev_b32_e32 v9, s37, v9
	v_mul_lo_u32 v165, v5, s50
	v_mul_lo_u32 v5, v13, s38
	v_lshrrev_b32_e32 v13, s37, v16
	v_lshrrev_b32_e32 v16, s37, v17
	v_mul_lo_u32 v9, v9, s38
	v_sub_nc_u32_e32 v4, v6, v4
	v_sub_nc_u32_e32 v6, v7, v12
	v_mul_lo_u32 v7, v13, s38
	v_mul_lo_u32 v12, v16, s38
	v_sub_nc_u32_e32 v5, v10, v5
	v_mul_lo_u32 v166, v4, s50
	v_mul_lo_u32 v167, v6, s50
	v_sub_nc_u32_e32 v4, v11, v9
	v_lshl_add_u32 v9, v139, 4, v148
	v_lshl_add_u32 v10, v139, 2, v146
	v_mul_lo_u32 v168, v5, s50
	v_sub_nc_u32_e32 v6, v15, v12
	v_sub_nc_u32_e32 v5, v14, v7
	v_mul_u32_u24_e32 v7, 0xa0, v9
	v_mul_lo_u32 v0, s51, v161
	v_mul_lo_u32 v169, v4, s50
	;; [unrolled: 1-line block ×6, first 2 shown]
	v_lshl_or_b32 v5, v147, 2, v7
	v_mul_u32_u24_e32 v7, 0xa0, v10
	v_dual_mov_b32 v138, 0 :: v_dual_lshlrev_b32 v11, 2, v145
	v_ashrrev_i32_e32 v1, 31, v0
	v_ashrrev_i32_e32 v3, 31, v2
	v_dual_mov_b32 v135, 0 :: v_dual_add_nc_u32 v172, 0x3880, v5
	v_ashrrev_i32_e32 v5, 31, v4
	v_add3_u32 v173, v7, v11, 0x3800
	v_ashrrev_i32_e32 v7, 31, v6
	v_lshlrev_b64 v[105:106], 2, v[0:1]
	v_lshlrev_b64 v[107:108], 2, v[2:3]
	v_lshlrev_b64 v[109:110], 2, v[4:5]
	v_cmp_gt_u32_e64 s3, 32, v161
	v_lshlrev_b64 v[111:112], 2, v[6:7]
	s_cmp_lg_u64 s[40:41], 0
	v_cmp_gt_u32_e64 s5, 16, v9
	v_cmp_gt_u32_e64 s6, 16, v10
	v_dual_mov_b32 v9, 0xfeffffff :: v_dual_add_nc_u32 v174, v126, v8
	v_mov_b32_e32 v137, 0
	v_mbcnt_lo_u32_b32 v175, -1, 0
	v_dual_mov_b32 v141, 0 :: v_dual_mov_b32 v140, 0
	v_dual_mov_b32 v143, 0 :: v_dual_mov_b32 v142, 0
	;; [unrolled: 1-line block ×9, first 2 shown]
	v_mov_b32_e32 v176, 0
	s_cselect_b32 s55, -1, 0
	s_add_u32 s26, s0, 0xd0
	s_addc_u32 s27, s1, 0
.LBB52_24:                              ; =>This Inner Loop Header: Depth=1
	s_mul_hi_i32 s9, s49, s51
	s_mul_i32 s8, s49, s51
	s_delay_alu instid0(SALU_CYCLE_1) | instskip(NEXT) | instid1(SALU_CYCLE_1)
	s_lshl_b64 s[8:9], s[8:9], 2
	s_add_u32 s7, s52, s8
	s_addc_u32 s8, s53, s9
	s_and_saveexec_b32 s9, s3
	s_cbranch_execz .LBB52_26
; %bb.25:                               ;   in Loop: Header=BB52_24 Depth=1
	v_add_co_u32 v0, vcc_lo, s7, v105
	v_add_co_ci_u32_e32 v1, vcc_lo, s8, v106, vcc_lo
	global_load_b128 v[0:3], v[0:1], off offset:64
	s_waitcnt vmcnt(0)
	ds_store_b128 v162, v[0:3]
.LBB52_26:                              ;   in Loop: Header=BB52_24 Depth=1
	s_or_b32 exec_lo, exec_lo, s9
	v_lshlrev_b32_e32 v16, 2, v159
	s_and_saveexec_b32 s9, s4
	s_cbranch_execz .LBB52_28
; %bb.27:                               ;   in Loop: Header=BB52_24 Depth=1
	v_add_co_u32 v0, vcc_lo, s7, v107
	v_add_co_ci_u32_e32 v1, vcc_lo, s8, v108, vcc_lo
	s_delay_alu instid0(VALU_DEP_2) | instskip(NEXT) | instid1(VALU_DEP_2)
	v_add_co_u32 v0, vcc_lo, v0, v16
	v_add_co_ci_u32_e32 v1, vcc_lo, 0, v1, vcc_lo
	global_load_b128 v[0:3], v[0:1], off
	s_waitcnt vmcnt(0)
	ds_store_b128 v163, v[0:3]
.LBB52_28:                              ;   in Loop: Header=BB52_24 Depth=1
	s_or_b32 exec_lo, exec_lo, s9
	s_waitcnt lgkmcnt(0)
	s_barrier
	buffer_gl0_inv
	ds_load_b128 v[17:20], v150 offset:14336
	ds_load_b128 v[21:24], v149
	ds_load_b128 v[25:28], v149 offset:160
	ds_load_b128 v[29:32], v149 offset:320
	;; [unrolled: 1-line block ×7, first 2 shown]
	v_dual_mov_b32 v7, 0 :: v_dual_mov_b32 v6, 0
	v_dual_mov_b32 v5, 0 :: v_dual_mov_b32 v4, 0
	;; [unrolled: 1-line block ×4, first 2 shown]
	s_waitcnt lgkmcnt(7)
	;;#ASMSTART
	v_dot2_f32_f16 v7, v17, v21, v7
	;;#ASMEND
	;;#ASMSTART
	v_dot2_f32_f16 v7, v18, v22, v7
	;;#ASMEND
	;;#ASMSTART
	v_dot2_f32_f16 v7, v19, v23, v7
	;;#ASMEND
	;;#ASMSTART
	v_dot2_f32_f16 v7, v20, v24, v7
	;;#ASMEND
	s_waitcnt lgkmcnt(6)
	;;#ASMSTART
	v_dot2_f32_f16 v6, v17, v25, v6
	;;#ASMEND
	;;#ASMSTART
	v_dot2_f32_f16 v6, v18, v26, v6
	;;#ASMEND
	;;#ASMSTART
	v_dot2_f32_f16 v6, v19, v27, v6
	;;#ASMEND
	;;#ASMSTART
	v_dot2_f32_f16 v6, v20, v28, v6
	;;#ASMEND
	;; [unrolled: 13-line block ×8, first 2 shown]
	ds_load_b128 v[17:20], v150 offset:14352
	ds_load_b128 v[21:24], v149 offset:16
	;; [unrolled: 1-line block ×9, first 2 shown]
	s_waitcnt lgkmcnt(7)
	;;#ASMSTART
	v_dot2_f32_f16 v7, v17, v21, v7
	;;#ASMEND
	;;#ASMSTART
	v_dot2_f32_f16 v7, v18, v22, v7
	;;#ASMEND
	;;#ASMSTART
	v_dot2_f32_f16 v7, v19, v23, v7
	;;#ASMEND
	;;#ASMSTART
	v_dot2_f32_f16 v7, v20, v24, v7
	;;#ASMEND
	s_waitcnt lgkmcnt(6)
	;;#ASMSTART
	v_dot2_f32_f16 v6, v17, v25, v6
	;;#ASMEND
	;;#ASMSTART
	v_dot2_f32_f16 v6, v18, v26, v6
	;;#ASMEND
	;;#ASMSTART
	v_dot2_f32_f16 v6, v19, v27, v6
	;;#ASMEND
	;;#ASMSTART
	v_dot2_f32_f16 v6, v20, v28, v6
	;;#ASMEND
	;; [unrolled: 13-line block ×8, first 2 shown]
	ds_load_b128 v[17:20], v150 offset:14368
	ds_load_b128 v[21:24], v149 offset:32
	;; [unrolled: 1-line block ×9, first 2 shown]
	s_waitcnt lgkmcnt(7)
	;;#ASMSTART
	v_dot2_f32_f16 v7, v17, v21, v7
	;;#ASMEND
	;;#ASMSTART
	v_dot2_f32_f16 v7, v18, v22, v7
	;;#ASMEND
	;;#ASMSTART
	v_dot2_f32_f16 v7, v19, v23, v7
	;;#ASMEND
	;;#ASMSTART
	v_dot2_f32_f16 v7, v20, v24, v7
	;;#ASMEND
	s_waitcnt lgkmcnt(6)
	;;#ASMSTART
	v_dot2_f32_f16 v6, v17, v25, v6
	;;#ASMEND
	;;#ASMSTART
	v_dot2_f32_f16 v6, v18, v26, v6
	;;#ASMEND
	;;#ASMSTART
	v_dot2_f32_f16 v6, v19, v27, v6
	;;#ASMEND
	;;#ASMSTART
	v_dot2_f32_f16 v6, v20, v28, v6
	;;#ASMEND
	;; [unrolled: 13-line block ×8, first 2 shown]
	ds_load_b128 v[17:20], v150 offset:14384
	ds_load_b128 v[21:24], v149 offset:48
	;; [unrolled: 1-line block ×9, first 2 shown]
	s_waitcnt lgkmcnt(7)
	;;#ASMSTART
	v_dot2_f32_f16 v7, v17, v21, v7
	;;#ASMEND
	;;#ASMSTART
	v_dot2_f32_f16 v7, v18, v22, v7
	;;#ASMEND
	;;#ASMSTART
	v_dot2_f32_f16 v7, v19, v23, v7
	;;#ASMEND
	;;#ASMSTART
	v_dot2_f32_f16 v7, v20, v24, v7
	;;#ASMEND
	s_waitcnt lgkmcnt(6)
	;;#ASMSTART
	v_dot2_f32_f16 v6, v17, v25, v6
	;;#ASMEND
	;;#ASMSTART
	v_dot2_f32_f16 v6, v18, v26, v6
	;;#ASMEND
	;;#ASMSTART
	v_dot2_f32_f16 v6, v19, v27, v6
	;;#ASMEND
	;;#ASMSTART
	v_dot2_f32_f16 v6, v20, v28, v6
	;;#ASMEND
	;; [unrolled: 13-line block ×8, first 2 shown]
	ds_load_b128 v[17:20], v150 offset:14400
	ds_load_b128 v[21:24], v149 offset:64
	;; [unrolled: 1-line block ×9, first 2 shown]
	s_waitcnt lgkmcnt(7)
	;;#ASMSTART
	v_dot2_f32_f16 v7, v17, v21, v7
	;;#ASMEND
	;;#ASMSTART
	v_dot2_f32_f16 v7, v18, v22, v7
	;;#ASMEND
	;;#ASMSTART
	v_dot2_f32_f16 v7, v19, v23, v7
	;;#ASMEND
	;;#ASMSTART
	v_dot2_f32_f16 v7, v20, v24, v7
	;;#ASMEND
	s_waitcnt lgkmcnt(6)
	;;#ASMSTART
	v_dot2_f32_f16 v6, v17, v25, v6
	;;#ASMEND
	;;#ASMSTART
	v_dot2_f32_f16 v6, v18, v26, v6
	;;#ASMEND
	;;#ASMSTART
	v_dot2_f32_f16 v6, v19, v27, v6
	;;#ASMEND
	;;#ASMSTART
	v_dot2_f32_f16 v6, v20, v28, v6
	;;#ASMEND
	;; [unrolled: 13-line block ×8, first 2 shown]
	s_barrier
	buffer_gl0_inv
	s_and_saveexec_b32 s9, s3
	s_cbranch_execz .LBB52_30
; %bb.29:                               ;   in Loop: Header=BB52_24 Depth=1
	v_add_co_u32 v17, vcc_lo, s7, v105
	v_add_co_ci_u32_e32 v18, vcc_lo, s8, v106, vcc_lo
	global_load_b128 v[17:20], v[17:18], off offset:144
	s_waitcnt vmcnt(0)
	ds_store_b128 v162, v[17:20]
.LBB52_30:                              ;   in Loop: Header=BB52_24 Depth=1
	s_or_b32 exec_lo, exec_lo, s9
	s_and_saveexec_b32 s9, s4
	s_cbranch_execz .LBB52_32
; %bb.31:                               ;   in Loop: Header=BB52_24 Depth=1
	v_add_co_u32 v17, vcc_lo, s7, v107
	v_add_co_ci_u32_e32 v18, vcc_lo, s8, v108, vcc_lo
	s_delay_alu instid0(VALU_DEP_2) | instskip(NEXT) | instid1(VALU_DEP_2)
	v_add_co_u32 v16, vcc_lo, v17, v16
	v_add_co_ci_u32_e32 v17, vcc_lo, 0, v18, vcc_lo
	global_load_b128 v[16:19], v[16:17], off offset:80
	s_waitcnt vmcnt(0)
	ds_store_b128 v163, v[16:19]
.LBB52_32:                              ;   in Loop: Header=BB52_24 Depth=1
	s_or_b32 exec_lo, exec_lo, s9
	s_waitcnt lgkmcnt(0)
	s_barrier
	buffer_gl0_inv
	ds_load_b128 v[16:19], v150 offset:14336
	ds_load_b128 v[20:23], v149 offset:80
	;; [unrolled: 1-line block ×9, first 2 shown]
	s_and_not1_b32 vcc_lo, exec_lo, s55
	s_waitcnt lgkmcnt(7)
	;;#ASMSTART
	v_dot2_f32_f16 v7, v16, v20, v7
	;;#ASMEND
	;;#ASMSTART
	v_dot2_f32_f16 v7, v17, v21, v7
	;;#ASMEND
	;;#ASMSTART
	v_dot2_f32_f16 v7, v18, v22, v7
	;;#ASMEND
	;;#ASMSTART
	v_dot2_f32_f16 v7, v19, v23, v7
	;;#ASMEND
	s_waitcnt lgkmcnt(6)
	;;#ASMSTART
	v_dot2_f32_f16 v6, v16, v24, v6
	;;#ASMEND
	;;#ASMSTART
	v_dot2_f32_f16 v6, v17, v25, v6
	;;#ASMEND
	;;#ASMSTART
	v_dot2_f32_f16 v6, v18, v26, v6
	;;#ASMEND
	;;#ASMSTART
	v_dot2_f32_f16 v6, v19, v27, v6
	;;#ASMEND
	;; [unrolled: 13-line block ×8, first 2 shown]
	ds_load_b128 v[16:19], v150 offset:14352
	ds_load_b128 v[20:23], v149 offset:96
	;; [unrolled: 1-line block ×9, first 2 shown]
	s_waitcnt lgkmcnt(7)
	;;#ASMSTART
	v_dot2_f32_f16 v7, v16, v20, v7
	;;#ASMEND
	;;#ASMSTART
	v_dot2_f32_f16 v7, v17, v21, v7
	;;#ASMEND
	;;#ASMSTART
	v_dot2_f32_f16 v7, v18, v22, v7
	;;#ASMEND
	;;#ASMSTART
	v_dot2_f32_f16 v7, v19, v23, v7
	;;#ASMEND
	s_waitcnt lgkmcnt(6)
	;;#ASMSTART
	v_dot2_f32_f16 v6, v16, v24, v6
	;;#ASMEND
	;;#ASMSTART
	v_dot2_f32_f16 v6, v17, v25, v6
	;;#ASMEND
	;;#ASMSTART
	v_dot2_f32_f16 v6, v18, v26, v6
	;;#ASMEND
	;;#ASMSTART
	v_dot2_f32_f16 v6, v19, v27, v6
	;;#ASMEND
	;; [unrolled: 13-line block ×8, first 2 shown]
	ds_load_b128 v[16:19], v150 offset:14368
	ds_load_b128 v[20:23], v149 offset:112
	;; [unrolled: 1-line block ×9, first 2 shown]
	s_waitcnt lgkmcnt(7)
	;;#ASMSTART
	v_dot2_f32_f16 v7, v16, v20, v7
	;;#ASMEND
	;;#ASMSTART
	v_dot2_f32_f16 v7, v17, v21, v7
	;;#ASMEND
	;;#ASMSTART
	v_dot2_f32_f16 v7, v18, v22, v7
	;;#ASMEND
	;;#ASMSTART
	v_dot2_f32_f16 v7, v19, v23, v7
	;;#ASMEND
	s_waitcnt lgkmcnt(6)
	;;#ASMSTART
	v_dot2_f32_f16 v6, v16, v24, v6
	;;#ASMEND
	;;#ASMSTART
	v_dot2_f32_f16 v6, v17, v25, v6
	;;#ASMEND
	;;#ASMSTART
	v_dot2_f32_f16 v6, v18, v26, v6
	;;#ASMEND
	;;#ASMSTART
	v_dot2_f32_f16 v6, v19, v27, v6
	;;#ASMEND
	;; [unrolled: 13-line block ×8, first 2 shown]
	ds_load_b128 v[16:19], v150 offset:14384
	ds_load_b128 v[20:23], v149 offset:128
	;; [unrolled: 1-line block ×9, first 2 shown]
	s_waitcnt lgkmcnt(7)
	;;#ASMSTART
	v_dot2_f32_f16 v7, v16, v20, v7
	;;#ASMEND
	;;#ASMSTART
	v_dot2_f32_f16 v7, v17, v21, v7
	;;#ASMEND
	;;#ASMSTART
	v_dot2_f32_f16 v7, v18, v22, v7
	;;#ASMEND
	;;#ASMSTART
	v_dot2_f32_f16 v7, v19, v23, v7
	;;#ASMEND
	s_waitcnt lgkmcnt(6)
	;;#ASMSTART
	v_dot2_f32_f16 v6, v16, v24, v6
	;;#ASMEND
	;;#ASMSTART
	v_dot2_f32_f16 v6, v17, v25, v6
	;;#ASMEND
	;;#ASMSTART
	v_dot2_f32_f16 v6, v18, v26, v6
	;;#ASMEND
	;;#ASMSTART
	v_dot2_f32_f16 v6, v19, v27, v6
	;;#ASMEND
	;; [unrolled: 13-line block ×8, first 2 shown]
	ds_load_b128 v[23:26], v150 offset:14400
	ds_load_b128 v[27:30], v149 offset:144
	ds_load_b128 v[31:34], v149 offset:304
	ds_load_b128 v[35:38], v149 offset:464
	ds_load_b128 v[39:42], v149 offset:624
	ds_load_b128 v[43:46], v149 offset:784
	ds_load_b128 v[47:50], v149 offset:944
	ds_load_b128 v[51:54], v149 offset:1104
	ds_load_b128 v[55:58], v149 offset:1264
	s_waitcnt lgkmcnt(7)
	;;#ASMSTART
	v_dot2_f32_f16 v7, v23, v27, v7
	;;#ASMEND
	;;#ASMSTART
	v_dot2_f32_f16 v7, v24, v28, v7
	;;#ASMEND
	;;#ASMSTART
	v_dot2_f32_f16 v7, v25, v29, v7
	;;#ASMEND
	;;#ASMSTART
	v_dot2_f32_f16 v7, v26, v30, v7
	;;#ASMEND
	s_waitcnt lgkmcnt(6)
	;;#ASMSTART
	v_dot2_f32_f16 v6, v23, v31, v6
	;;#ASMEND
	;;#ASMSTART
	v_dot2_f32_f16 v6, v24, v32, v6
	;;#ASMEND
	;;#ASMSTART
	v_dot2_f32_f16 v6, v25, v33, v6
	;;#ASMEND
	;;#ASMSTART
	v_dot2_f32_f16 v6, v26, v34, v6
	;;#ASMEND
	;; [unrolled: 13-line block ×6, first 2 shown]
	s_waitcnt lgkmcnt(1)
	;;#ASMSTART
	v_dot2_f32_f16 v1, v23, v51, v1
	;;#ASMEND
	v_dual_mov_b32 v19, 0 :: v_dual_add_nc_u32 v22, s49, v119
	v_mov_b32_e32 v16, 0
	;;#ASMSTART
	v_dot2_f32_f16 v1, v24, v52, v1
	;;#ASMEND
	;;#ASMSTART
	v_dot2_f32_f16 v1, v25, v53, v1
	;;#ASMEND
	;; [unrolled: 3-line block ×3, first 2 shown]
	s_waitcnt lgkmcnt(0)
	;;#ASMSTART
	v_dot2_f32_f16 v0, v23, v55, v0
	;;#ASMEND
	;;#ASMSTART
	v_dot2_f32_f16 v0, v24, v56, v0
	;;#ASMEND
	;; [unrolled: 3-line block ×4, first 2 shown]
	s_cbranch_vccnz .LBB52_34
; %bb.33:                               ;   in Loop: Header=BB52_24 Depth=1
	v_add_nc_u32_e32 v16, v22, v164
	s_delay_alu instid0(VALU_DEP_1) | instskip(NEXT) | instid1(VALU_DEP_1)
	v_ashrrev_i32_e32 v17, 31, v16
	v_lshlrev_b64 v[16:17], 1, v[16:17]
	s_delay_alu instid0(VALU_DEP_1) | instskip(NEXT) | instid1(VALU_DEP_2)
	v_add_co_u32 v16, vcc_lo, s40, v16
	v_add_co_ci_u32_e32 v17, vcc_lo, s41, v17, vcc_lo
	flat_load_u16 v16, v[16:17]
	s_waitcnt vmcnt(0) lgkmcnt(0)
	v_cvt_f32_f16_e32 v16, v16
	s_delay_alu instid0(VALU_DEP_1)
	v_mul_f32_e32 v16, v144, v16
.LBB52_34:                              ;   in Loop: Header=BB52_24 Depth=1
	v_xor_b32_e32 v18, 16, v175
	s_delay_alu instid0(VALU_DEP_2) | instskip(SKIP_1) | instid1(VALU_DEP_3)
	v_add_f32_e32 v17, v7, v16
	v_xor_b32_e32 v20, 2, v175
	v_cmp_gt_i32_e32 vcc_lo, 32, v18
	v_dual_max_f32 v7, v9, v9 :: v_dual_cndmask_b32 v16, v175, v18
	s_delay_alu instid0(VALU_DEP_4) | instskip(NEXT) | instid1(VALU_DEP_1)
	v_add_f32_e32 v18, 0x40051340, v17
	v_dual_max_f32 v7, v7, v18 :: v_dual_lshlrev_b32 v26, 2, v16
	v_xor_b32_e32 v18, 8, v175
	ds_bpermute_b32 v16, v26, v7
	v_cmp_gt_i32_e32 vcc_lo, 32, v18
	v_cndmask_b32_e32 v18, v175, v18, vcc_lo
	s_delay_alu instid0(VALU_DEP_1) | instskip(SKIP_1) | instid1(VALU_DEP_1)
	v_lshlrev_b32_e32 v25, 2, v18
	v_xor_b32_e32 v18, 4, v175
	v_cmp_gt_i32_e32 vcc_lo, 32, v18
	s_waitcnt lgkmcnt(0)
	v_max_f32_e32 v16, v16, v16
	v_cndmask_b32_e32 v18, v175, v18, vcc_lo
	v_cmp_gt_i32_e32 vcc_lo, 32, v20
	s_delay_alu instid0(VALU_DEP_2) | instskip(SKIP_4) | instid1(VALU_DEP_1)
	v_dual_max_f32 v7, v7, v16 :: v_dual_lshlrev_b32 v18, 2, v18
	v_cndmask_b32_e32 v20, v175, v20, vcc_lo
	ds_bpermute_b32 v16, v25, v7
	s_waitcnt lgkmcnt(0)
	v_max_f32_e32 v16, v16, v16
	v_max_f32_e32 v7, v7, v16
	ds_bpermute_b32 v16, v18, v7
	s_waitcnt lgkmcnt(0)
	v_max_f32_e32 v21, v16, v16
	v_lshlrev_b32_e32 v16, 2, v20
	s_delay_alu instid0(VALU_DEP_2)
	v_max_f32_e32 v20, v7, v21
	v_xor_b32_e32 v21, 1, v175
	ds_bpermute_b32 v7, v16, v20
	v_cmp_gt_i32_e32 vcc_lo, 32, v21
	v_cndmask_b32_e32 v21, v175, v21, vcc_lo
	s_and_not1_b32 vcc_lo, exec_lo, s55
	s_waitcnt lgkmcnt(0)
	v_max_f32_e32 v23, v7, v7
	s_delay_alu instid0(VALU_DEP_2) | instskip(NEXT) | instid1(VALU_DEP_2)
	v_lshlrev_b32_e32 v7, 2, v21
	v_max_f32_e32 v27, v20, v23
	ds_bpermute_b32 v28, v7, v27
	s_cbranch_vccnz .LBB52_36
; %bb.35:                               ;   in Loop: Header=BB52_24 Depth=1
	v_add_nc_u32_e32 v19, v22, v165
	s_delay_alu instid0(VALU_DEP_1) | instskip(NEXT) | instid1(VALU_DEP_1)
	v_ashrrev_i32_e32 v20, 31, v19
	v_lshlrev_b64 v[19:20], 1, v[19:20]
	s_delay_alu instid0(VALU_DEP_1) | instskip(NEXT) | instid1(VALU_DEP_2)
	v_add_co_u32 v19, vcc_lo, s40, v19
	v_add_co_ci_u32_e32 v20, vcc_lo, s41, v20, vcc_lo
	flat_load_u16 v19, v[19:20]
	s_waitcnt vmcnt(0) lgkmcnt(0)
	v_cvt_f32_f16_e32 v19, v19
	s_delay_alu instid0(VALU_DEP_1)
	v_mul_f32_e32 v19, v144, v19
.LBB52_36:                              ;   in Loop: Header=BB52_24 Depth=1
	v_max_f32_e32 v20, v15, v15
	s_delay_alu instid0(VALU_DEP_2) | instskip(SKIP_1) | instid1(VALU_DEP_1)
	v_add_f32_e32 v19, v6, v19
	s_and_not1_b32 vcc_lo, exec_lo, s55
	v_dual_mov_b32 v21, 0 :: v_dual_add_f32 v6, 0x40051340, v19
	s_delay_alu instid0(VALU_DEP_1) | instskip(SKIP_3) | instid1(VALU_DEP_1)
	v_max_f32_e32 v6, v20, v6
	ds_bpermute_b32 v20, v26, v6
	s_waitcnt lgkmcnt(0)
	v_max_f32_e32 v20, v20, v20
	v_max_f32_e32 v6, v6, v20
	ds_bpermute_b32 v20, v25, v6
	s_waitcnt lgkmcnt(0)
	v_max_f32_e32 v20, v20, v20
	s_delay_alu instid0(VALU_DEP_1) | instskip(SKIP_3) | instid1(VALU_DEP_1)
	v_max_f32_e32 v6, v6, v20
	ds_bpermute_b32 v20, v18, v6
	s_waitcnt lgkmcnt(0)
	v_max_f32_e32 v20, v20, v20
	v_max_f32_e32 v6, v6, v20
	ds_bpermute_b32 v20, v16, v6
	s_waitcnt lgkmcnt(0)
	v_max_f32_e32 v20, v20, v20
	s_delay_alu instid0(VALU_DEP_1)
	v_max_f32_e32 v6, v6, v20
	v_mov_b32_e32 v20, 0
	ds_bpermute_b32 v30, v7, v6
	s_cbranch_vccnz .LBB52_38
; %bb.37:                               ;   in Loop: Header=BB52_24 Depth=1
	v_add_nc_u32_e32 v23, v22, v166
	s_delay_alu instid0(VALU_DEP_1) | instskip(NEXT) | instid1(VALU_DEP_1)
	v_ashrrev_i32_e32 v24, 31, v23
	v_lshlrev_b64 v[23:24], 1, v[23:24]
	s_delay_alu instid0(VALU_DEP_1) | instskip(NEXT) | instid1(VALU_DEP_2)
	v_add_co_u32 v23, vcc_lo, s40, v23
	v_add_co_ci_u32_e32 v24, vcc_lo, s41, v24, vcc_lo
	flat_load_u16 v20, v[23:24]
	s_waitcnt vmcnt(0) lgkmcnt(0)
	v_cvt_f32_f16_e32 v20, v20
	s_delay_alu instid0(VALU_DEP_1)
	v_mul_f32_e32 v20, v144, v20
.LBB52_38:                              ;   in Loop: Header=BB52_24 Depth=1
	v_max_f32_e32 v23, v13, v13
	s_delay_alu instid0(VALU_DEP_2) | instskip(SKIP_1) | instid1(VALU_DEP_1)
	v_add_f32_e32 v20, v5, v20
	s_and_not1_b32 vcc_lo, exec_lo, s55
	v_add_f32_e32 v5, 0x40051340, v20
	s_delay_alu instid0(VALU_DEP_1) | instskip(SKIP_3) | instid1(VALU_DEP_1)
	v_max_f32_e32 v5, v23, v5
	ds_bpermute_b32 v23, v26, v5
	s_waitcnt lgkmcnt(0)
	v_max_f32_e32 v23, v23, v23
	v_max_f32_e32 v5, v5, v23
	ds_bpermute_b32 v23, v25, v5
	s_waitcnt lgkmcnt(0)
	v_max_f32_e32 v23, v23, v23
	s_delay_alu instid0(VALU_DEP_1) | instskip(SKIP_3) | instid1(VALU_DEP_1)
	v_max_f32_e32 v5, v5, v23
	ds_bpermute_b32 v23, v18, v5
	s_waitcnt lgkmcnt(0)
	v_max_f32_e32 v23, v23, v23
	v_max_f32_e32 v5, v5, v23
	ds_bpermute_b32 v23, v16, v5
	s_waitcnt lgkmcnt(0)
	v_max_f32_e32 v23, v23, v23
	s_delay_alu instid0(VALU_DEP_1)
	v_max_f32_e32 v5, v5, v23
	ds_bpermute_b32 v31, v7, v5
	s_cbranch_vccnz .LBB52_40
; %bb.39:                               ;   in Loop: Header=BB52_24 Depth=1
	v_add_nc_u32_e32 v23, v22, v167
	s_delay_alu instid0(VALU_DEP_1) | instskip(NEXT) | instid1(VALU_DEP_1)
	v_ashrrev_i32_e32 v24, 31, v23
	v_lshlrev_b64 v[23:24], 1, v[23:24]
	s_delay_alu instid0(VALU_DEP_1) | instskip(NEXT) | instid1(VALU_DEP_2)
	v_add_co_u32 v23, vcc_lo, s40, v23
	v_add_co_ci_u32_e32 v24, vcc_lo, s41, v24, vcc_lo
	flat_load_u16 v21, v[23:24]
	s_waitcnt vmcnt(0) lgkmcnt(0)
	v_cvt_f32_f16_e32 v21, v21
	s_delay_alu instid0(VALU_DEP_1)
	v_mul_f32_e32 v21, v144, v21
.LBB52_40:                              ;   in Loop: Header=BB52_24 Depth=1
	v_dual_max_f32 v23, v14, v14 :: v_dual_mov_b32 v24, 0
	s_delay_alu instid0(VALU_DEP_2) | instskip(SKIP_1) | instid1(VALU_DEP_1)
	v_add_f32_e32 v21, v4, v21
	s_and_not1_b32 vcc_lo, exec_lo, s55
	v_add_f32_e32 v4, 0x40051340, v21
	s_delay_alu instid0(VALU_DEP_1) | instskip(SKIP_3) | instid1(VALU_DEP_1)
	v_max_f32_e32 v4, v23, v4
	ds_bpermute_b32 v23, v26, v4
	s_waitcnt lgkmcnt(0)
	v_max_f32_e32 v23, v23, v23
	v_max_f32_e32 v4, v4, v23
	ds_bpermute_b32 v23, v25, v4
	s_waitcnt lgkmcnt(0)
	v_max_f32_e32 v23, v23, v23
	s_delay_alu instid0(VALU_DEP_1) | instskip(SKIP_3) | instid1(VALU_DEP_1)
	v_max_f32_e32 v4, v4, v23
	ds_bpermute_b32 v23, v18, v4
	s_waitcnt lgkmcnt(0)
	v_max_f32_e32 v23, v23, v23
	v_max_f32_e32 v4, v4, v23
	ds_bpermute_b32 v23, v16, v4
	s_waitcnt lgkmcnt(0)
	v_max_f32_e32 v23, v23, v23
	s_delay_alu instid0(VALU_DEP_1)
	v_dual_max_f32 v4, v4, v23 :: v_dual_mov_b32 v23, 0
	ds_bpermute_b32 v32, v7, v4
	s_cbranch_vccnz .LBB52_42
; %bb.41:                               ;   in Loop: Header=BB52_24 Depth=1
	v_add_nc_u32_e32 v33, v22, v168
	s_delay_alu instid0(VALU_DEP_1) | instskip(NEXT) | instid1(VALU_DEP_1)
	v_ashrrev_i32_e32 v34, 31, v33
	v_lshlrev_b64 v[33:34], 1, v[33:34]
	s_delay_alu instid0(VALU_DEP_1) | instskip(NEXT) | instid1(VALU_DEP_2)
	v_add_co_u32 v33, vcc_lo, s40, v33
	v_add_co_ci_u32_e32 v34, vcc_lo, s41, v34, vcc_lo
	flat_load_u16 v23, v[33:34]
	s_waitcnt vmcnt(0) lgkmcnt(0)
	v_cvt_f32_f16_e32 v23, v23
	s_delay_alu instid0(VALU_DEP_1)
	v_mul_f32_e32 v23, v144, v23
.LBB52_42:                              ;   in Loop: Header=BB52_24 Depth=1
	s_delay_alu instid0(VALU_DEP_1) | instskip(SKIP_2) | instid1(VALU_DEP_2)
	v_add_f32_e32 v23, v3, v23
	v_max_f32_e32 v29, v10, v10
	s_and_not1_b32 vcc_lo, exec_lo, s55
	v_add_f32_e32 v3, 0x40051340, v23
	s_delay_alu instid0(VALU_DEP_1) | instskip(SKIP_3) | instid1(VALU_DEP_1)
	v_max_f32_e32 v3, v29, v3
	ds_bpermute_b32 v29, v26, v3
	s_waitcnt lgkmcnt(0)
	v_max_f32_e32 v29, v29, v29
	v_max_f32_e32 v3, v3, v29
	ds_bpermute_b32 v29, v25, v3
	s_waitcnt lgkmcnt(0)
	v_max_f32_e32 v29, v29, v29
	s_delay_alu instid0(VALU_DEP_1) | instskip(SKIP_3) | instid1(VALU_DEP_1)
	v_max_f32_e32 v3, v3, v29
	ds_bpermute_b32 v29, v18, v3
	s_waitcnt lgkmcnt(0)
	v_max_f32_e32 v29, v29, v29
	v_max_f32_e32 v3, v3, v29
	ds_bpermute_b32 v29, v16, v3
	s_waitcnt lgkmcnt(0)
	v_max_f32_e32 v29, v29, v29
	s_delay_alu instid0(VALU_DEP_1)
	v_max_f32_e32 v3, v3, v29
	ds_bpermute_b32 v33, v7, v3
	s_cbranch_vccnz .LBB52_44
; %bb.43:                               ;   in Loop: Header=BB52_24 Depth=1
	v_add_nc_u32_e32 v34, v22, v169
	s_delay_alu instid0(VALU_DEP_1) | instskip(NEXT) | instid1(VALU_DEP_1)
	v_ashrrev_i32_e32 v35, 31, v34
	v_lshlrev_b64 v[34:35], 1, v[34:35]
	s_delay_alu instid0(VALU_DEP_1) | instskip(NEXT) | instid1(VALU_DEP_2)
	v_add_co_u32 v34, vcc_lo, s40, v34
	v_add_co_ci_u32_e32 v35, vcc_lo, s41, v35, vcc_lo
	flat_load_u16 v24, v[34:35]
	s_waitcnt vmcnt(0) lgkmcnt(0)
	v_cvt_f32_f16_e32 v24, v24
	s_delay_alu instid0(VALU_DEP_1)
	v_mul_f32_e32 v24, v144, v24
.LBB52_44:                              ;   in Loop: Header=BB52_24 Depth=1
	s_delay_alu instid0(VALU_DEP_1) | instskip(SKIP_1) | instid1(VALU_DEP_1)
	v_dual_add_f32 v24, v2, v24 :: v_dual_max_f32 v29, v11, v11
	s_and_not1_b32 vcc_lo, exec_lo, s55
	v_dual_mov_b32 v35, 0 :: v_dual_add_f32 v2, 0x40051340, v24
	s_delay_alu instid0(VALU_DEP_1) | instskip(SKIP_3) | instid1(VALU_DEP_1)
	v_max_f32_e32 v2, v29, v2
	ds_bpermute_b32 v29, v26, v2
	s_waitcnt lgkmcnt(0)
	v_max_f32_e32 v29, v29, v29
	v_max_f32_e32 v2, v2, v29
	ds_bpermute_b32 v29, v25, v2
	s_waitcnt lgkmcnt(0)
	v_max_f32_e32 v29, v29, v29
	s_delay_alu instid0(VALU_DEP_1) | instskip(SKIP_3) | instid1(VALU_DEP_1)
	v_max_f32_e32 v2, v2, v29
	ds_bpermute_b32 v29, v18, v2
	s_waitcnt lgkmcnt(0)
	v_max_f32_e32 v29, v29, v29
	v_max_f32_e32 v2, v2, v29
	ds_bpermute_b32 v29, v16, v2
	s_waitcnt lgkmcnt(0)
	v_max_f32_e32 v29, v29, v29
	s_delay_alu instid0(VALU_DEP_1)
	v_dual_max_f32 v2, v2, v29 :: v_dual_mov_b32 v29, 0
	ds_bpermute_b32 v34, v7, v2
	s_cbranch_vccnz .LBB52_46
; %bb.45:                               ;   in Loop: Header=BB52_24 Depth=1
	v_add_nc_u32_e32 v36, v22, v170
	s_delay_alu instid0(VALU_DEP_1) | instskip(NEXT) | instid1(VALU_DEP_1)
	v_ashrrev_i32_e32 v37, 31, v36
	v_lshlrev_b64 v[36:37], 1, v[36:37]
	s_delay_alu instid0(VALU_DEP_1) | instskip(NEXT) | instid1(VALU_DEP_2)
	v_add_co_u32 v36, vcc_lo, s40, v36
	v_add_co_ci_u32_e32 v37, vcc_lo, s41, v37, vcc_lo
	flat_load_u16 v29, v[36:37]
	s_waitcnt vmcnt(0) lgkmcnt(0)
	v_cvt_f32_f16_e32 v29, v29
	s_delay_alu instid0(VALU_DEP_1)
	v_mul_f32_e32 v29, v144, v29
.LBB52_46:                              ;   in Loop: Header=BB52_24 Depth=1
	s_delay_alu instid0(VALU_DEP_1) | instskip(SKIP_1) | instid1(VALU_DEP_1)
	v_dual_add_f32 v29, v1, v29 :: v_dual_max_f32 v36, v12, v12
	s_and_not1_b32 vcc_lo, exec_lo, s55
	v_add_f32_e32 v1, 0x40051340, v29
	s_delay_alu instid0(VALU_DEP_1) | instskip(SKIP_3) | instid1(VALU_DEP_1)
	v_max_f32_e32 v1, v36, v1
	ds_bpermute_b32 v36, v26, v1
	s_waitcnt lgkmcnt(0)
	v_max_f32_e32 v36, v36, v36
	v_max_f32_e32 v1, v1, v36
	ds_bpermute_b32 v36, v25, v1
	s_waitcnt lgkmcnt(0)
	v_max_f32_e32 v36, v36, v36
	s_delay_alu instid0(VALU_DEP_1) | instskip(SKIP_3) | instid1(VALU_DEP_1)
	v_max_f32_e32 v1, v1, v36
	ds_bpermute_b32 v36, v18, v1
	s_waitcnt lgkmcnt(0)
	v_max_f32_e32 v36, v36, v36
	v_max_f32_e32 v1, v1, v36
	ds_bpermute_b32 v36, v16, v1
	s_waitcnt lgkmcnt(0)
	v_max_f32_e32 v36, v36, v36
	s_delay_alu instid0(VALU_DEP_1)
	v_max_f32_e32 v1, v1, v36
	ds_bpermute_b32 v36, v7, v1
	s_cbranch_vccnz .LBB52_48
; %bb.47:                               ;   in Loop: Header=BB52_24 Depth=1
	v_add_nc_u32_e32 v37, v22, v171
	s_delay_alu instid0(VALU_DEP_1) | instskip(NEXT) | instid1(VALU_DEP_1)
	v_ashrrev_i32_e32 v38, 31, v37
	v_lshlrev_b64 v[37:38], 1, v[37:38]
	s_delay_alu instid0(VALU_DEP_1) | instskip(NEXT) | instid1(VALU_DEP_2)
	v_add_co_u32 v37, vcc_lo, s40, v37
	v_add_co_ci_u32_e32 v38, vcc_lo, s41, v38, vcc_lo
	flat_load_u16 v22, v[37:38]
	s_waitcnt vmcnt(0) lgkmcnt(0)
	v_cvt_f32_f16_e32 v22, v22
	s_delay_alu instid0(VALU_DEP_1)
	v_mul_f32_e32 v35, v144, v22
.LBB52_48:                              ;   in Loop: Header=BB52_24 Depth=1
	s_delay_alu instid0(VALU_DEP_1) | instskip(SKIP_2) | instid1(VALU_DEP_3)
	v_dual_add_f32 v22, v0, v35 :: v_dual_max_f32 v1, v1, v1
	v_max_f32_e32 v0, v8, v8
	v_dual_max_f32 v32, v32, v32 :: v_dual_max_f32 v37, v6, v6
	v_add_f32_e32 v35, 0x40051340, v22
	v_dual_max_f32 v2, v2, v2 :: v_dual_max_f32 v27, v27, v27
	s_mul_hi_i32 s45, s49, s43
	s_mul_i32 s44, s49, s43
	s_delay_alu instid0(VALU_DEP_2)
	v_dual_max_f32 v0, v0, v35 :: v_dual_max_f32 v33, v33, v33
	s_lshl_b64 s[44:45], s[44:45], 2
	v_lshlrev_b32_e32 v196, 2, v147
	s_add_u32 s44, s47, s44
	ds_bpermute_b32 v26, v26, v0
	s_addc_u32 s45, s48, s45
	s_waitcnt lgkmcnt(0)
	s_barrier
	buffer_gl0_inv
	v_max_f32_e32 v35, v36, v36
	v_max_f32_e32 v3, v3, v3
	v_dual_max_f32 v31, v31, v31 :: v_dual_max_f32 v26, v26, v26
	s_delay_alu instid0(VALU_DEP_1)
	v_max_f32_e32 v26, v0, v26
	v_max_f32_e32 v0, v34, v34
	;; [unrolled: 1-line block ×3, first 2 shown]
	ds_bpermute_b32 v25, v25, v26
	v_max_f32_e32 v5, v2, v0
	s_waitcnt lgkmcnt(0)
	v_dual_max_f32 v30, v30, v30 :: v_dual_max_f32 v25, v25, v25
	v_max_f32_e32 v34, v4, v4
	v_max_f32_e32 v6, v1, v35
	s_delay_alu instid0(VALU_DEP_3) | instskip(NEXT) | instid1(VALU_DEP_1)
	v_dual_max_f32 v1, v37, v30 :: v_dual_max_f32 v28, v28, v28
	v_sub_f32_e32 v191, v15, v1
	s_delay_alu instid0(VALU_DEP_2) | instskip(SKIP_3) | instid1(VALU_DEP_4)
	v_max_f32_e32 v0, v27, v28
	v_max_f32_e32 v4, v3, v33
	v_dual_max_f32 v2, v36, v31 :: v_dual_max_f32 v3, v34, v32
	v_dual_sub_f32 v188, v11, v5 :: v_dual_sub_f32 v187, v12, v6
	v_sub_f32_e32 v193, v9, v0
	v_sub_f32_e32 v9, v17, v0
	v_max_f32_e32 v17, v26, v25
	v_dual_sub_f32 v15, v19, v1 :: v_dual_sub_f32 v192, v13, v2
	s_delay_alu instid0(VALU_DEP_3)
	v_dual_sub_f32 v12, v29, v6 :: v_dual_mul_f32 v19, 0x3fb8aa3b, v9
	ds_bpermute_b32 v18, v18, v17
	v_sub_f32_e32 v13, v20, v2
	v_sub_f32_e32 v189, v14, v3
	;; [unrolled: 1-line block ×3, first 2 shown]
	v_fma_f32 v26, 0x3fb8aa3b, v9, -v19
	v_dual_sub_f32 v190, v10, v4 :: v_dual_sub_f32 v11, v24, v5
	v_sub_f32_e32 v10, v23, v4
	v_dual_mul_f32 v20, 0x3fb8aa3b, v15 :: v_dual_mul_f32 v21, 0x3fb8aa3b, v13
	v_mul_f32_e32 v23, 0x3fb8aa3b, v14
	v_rndne_f32_e32 v27, v19
	s_delay_alu instid0(VALU_DEP_4) | instskip(NEXT) | instid1(VALU_DEP_4)
	v_dual_mul_f32 v24, 0x3fb8aa3b, v10 :: v_dual_mul_f32 v25, 0x3fb8aa3b, v12
	v_fma_f32 v28, 0x3fb8aa3b, v15, -v20
	v_rndne_f32_e32 v29, v20
	s_delay_alu instid0(VALU_DEP_4)
	v_sub_f32_e32 v19, v19, v27
	v_fma_f32 v30, 0x3fb8aa3b, v13, -v21
	v_fmac_f32_e32 v26, 0x32a5705f, v9
	v_rndne_f32_e32 v39, v25
	s_waitcnt lgkmcnt(0)
	v_max_f32_e32 v18, v18, v18
	v_fma_f32 v38, 0x3fb8aa3b, v12, -v25
	v_rndne_f32_e32 v31, v21
	v_fma_f32 v34, 0x3fb8aa3b, v10, -v24
	v_rndne_f32_e32 v35, v24
	v_dual_max_f32 v17, v17, v18 :: v_dual_mul_f32 v18, 0x3fb8aa3b, v11
	v_fma_f32 v32, 0x3fb8aa3b, v14, -v23
	v_rndne_f32_e32 v33, v23
	v_fmac_f32_e32 v28, 0x32a5705f, v15
	ds_bpermute_b32 v16, v16, v17
	v_dual_sub_f32 v20, v20, v29 :: v_dual_sub_f32 v21, v21, v31
	v_dual_fmac_f32 v30, 0x32a5705f, v13 :: v_dual_add_f32 v19, v19, v26
	v_sub_f32_e32 v24, v24, v35
	v_fma_f32 v36, 0x3fb8aa3b, v11, -v18
	v_cvt_i32_f32_e32 v27, v27
	s_delay_alu instid0(VALU_DEP_4)
	v_add_f32_e32 v21, v21, v30
	v_exp_f32_e32 v19, v19
	v_cvt_i32_f32_e32 v29, v29
	v_cvt_i32_f32_e32 v31, v31
	v_rndne_f32_e32 v37, v18
	v_sub_f32_e32 v25, v25, v39
	v_exp_f32_e32 v21, v21
	v_cvt_i32_f32_e32 v26, v39
	v_cmp_ngt_f32_e64 s21, 0xc2ce8ed0, v9
	v_cmp_ngt_f32_e64 s10, 0xc2ce8ed0, v193
	v_cmp_nlt_f32_e32 vcc_lo, 0x42b17218, v193
	v_ldexp_f32 v19, v19, v27
	s_waitcnt lgkmcnt(0)
	v_max_f32_e32 v16, v16, v16
	v_cmp_ngt_f32_e64 s11, 0xc2ce8ed0, v191
	v_cmp_nlt_f32_e64 s7, 0x42b17218, v191
	v_cmp_ngt_f32_e64 s13, 0xc2ce8ed0, v192
	v_cndmask_b32_e64 v19, 0, v19, s21
	v_dual_max_f32 v16, v17, v16 :: v_dual_sub_f32 v17, v23, v33
	v_add_f32_e32 v20, v20, v28
	v_cvt_i32_f32_e32 v23, v33
	v_cvt_i32_f32_e32 v33, v35
	ds_bpermute_b32 v7, v7, v16
	v_cmp_ngt_f32_e64 s21, 0xc2ce8ed0, v15
	v_exp_f32_e32 v20, v20
	v_cvt_i32_f32_e32 v35, v37
	v_cmp_nlt_f32_e64 s8, 0x42b17218, v192
	v_cmp_ngt_f32_e64 s16, 0xc2ce8ed0, v189
	v_cmp_nlt_f32_e64 s9, 0x42b17218, v189
	v_cmp_ngt_f32_e64 s18, 0xc2ce8ed0, v190
	;; [unrolled: 2-line block ×4, first 2 shown]
	v_cmp_nlt_f32_e64 s17, 0x42b17218, v187
	s_waitcnt lgkmcnt(0)
	v_dual_max_f32 v7, v7, v7 :: v_dual_fmac_f32 v32, 0x32a5705f, v14
	s_delay_alu instid0(VALU_DEP_1) | instskip(NEXT) | instid1(VALU_DEP_2)
	v_dual_max_f32 v7, v16, v7 :: v_dual_fmac_f32 v34, 0x32a5705f, v10
	v_add_f32_e32 v17, v17, v32
	v_fmac_f32_e32 v38, 0x32a5705f, v12
	v_ldexp_f32 v16, v20, v29
	s_delay_alu instid0(VALU_DEP_4) | instskip(SKIP_1) | instid1(VALU_DEP_4)
	v_sub_f32_e32 v195, v8, v7
	v_add_f32_e32 v24, v24, v34
	v_dual_fmac_f32 v36, 0x32a5705f, v11 :: v_dual_add_f32 v25, v25, v38
	v_exp_f32_e32 v17, v17
	v_sub_f32_e32 v22, v22, v7
	s_delay_alu instid0(VALU_DEP_3)
	v_exp_f32_e32 v24, v24
	v_ldexp_f32 v20, v21, v31
	v_exp_f32_e32 v25, v25
	v_cndmask_b32_e64 v16, 0, v16, s21
	v_cmp_ngt_f32_e64 s21, 0xc2ce8ed0, v13
	v_cmp_ngt_f32_e64 s22, 0xc2ce8ed0, v195
	s_delay_alu instid0(TRANS32_DEP_3) | instskip(NEXT) | instid1(VALU_DEP_3)
	v_ldexp_f32 v17, v17, v23
	v_cndmask_b32_e64 v20, 0, v20, s21
	s_delay_alu instid0(TRANS32_DEP_2) | instskip(SKIP_1) | instid1(TRANS32_DEP_1)
	v_ldexp_f32 v21, v24, v33
	v_mul_f32_e32 v24, 0x3fb8aa3b, v22
	v_ldexp_f32 v23, v25, v26
	v_cmp_ngt_f32_e64 s21, 0xc2ce8ed0, v14
	s_delay_alu instid0(VALU_DEP_3) | instskip(SKIP_1) | instid1(VALU_DEP_3)
	v_fma_f32 v25, 0x3fb8aa3b, v22, -v24
	v_sub_f32_e32 v18, v18, v37
	v_cndmask_b32_e64 v17, 0, v17, s21
	v_cmp_ngt_f32_e64 s21, 0xc2ce8ed0, v10
	v_rndne_f32_e32 v26, v24
	s_delay_alu instid0(VALU_DEP_4) | instskip(NEXT) | instid1(VALU_DEP_3)
	v_dual_fmac_f32 v25, 0x32a5705f, v22 :: v_dual_add_f32 v18, v18, v36
	v_cndmask_b32_e64 v21, 0, v21, s21
	v_cmp_ngt_f32_e64 s21, 0xc2ce8ed0, v11
	s_delay_alu instid0(VALU_DEP_4) | instskip(NEXT) | instid1(VALU_DEP_4)
	v_sub_f32_e32 v24, v24, v26
	v_exp_f32_e32 v18, v18
	s_delay_alu instid0(VALU_DEP_1) | instskip(SKIP_2) | instid1(VALU_DEP_1)
	v_add_f32_e32 v24, v24, v25
	s_waitcnt_depctr 0xfff
	v_ldexp_f32 v18, v18, v35
	v_cndmask_b32_e64 v18, 0, v18, s21
	v_cmp_ngt_f32_e64 s21, 0xc2ce8ed0, v12
	s_delay_alu instid0(VALU_DEP_1) | instskip(SKIP_2) | instid1(VALU_DEP_1)
	v_cndmask_b32_e64 v23, 0, v23, s21
	v_cmp_nlt_f32_e64 s21, 0x42b17218, v9
	v_exp_f32_e32 v9, v24
	v_cndmask_b32_e64 v158, 0x7f800000, v19, s21
	v_cmp_nlt_f32_e64 s21, 0x42b17218, v15
	s_delay_alu instid0(VALU_DEP_1) | instskip(SKIP_2) | instid1(VALU_DEP_2)
	v_cndmask_b32_e64 v157, 0x7f800000, v16, s21
	v_cmp_nlt_f32_e64 s21, 0x42b17218, v13
	v_cvt_i32_f32_e32 v13, v26
	v_cndmask_b32_e64 v156, 0x7f800000, v20, s21
	v_cmp_nlt_f32_e64 s21, 0x42b17218, v14
	s_delay_alu instid0(TRANS32_DEP_1) | instid1(VALU_DEP_3)
	v_ldexp_f32 v9, v9, v13
	s_delay_alu instid0(VALU_DEP_3) | instskip(NEXT) | instid1(VALU_DEP_3)
	v_cvt_f16_f32_e64 v13, v156
	v_cndmask_b32_e64 v155, 0x7f800000, v17, s21
	v_cmp_nlt_f32_e64 s21, 0x42b17218, v10
	s_delay_alu instid0(VALU_DEP_1) | instskip(SKIP_2) | instid1(VALU_DEP_3)
	v_cndmask_b32_e64 v154, 0x7f800000, v21, s21
	v_cmp_nlt_f32_e64 s21, 0x42b17218, v11
	v_cvt_f16_f32_e64 v11, v158
	v_cvt_f16_f32_e64 v10, v154
	s_delay_alu instid0(VALU_DEP_3) | instskip(SKIP_2) | instid1(VALU_DEP_3)
	v_cndmask_b32_e64 v153, 0x7f800000, v18, s21
	v_cmp_nlt_f32_e64 s21, 0x42b17218, v12
	v_cvt_f16_f32_e64 v12, v157
	v_cvt_f16_f32_e64 v14, v153
	s_delay_alu instid0(VALU_DEP_3) | instskip(SKIP_1) | instid1(VALU_DEP_4)
	v_cndmask_b32_e64 v152, 0x7f800000, v23, s21
	v_cmp_ngt_f32_e64 s21, 0xc2ce8ed0, v22
	v_pack_b32_f16 v8, v11, v12
	s_delay_alu instid0(VALU_DEP_4) | instskip(NEXT) | instid1(VALU_DEP_4)
	v_pack_b32_f16 v10, v10, v14
	v_cvt_f16_f32_e64 v15, v152
	s_delay_alu instid0(VALU_DEP_4) | instskip(SKIP_1) | instid1(VALU_DEP_1)
	v_cndmask_b32_e64 v9, 0, v9, s21
	v_cmp_nlt_f32_e64 s21, 0x42b17218, v22
	v_cndmask_b32_e64 v151, 0x7f800000, v9, s21
	v_cvt_f16_f32_e64 v9, v155
	v_cmp_nlt_f32_e64 s21, 0x42b17218, v195
	s_delay_alu instid0(VALU_DEP_3) | instskip(NEXT) | instid1(VALU_DEP_3)
	v_cvt_f16_f32_e64 v14, v151
	v_pack_b32_f16 v9, v13, v9
	s_delay_alu instid0(VALU_DEP_2)
	v_pack_b32_f16 v11, v15, v14
	ds_store_b128 v174, v[8:11]
	s_and_saveexec_b32 s56, s5
	s_cbranch_execz .LBB52_50
; %bb.49:                               ;   in Loop: Header=BB52_24 Depth=1
	v_add_co_u32 v8, s23, s44, v109
	s_delay_alu instid0(VALU_DEP_1) | instskip(NEXT) | instid1(VALU_DEP_2)
	v_add_co_ci_u32_e64 v9, s23, s45, v110, s23
	v_add_co_u32 v8, s23, v8, v196
	s_delay_alu instid0(VALU_DEP_1)
	v_add_co_ci_u32_e64 v9, s23, 0, v9, s23
	global_load_b128 v[8:11], v[8:9], off offset:128
	s_waitcnt vmcnt(0)
	ds_store_b128 v172, v[8:11]
.LBB52_50:                              ;   in Loop: Header=BB52_24 Depth=1
	s_or_b32 exec_lo, exec_lo, s56
	v_lshlrev_b32_e32 v194, 2, v145
	s_and_saveexec_b32 s56, s6
	s_cbranch_execz .LBB52_52
; %bb.51:                               ;   in Loop: Header=BB52_24 Depth=1
	v_add_co_u32 v8, s23, s44, v111
	s_delay_alu instid0(VALU_DEP_1) | instskip(NEXT) | instid1(VALU_DEP_2)
	v_add_co_ci_u32_e64 v9, s23, s45, v112, s23
	v_add_co_u32 v8, s23, v8, v194
	s_delay_alu instid0(VALU_DEP_1)
	v_add_co_ci_u32_e64 v9, s23, 0, v9, s23
	global_load_b128 v[8:11], v[8:9], off
	s_waitcnt vmcnt(0)
	ds_store_b128 v173, v[8:11]
.LBB52_52:                              ;   in Loop: Header=BB52_24 Depth=1
	s_or_b32 exec_lo, exec_lo, s56
	v_add_nc_u32_e32 v186, 0x3800, v127
	s_waitcnt lgkmcnt(0)
	s_barrier
	buffer_gl0_inv
	v_add_nc_u32_e32 v185, 0x3c00, v127
	ds_load_2addr_b64 v[92:95], v186 offset1:20
	ds_load_b128 v[100:103], v126
	ds_load_b128 v[96:99], v126 offset:16
	ds_load_b128 v[88:91], v126 offset:32
	;; [unrolled: 1-line block ×3, first 2 shown]
	ds_load_2addr_b64 v[84:87], v186 offset0:40 offset1:60
	ds_load_2addr_b64 v[68:71], v186 offset0:80 offset1:100
	ds_load_b128 v[76:79], v126 offset:64
	ds_load_b128 v[72:75], v126 offset:80
	ds_load_2addr_b64 v[56:59], v186 offset0:120 offset1:140
	ds_load_b128 v[64:67], v126 offset:96
	ds_load_b128 v[60:63], v126 offset:112
	;; [unrolled: 3-line block ×3, first 2 shown]
	ds_load_2addr_b64 v[32:35], v186 offset0:200 offset1:220
	v_add_nc_u32_e32 v184, 0x4000, v127
	ds_load_b128 v[44:47], v126 offset:160
	ds_load_b128 v[36:39], v126 offset:176
	ds_load_2addr_b64 v[20:23], v185 offset0:112 offset1:132
	ds_load_b128 v[28:31], v126 offset:192
	ds_load_b128 v[24:27], v126 offset:208
	ds_load_2addr_b64 v[8:11], v184 offset0:24 offset1:44
	ds_load_b128 v[16:19], v126 offset:224
	ds_load_b128 v[12:15], v126 offset:240
	s_or_b32 s23, s49, 16
	s_waitcnt lgkmcnt(0)
	s_mul_hi_i32 s45, s23, s43
	s_mul_i32 s44, s23, s43
	s_barrier
	s_lshl_b64 s[44:45], s[44:45], 2
	buffer_gl0_inv
	s_add_u32 s44, s47, s44
	s_addc_u32 s45, s48, s45
	s_and_saveexec_b32 s56, s5
	s_cbranch_execz .LBB52_54
; %bb.53:                               ;   in Loop: Header=BB52_24 Depth=1
	v_add_co_u32 v197, s23, s44, v109
	s_delay_alu instid0(VALU_DEP_1) | instskip(NEXT) | instid1(VALU_DEP_2)
	v_add_co_ci_u32_e64 v198, s23, s45, v110, s23
	v_add_co_u32 v196, s23, v197, v196
	s_delay_alu instid0(VALU_DEP_1)
	v_add_co_ci_u32_e64 v197, s23, 0, v198, s23
	global_load_b128 v[196:199], v[196:197], off offset:128
	s_waitcnt vmcnt(0)
	ds_store_b128 v172, v[196:199]
.LBB52_54:                              ;   in Loop: Header=BB52_24 Depth=1
	s_or_b32 exec_lo, exec_lo, s56
	v_dual_mul_f32 v196, 0x3fb8aa3b, v193 :: v_dual_mul_f32 v197, 0x3fb8aa3b, v191
	v_dual_mul_f32 v198, 0x3fb8aa3b, v192 :: v_dual_mul_f32 v199, 0x3fb8aa3b, v189
	;; [unrolled: 1-line block ×3, first 2 shown]
	s_delay_alu instid0(VALU_DEP_3) | instskip(SKIP_1) | instid1(VALU_DEP_4)
	v_fma_f32 v204, 0x3fb8aa3b, v193, -v196
	v_rndne_f32_e32 v205, v196
	v_fma_f32 v208, 0x3fb8aa3b, v192, -v198
	v_rndne_f32_e32 v209, v198
	v_mul_f32_e32 v203, 0x3fb8aa3b, v195
	v_mul_f32_e32 v202, 0x3fb8aa3b, v187
	v_fma_f32 v206, 0x3fb8aa3b, v191, -v197
	v_rndne_f32_e32 v207, v197
	v_fma_f32 v210, 0x3fb8aa3b, v189, -v199
	v_rndne_f32_e32 v211, v199
	v_fma_f32 v212, 0x3fb8aa3b, v190, -v200
	v_fmac_f32_e32 v204, 0x32a5705f, v193
	v_dual_sub_f32 v193, v196, v205 :: v_dual_fmac_f32 v208, 0x32a5705f, v192
	v_sub_f32_e32 v192, v198, v209
	v_fma_f32 v218, 0x3fb8aa3b, v195, -v203
	v_rndne_f32_e32 v219, v203
	v_fma_f32 v216, 0x3fb8aa3b, v187, -v202
	v_rndne_f32_e32 v217, v202
	v_fmac_f32_e32 v206, 0x32a5705f, v191
	v_dual_sub_f32 v191, v197, v207 :: v_dual_fmac_f32 v210, 0x32a5705f, v189
	v_dual_fmac_f32 v212, 0x32a5705f, v190 :: v_dual_add_f32 v193, v193, v204
	v_fmac_f32_e32 v218, 0x32a5705f, v195
	v_sub_f32_e32 v195, v203, v219
	v_fmac_f32_e32 v216, 0x32a5705f, v187
	v_rndne_f32_e32 v213, v200
	v_exp_f32_e32 v193, v193
	v_fma_f32 v214, 0x3fb8aa3b, v188, -v201
	v_add_f32_e32 v195, v195, v218
	v_rndne_f32_e32 v215, v201
	v_cvt_i32_f32_e32 v196, v205
	s_delay_alu instid0(VALU_DEP_4) | instskip(NEXT) | instid1(VALU_DEP_4)
	v_dual_sub_f32 v189, v199, v211 :: v_dual_fmac_f32 v214, 0x32a5705f, v188
	v_exp_f32_e32 v195, v195
	v_sub_f32_e32 v187, v202, v217
	v_dual_sub_f32 v190, v200, v213 :: v_dual_add_f32 v191, v191, v206
	v_sub_f32_e32 v188, v201, v215
	v_cvt_i32_f32_e32 v203, v219
	s_delay_alu instid0(VALU_DEP_4) | instskip(SKIP_3) | instid1(TRANS32_DEP_1)
	v_add_f32_e32 v187, v187, v216
	v_ldexp_f32 v193, v193, v196
	v_dual_add_f32 v189, v189, v210 :: v_dual_add_f32 v190, v190, v212
	v_add_f32_e32 v188, v188, v214
	v_ldexp_f32 v195, v195, v203
	s_delay_alu instid0(VALU_DEP_4)
	v_cndmask_b32_e64 v193, 0, v193, s10
	v_add_f32_e32 v192, v192, v208
	v_exp_f32_e32 v191, v191
	v_exp_f32_e32 v189, v189
	;; [unrolled: 1-line block ×5, first 2 shown]
	v_cndmask_b32_e64 v196, 0, v195, s22
	v_cndmask_b32_e32 v195, 0x7f800000, v193, vcc_lo
	v_exp_f32_e32 v192, v192
	v_cvt_i32_f32_e32 v197, v207
	v_cvt_i32_f32_e32 v198, v209
	;; [unrolled: 1-line block ×6, first 2 shown]
	v_ldexp_f32 v191, v191, v197
	v_ldexp_f32 v189, v189, v199
	v_ldexp_f32 v190, v190, v200
	v_ldexp_f32 v192, v192, v198
	v_ldexp_f32 v188, v188, v201
	v_ldexp_f32 v187, v187, v202
	v_cndmask_b32_e64 v191, 0, v191, s11
	v_cndmask_b32_e64 v189, 0, v189, s16
	;; [unrolled: 1-line block ×13, first 2 shown]
	s_and_saveexec_b32 s7, s6
	s_cbranch_execz .LBB52_56
; %bb.55:                               ;   in Loop: Header=BB52_24 Depth=1
	v_add_co_u32 v196, vcc_lo, s44, v111
	v_add_co_ci_u32_e32 v197, vcc_lo, s45, v112, vcc_lo
	s_delay_alu instid0(VALU_DEP_2) | instskip(NEXT) | instid1(VALU_DEP_2)
	v_add_co_u32 v196, vcc_lo, v196, v194
	v_add_co_ci_u32_e32 v197, vcc_lo, 0, v197, vcc_lo
	global_load_b128 v[196:199], v[196:197], off
	s_waitcnt vmcnt(0)
	ds_store_b128 v173, v[196:199]
.LBB52_56:                              ;   in Loop: Header=BB52_24 Depth=1
	s_or_b32 exec_lo, exec_lo, s7
	v_dual_fmac_f32 v154, v183, v190 :: v_dual_fmac_f32 v153, v177, v189
	v_cvt_f16_f32_e64 v177, v193
	v_dual_fmac_f32 v152, v178, v188 :: v_dual_fmac_f32 v151, v176, v187
	v_cvt_f16_f32_e64 v176, v192
	v_cvt_f16_f32_e64 v178, v191
	s_delay_alu instid0(VALU_DEP_4)
	v_pk_mul_f16 v140, v177, v140 op_sel_hi:[0,1]
	v_pk_mul_f16 v141, v177, v141 op_sel_hi:[0,1]
	v_cvt_f16_f32_e64 v177, v190
	v_dual_fmac_f32 v158, v179, v195 :: v_dual_fmac_f32 v157, v180, v193
	v_cvt_f16_f32_e64 v179, v195
	v_pk_mul_f16 v137, v176, v137 op_sel_hi:[0,1]
	v_pk_mul_f16 v138, v176, v138 op_sel_hi:[0,1]
	v_pk_mul_f16 v135, v178, v135 op_sel_hi:[0,1]
	v_pk_mul_f16 v136, v178, v136 op_sel_hi:[0,1]
	v_cvt_f16_f32_e64 v176, v189
	v_pk_mul_f16 v133, v177, v133 op_sel_hi:[0,1]
	v_cvt_f16_f32_e64 v178, v188
	v_pk_mul_f16 v134, v177, v134 op_sel_hi:[0,1]
	;; [unrolled: 2-line block ×3, first 2 shown]
	v_pk_mul_f16 v143, v179, v143 op_sel_hi:[0,1]
	v_pk_mul_f16 v131, v176, v131 op_sel_hi:[0,1]
	;; [unrolled: 1-line block ×7, first 2 shown]
	v_pk_fma_f16 v142, v92, v100, v142 op_sel_hi:[1,0,1]
	v_pk_fma_f16 v140, v92, v100, v140 op_sel:[0,1,0]
	v_pk_fma_f16 v137, v92, v101, v137 op_sel_hi:[1,0,1]
	v_pk_fma_f16 v135, v92, v101, v135 op_sel:[0,1,0]
	;; [unrolled: 2-line block ×120, first 2 shown]
	s_waitcnt lgkmcnt(0)
	s_barrier
	buffer_gl0_inv
	ds_load_2addr_b64 v[16:19], v186 offset1:20
	ds_load_b128 v[20:23], v126 offset:256
	v_pk_fma_f16 v38, v10, v12, v27 op_sel_hi:[1,0,1]
	v_pk_fma_f16 v31, v10, v12, v31 op_sel:[0,1,0]
	v_pk_fma_f16 v32, v10, v13, v32 op_sel_hi:[1,0,1]
	v_pk_fma_f16 v33, v10, v13, v33 op_sel:[0,1,0]
	;; [unrolled: 2-line block ×5, first 2 shown]
	v_pk_fma_f16 v28, v11, v13, v28 op_sel_hi:[1,0,1]
	v_pk_fma_f16 v29, v11, v14, v29 op_sel_hi:[1,0,1]
	v_pk_fma_f16 v41, v11, v13, v25 op_sel:[0,1,0]
	v_pk_fma_f16 v42, v11, v14, v26 op_sel:[0,1,0]
	v_pk_fma_f16 v43, v11, v15, v30 op_sel_hi:[1,0,1]
	v_pk_fma_f16 v44, v11, v15, v9 op_sel:[0,1,0]
	ds_load_b128 v[8:11], v126 offset:272
	ds_load_b128 v[12:15], v126 offset:288
	;; [unrolled: 1-line block ×3, first 2 shown]
	v_dual_fmac_f32 v156, v181, v192 :: v_dual_fmac_f32 v155, v182, v191
	s_waitcnt lgkmcnt(3)
	v_pk_fma_f16 v38, v16, v20, v38 op_sel_hi:[1,0,1]
	v_pk_fma_f16 v45, v16, v20, v31 op_sel:[0,1,0]
	v_pk_fma_f16 v32, v16, v21, v32 op_sel_hi:[1,0,1]
	v_pk_fma_f16 v33, v16, v21, v33 op_sel:[0,1,0]
	;; [unrolled: 2-line block ×5, first 2 shown]
	v_pk_fma_f16 v39, v17, v21, v28 op_sel_hi:[1,0,1]
	v_pk_fma_f16 v40, v17, v22, v29 op_sel_hi:[1,0,1]
	ds_load_2addr_b64 v[28:31], v186 offset0:40 offset1:60
	v_pk_fma_f16 v21, v17, v21, v41 op_sel:[0,1,0]
	v_pk_fma_f16 v22, v17, v22, v42 op_sel:[0,1,0]
	v_pk_fma_f16 v41, v17, v23, v43 op_sel_hi:[1,0,1]
	v_pk_fma_f16 v17, v17, v23, v44 op_sel:[0,1,0]
	s_waitcnt lgkmcnt(3)
	v_pk_fma_f16 v23, v18, v8, v38 op_sel_hi:[1,0,1]
	v_pk_fma_f16 v38, v18, v8, v45 op_sel:[0,1,0]
	v_pk_fma_f16 v32, v18, v9, v32 op_sel_hi:[1,0,1]
	v_pk_fma_f16 v33, v18, v9, v33 op_sel:[0,1,0]
	;; [unrolled: 2-line block ×8, first 2 shown]
	s_waitcnt lgkmcnt(0)
	v_pk_fma_f16 v23, v28, v12, v23 op_sel_hi:[1,0,1]
	v_pk_fma_f16 v38, v28, v12, v38 op_sel:[0,1,0]
	v_pk_fma_f16 v32, v28, v13, v32 op_sel_hi:[1,0,1]
	v_pk_fma_f16 v33, v28, v13, v33 op_sel:[0,1,0]
	;; [unrolled: 2-line block ×7, first 2 shown]
	ds_load_2addr_b64 v[8:11], v186 offset0:80 offset1:100
	ds_load_b128 v[16:19], v126 offset:320
	v_pk_fma_f16 v22, v29, v15, v22 op_sel_hi:[1,0,1]
	v_pk_fma_f16 v29, v29, v15, v37 op_sel:[0,1,0]
	v_pk_fma_f16 v23, v30, v24, v23 op_sel_hi:[1,0,1]
	v_pk_fma_f16 v37, v30, v24, v38 op_sel:[0,1,0]
	;; [unrolled: 2-line block ×8, first 2 shown]
	ds_load_b128 v[12:15], v126 offset:336
	v_pk_fma_f16 v38, v31, v27, v22 op_sel_hi:[1,0,1]
	v_pk_fma_f16 v29, v31, v27, v29 op_sel:[0,1,0]
	s_waitcnt lgkmcnt(1)
	v_pk_fma_f16 v31, v8, v16, v23 op_sel_hi:[1,0,1]
	v_pk_fma_f16 v37, v8, v16, v37 op_sel:[0,1,0]
	v_pk_fma_f16 v32, v8, v17, v32 op_sel_hi:[1,0,1]
	v_pk_fma_f16 v33, v8, v17, v33 op_sel:[0,1,0]
	v_pk_fma_f16 v34, v8, v18, v34 op_sel_hi:[1,0,1]
	v_pk_fma_f16 v35, v8, v18, v35 op_sel:[0,1,0]
	v_pk_fma_f16 v36, v8, v19, v36 op_sel_hi:[1,0,1]
	v_pk_fma_f16 v8, v8, v19, v28 op_sel:[0,1,0]
	v_pk_fma_f16 v28, v9, v16, v30 op_sel_hi:[1,0,1]
	v_pk_fma_f16 v16, v9, v16, v24 op_sel:[0,1,0]
	v_pk_fma_f16 v30, v9, v17, v20 op_sel_hi:[1,0,1]
	v_pk_fma_f16 v17, v9, v17, v25 op_sel:[0,1,0]
	v_pk_fma_f16 v39, v9, v18, v21 op_sel_hi:[1,0,1]
	v_pk_fma_f16 v18, v9, v18, v26 op_sel:[0,1,0]
	ds_load_2addr_b64 v[20:23], v186 offset0:120 offset1:140
	ds_load_b128 v[24:27], v126 offset:352
	v_pk_fma_f16 v38, v9, v19, v38 op_sel_hi:[1,0,1]
	v_pk_fma_f16 v9, v9, v19, v29 op_sel:[0,1,0]
	s_waitcnt lgkmcnt(2)
	v_pk_fma_f16 v29, v10, v12, v31 op_sel_hi:[1,0,1]
	v_pk_fma_f16 v31, v10, v12, v37 op_sel:[0,1,0]
	v_pk_fma_f16 v32, v10, v13, v32 op_sel_hi:[1,0,1]
	v_pk_fma_f16 v33, v10, v13, v33 op_sel:[0,1,0]
	v_pk_fma_f16 v34, v10, v14, v34 op_sel_hi:[1,0,1]
	v_pk_fma_f16 v35, v10, v14, v35 op_sel:[0,1,0]
	v_pk_fma_f16 v36, v10, v15, v36 op_sel_hi:[1,0,1]
	v_pk_fma_f16 v8, v10, v15, v8 op_sel:[0,1,0]
	v_pk_fma_f16 v10, v11, v12, v28 op_sel_hi:[1,0,1]
	v_pk_fma_f16 v12, v11, v12, v16 op_sel:[0,1,0]
	v_pk_fma_f16 v28, v11, v13, v30 op_sel_hi:[1,0,1]
	v_pk_fma_f16 v13, v11, v13, v17 op_sel:[0,1,0]
	v_pk_fma_f16 v30, v11, v14, v39 op_sel_hi:[1,0,1]
	v_pk_fma_f16 v14, v11, v14, v18 op_sel:[0,1,0]
	ds_load_b128 v[16:19], v126 offset:368
	v_pk_fma_f16 v37, v11, v15, v38 op_sel_hi:[1,0,1]
	v_pk_fma_f16 v38, v11, v15, v9 op_sel:[0,1,0]
	s_waitcnt lgkmcnt(1)
	v_pk_fma_f16 v29, v20, v24, v29 op_sel_hi:[1,0,1]
	v_pk_fma_f16 v31, v20, v24, v31 op_sel:[0,1,0]
	v_pk_fma_f16 v32, v20, v25, v32 op_sel_hi:[1,0,1]
	v_pk_fma_f16 v33, v20, v25, v33 op_sel:[0,1,0]
	v_pk_fma_f16 v34, v20, v26, v34 op_sel_hi:[1,0,1]
	v_pk_fma_f16 v35, v20, v26, v35 op_sel:[0,1,0]
	v_pk_fma_f16 v36, v20, v27, v36 op_sel_hi:[1,0,1]
	v_pk_fma_f16 v20, v20, v27, v8 op_sel:[0,1,0]
	v_pk_fma_f16 v39, v21, v24, v10 op_sel_hi:[1,0,1]
	v_pk_fma_f16 v24, v21, v24, v12 op_sel:[0,1,0]
	v_pk_fma_f16 v28, v21, v25, v28 op_sel_hi:[1,0,1]
	v_pk_fma_f16 v25, v21, v25, v13 op_sel:[0,1,0]
	v_pk_fma_f16 v30, v21, v26, v30 op_sel_hi:[1,0,1]
	v_pk_fma_f16 v26, v21, v26, v14 op_sel:[0,1,0]
	ds_load_2addr_b64 v[8:11], v186 offset0:160 offset1:180
	ds_load_b128 v[12:15], v126 offset:384
	v_pk_fma_f16 v37, v21, v27, v37 op_sel_hi:[1,0,1]
	v_pk_fma_f16 v21, v21, v27, v38 op_sel:[0,1,0]
	s_waitcnt lgkmcnt(2)
	v_pk_fma_f16 v29, v22, v16, v29 op_sel_hi:[1,0,1]
	v_pk_fma_f16 v31, v22, v16, v31 op_sel:[0,1,0]
	v_pk_fma_f16 v32, v22, v17, v32 op_sel_hi:[1,0,1]
	v_pk_fma_f16 v33, v22, v17, v33 op_sel:[0,1,0]
	v_pk_fma_f16 v34, v22, v18, v34 op_sel_hi:[1,0,1]
	v_pk_fma_f16 v35, v22, v18, v35 op_sel:[0,1,0]
	v_pk_fma_f16 v36, v22, v19, v36 op_sel_hi:[1,0,1]
	v_pk_fma_f16 v20, v22, v19, v20 op_sel:[0,1,0]
	v_pk_fma_f16 v22, v23, v16, v39 op_sel_hi:[1,0,1]
	v_pk_fma_f16 v16, v23, v16, v24 op_sel:[0,1,0]
	v_pk_fma_f16 v28, v23, v17, v28 op_sel_hi:[1,0,1]
	v_pk_fma_f16 v17, v23, v17, v25 op_sel:[0,1,0]
	v_pk_fma_f16 v30, v23, v18, v30 op_sel_hi:[1,0,1]
	v_pk_fma_f16 v18, v23, v18, v26 op_sel:[0,1,0]
	;; [unrolled: 37-line block ×4, first 2 shown]
	ds_load_b128 v[20:23], v126 offset:464
	v_pk_fma_f16 v37, v19, v15, v37 op_sel_hi:[1,0,1]
	v_pk_fma_f16 v38, v19, v15, v17 op_sel:[0,1,0]
	s_waitcnt lgkmcnt(1)
	v_pk_fma_f16 v29, v8, v24, v29 op_sel_hi:[1,0,1]
	v_pk_fma_f16 v31, v8, v24, v31 op_sel:[0,1,0]
	v_pk_fma_f16 v32, v8, v25, v32 op_sel_hi:[1,0,1]
	v_pk_fma_f16 v33, v8, v25, v33 op_sel:[0,1,0]
	;; [unrolled: 2-line block ×8, first 2 shown]
	ds_load_2addr_b64 v[12:15], v184 offset0:24 offset1:44
	ds_load_b128 v[16:19], v126 offset:480
	s_waitcnt lgkmcnt(2)
	v_pk_fma_f16 v27, v10, v20, v29 op_sel_hi:[1,0,1]
	v_pk_fma_f16 v29, v10, v20, v31 op_sel:[0,1,0]
	v_pk_fma_f16 v31, v10, v21, v32 op_sel_hi:[1,0,1]
	v_pk_fma_f16 v32, v10, v21, v33 op_sel:[0,1,0]
	;; [unrolled: 2-line block ×8, first 2 shown]
	ds_load_b128 v[8:11], v126 offset:496
	s_waitcnt lgkmcnt(0)
	s_barrier
	buffer_gl0_inv
	s_load_b32 s7, s[26:27], 0x4
	v_pk_fma_f16 v27, v12, v16, v27 op_sel_hi:[1,0,1]
	v_pk_fma_f16 v28, v12, v16, v29 op_sel:[0,1,0]
	v_pk_fma_f16 v29, v12, v17, v31 op_sel_hi:[1,0,1]
	v_pk_fma_f16 v30, v12, v17, v32 op_sel:[0,1,0]
	;; [unrolled: 2-line block ×9, first 2 shown]
	v_pk_fma_f16 v137, v14, v9, v29 op_sel_hi:[1,0,1]
	s_waitcnt lgkmcnt(0)
	s_lshl_b32 s7, s7, 5
	v_pk_fma_f16 v135, v14, v9, v30 op_sel:[0,1,0]
	v_pk_fma_f16 v133, v14, v10, v31 op_sel_hi:[1,0,1]
	v_pk_fma_f16 v131, v14, v10, v32 op_sel:[0,1,0]
	v_pk_fma_f16 v129, v14, v11, v33 op_sel_hi:[1,0,1]
	;; [unrolled: 2-line block ×6, first 2 shown]
	v_pk_fma_f16 v124, v15, v11, v13 op_sel:[0,1,0]
	s_add_i32 s49, s7, s49
	s_delay_alu instid0(SALU_CYCLE_1)
	s_cmp_lt_i32 s49, s54
	s_cbranch_scc0 .LBB52_59
; %bb.57:                               ;   in Loop: Header=BB52_24 Depth=1
	v_dual_mov_b32 v9, v0 :: v_dual_mov_b32 v14, v3
	v_dual_mov_b32 v15, v1 :: v_dual_mov_b32 v10, v4
	;; [unrolled: 1-line block ×8, first 2 shown]
	s_branch .LBB52_24
.LBB52_58:
	s_mov_b32 s5, s4
	s_mov_b32 s6, s4
	;; [unrolled: 1-line block ×7, first 2 shown]
	v_dual_mov_b32 v0, s4 :: v_dual_mov_b32 v1, s5
	v_dual_mov_b32 v2, s6 :: v_dual_mov_b32 v3, s7
	;; [unrolled: 1-line block ×14, first 2 shown]
	v_mov_b32_e32 v128, 0
	v_mov_b32_e32 v124, 0
.LBB52_59:
	s_cmp_gt_i32 s42, s49
	s_cbranch_scc1 .LBB52_61
; %bb.60:
	v_mbcnt_lo_u32_b32 v8, -1, 0
	v_mov_b32_e32 v109, 32
	s_delay_alu instid0(VALU_DEP_2)
	v_xor_b32_e32 v163, 16, v8
	v_xor_b32_e32 v162, 8, v8
	;; [unrolled: 1-line block ×5, first 2 shown]
	s_cbranch_execz .LBB52_62
	s_branch .LBB52_119
.LBB52_61:
                                        ; implicit-def: $vgpr8
                                        ; implicit-def: $vgpr109
                                        ; implicit-def: $vgpr163
                                        ; implicit-def: $vgpr162
                                        ; implicit-def: $vgpr112
                                        ; implicit-def: $vgpr111
                                        ; implicit-def: $vgpr110
.LBB52_62:
	v_mul_lo_u32 v8, s51, v161
	s_sub_i32 s15, s42, s49
	s_mul_hi_i32 s5, s49, s51
	s_mul_i32 s4, s49, s51
	s_movk_i32 s6, 0x60
	s_lshl_b64 s[4:5], s[4:5], 2
	v_cmp_gt_u32_e64 s3, 32, v161
	v_mad_u32_u24 v12, v161, s6, 0x3840
	v_ashrrev_i32_e32 v9, 31, v8
	v_cmp_gt_i32_e32 vcc_lo, s15, v161
	s_add_u32 s8, s52, s4
	s_addc_u32 s9, s53, s5
	s_mov_b64 s[6:7], src_private_base
	v_lshlrev_b64 v[8:9], 2, v[8:9]
	s_and_saveexec_b32 s5, s3
	s_cbranch_execz .LBB52_64
; %bb.63:
	s_delay_alu instid0(VALU_DEP_1) | instskip(NEXT) | instid1(VALU_DEP_1)
	v_add_co_u32 v10, s4, s8, v8
	v_add_co_ci_u32_e64 v11, s4, s9, v9, s4
	s_delay_alu instid0(VALU_DEP_2) | instskip(SKIP_1) | instid1(VALU_DEP_3)
	v_add_co_u32 v10, s4, v10, 64
	v_mov_b32_e32 v13, 0
	v_add_co_ci_u32_e64 v11, s4, 0, v11, s4
	s_delay_alu instid0(VALU_DEP_3) | instskip(NEXT) | instid1(VALU_DEP_2)
	v_cndmask_b32_e32 v10, 0, v10, vcc_lo
	v_dual_mov_b32 v14, v13 :: v_dual_cndmask_b32 v11, s7, v11
	v_mov_b32_e32 v15, v13
	s_clause 0x1
	scratch_store_b32 off, v13, off
	scratch_store_b96 off, v[13:15], off offset:4
	flat_load_b128 v[13:16], v[10:11]
	s_waitcnt vmcnt(0) lgkmcnt(0)
	ds_store_b128 v12, v[13:16]
.LBB52_64:
	s_or_b32 exec_lo, exec_lo, s5
	v_add_nc_u32_e32 v14, v122, v160
	v_dual_mov_b32 v16, 0 :: v_dual_lshlrev_b32 v17, 2, v159
	s_delay_alu instid0(VALU_DEP_2) | instskip(SKIP_3) | instid1(VALU_DEP_3)
	v_mul_lo_u32 v10, s51, v14
	v_mul_u32_u24_e32 v13, 0x60, v14
	v_cmp_gt_u32_e64 s5, 32, v14
	v_cmp_gt_i32_e64 s4, s15, v14
	v_add3_u32 v13, v13, v17, 0x3800
	v_ashrrev_i32_e32 v11, 31, v10
	s_delay_alu instid0(VALU_DEP_1)
	v_lshlrev_b64 v[10:11], 2, v[10:11]
	s_and_saveexec_b32 s10, s5
	s_cbranch_execz .LBB52_66
; %bb.65:
	s_delay_alu instid0(VALU_DEP_1) | instskip(NEXT) | instid1(VALU_DEP_1)
	v_add_co_u32 v14, s6, s8, v10
	v_add_co_ci_u32_e64 v15, s6, s9, v11, s6
	s_delay_alu instid0(VALU_DEP_2) | instskip(NEXT) | instid1(VALU_DEP_1)
	v_add_co_u32 v18, s6, v14, v17
	v_add_co_ci_u32_e64 v19, s6, 0, v15, s6
	v_mov_b32_e32 v14, v16
	v_mov_b32_e32 v15, v16
	s_delay_alu instid0(VALU_DEP_4) | instskip(NEXT) | instid1(VALU_DEP_4)
	v_cndmask_b32_e64 v18, 0, v18, s4
	v_cndmask_b32_e64 v19, s7, v19, s4
	s_clause 0x1
	scratch_store_b32 off, v16, off
	scratch_store_b96 off, v[14:16], off offset:4
	flat_load_b128 v[18:21], v[18:19]
	s_waitcnt vmcnt(0) lgkmcnt(0)
	ds_store_b128 v13, v[18:21]
.LBB52_66:
	s_or_b32 exec_lo, exec_lo, s10
	s_waitcnt lgkmcnt(0)
	s_waitcnt_vscnt null, 0x0
	s_barrier
	buffer_gl0_inv
	ds_load_b128 v[25:28], v150 offset:14336
	ds_load_b128 v[29:32], v149
	ds_load_b128 v[33:36], v149 offset:160
	ds_load_b128 v[37:40], v149 offset:320
	;; [unrolled: 1-line block ×7, first 2 shown]
	v_dual_mov_b32 v24, 0 :: v_dual_mov_b32 v23, 0
	v_dual_mov_b32 v22, 0 :: v_dual_mov_b32 v21, 0
	;; [unrolled: 1-line block ×3, first 2 shown]
	v_mov_b32_e32 v20, 0
	s_waitcnt lgkmcnt(7)
	;;#ASMSTART
	v_dot2_f32_f16 v24, v25, v29, v24
	;;#ASMEND
	;;#ASMSTART
	v_dot2_f32_f16 v24, v26, v30, v24
	;;#ASMEND
	;;#ASMSTART
	v_dot2_f32_f16 v24, v27, v31, v24
	;;#ASMEND
	;;#ASMSTART
	v_dot2_f32_f16 v24, v28, v32, v24
	;;#ASMEND
	s_waitcnt lgkmcnt(6)
	;;#ASMSTART
	v_dot2_f32_f16 v23, v25, v33, v23
	;;#ASMEND
	;;#ASMSTART
	v_dot2_f32_f16 v23, v26, v34, v23
	;;#ASMEND
	;;#ASMSTART
	v_dot2_f32_f16 v23, v27, v35, v23
	;;#ASMEND
	;;#ASMSTART
	v_dot2_f32_f16 v23, v28, v36, v23
	;;#ASMEND
	;; [unrolled: 13-line block ×8, first 2 shown]
	ds_load_b128 v[25:28], v150 offset:14352
	ds_load_b128 v[29:32], v149 offset:16
	;; [unrolled: 1-line block ×9, first 2 shown]
	s_waitcnt lgkmcnt(7)
	;;#ASMSTART
	v_dot2_f32_f16 v24, v25, v29, v24
	;;#ASMEND
	;;#ASMSTART
	v_dot2_f32_f16 v24, v26, v30, v24
	;;#ASMEND
	;;#ASMSTART
	v_dot2_f32_f16 v24, v27, v31, v24
	;;#ASMEND
	;;#ASMSTART
	v_dot2_f32_f16 v24, v28, v32, v24
	;;#ASMEND
	s_waitcnt lgkmcnt(6)
	;;#ASMSTART
	v_dot2_f32_f16 v23, v25, v33, v23
	;;#ASMEND
	;;#ASMSTART
	v_dot2_f32_f16 v23, v26, v34, v23
	;;#ASMEND
	;;#ASMSTART
	v_dot2_f32_f16 v23, v27, v35, v23
	;;#ASMEND
	;;#ASMSTART
	v_dot2_f32_f16 v23, v28, v36, v23
	;;#ASMEND
	;; [unrolled: 13-line block ×8, first 2 shown]
	ds_load_b128 v[25:28], v150 offset:14368
	ds_load_b128 v[29:32], v149 offset:32
	ds_load_b128 v[33:36], v149 offset:192
	ds_load_b128 v[37:40], v149 offset:352
	ds_load_b128 v[41:44], v149 offset:512
	ds_load_b128 v[45:48], v149 offset:672
	ds_load_b128 v[49:52], v149 offset:832
	ds_load_b128 v[53:56], v149 offset:992
	ds_load_b128 v[57:60], v149 offset:1152
	s_waitcnt lgkmcnt(7)
	;;#ASMSTART
	v_dot2_f32_f16 v24, v25, v29, v24
	;;#ASMEND
	;;#ASMSTART
	v_dot2_f32_f16 v24, v26, v30, v24
	;;#ASMEND
	;;#ASMSTART
	v_dot2_f32_f16 v24, v27, v31, v24
	;;#ASMEND
	;;#ASMSTART
	v_dot2_f32_f16 v24, v28, v32, v24
	;;#ASMEND
	s_waitcnt lgkmcnt(6)
	;;#ASMSTART
	v_dot2_f32_f16 v23, v25, v33, v23
	;;#ASMEND
	;;#ASMSTART
	v_dot2_f32_f16 v23, v26, v34, v23
	;;#ASMEND
	;;#ASMSTART
	v_dot2_f32_f16 v23, v27, v35, v23
	;;#ASMEND
	;;#ASMSTART
	v_dot2_f32_f16 v23, v28, v36, v23
	;;#ASMEND
	;; [unrolled: 13-line block ×8, first 2 shown]
	ds_load_b128 v[25:28], v150 offset:14384
	ds_load_b128 v[29:32], v149 offset:48
	;; [unrolled: 1-line block ×9, first 2 shown]
	s_waitcnt lgkmcnt(7)
	;;#ASMSTART
	v_dot2_f32_f16 v24, v25, v29, v24
	;;#ASMEND
	;;#ASMSTART
	v_dot2_f32_f16 v24, v26, v30, v24
	;;#ASMEND
	;;#ASMSTART
	v_dot2_f32_f16 v24, v27, v31, v24
	;;#ASMEND
	;;#ASMSTART
	v_dot2_f32_f16 v24, v28, v32, v24
	;;#ASMEND
	s_waitcnt lgkmcnt(6)
	;;#ASMSTART
	v_dot2_f32_f16 v23, v25, v33, v23
	;;#ASMEND
	;;#ASMSTART
	v_dot2_f32_f16 v23, v26, v34, v23
	;;#ASMEND
	;;#ASMSTART
	v_dot2_f32_f16 v23, v27, v35, v23
	;;#ASMEND
	;;#ASMSTART
	v_dot2_f32_f16 v23, v28, v36, v23
	;;#ASMEND
	;; [unrolled: 13-line block ×8, first 2 shown]
	ds_load_b128 v[25:28], v150 offset:14400
	ds_load_b128 v[29:32], v149 offset:64
	ds_load_b128 v[33:36], v149 offset:224
	ds_load_b128 v[37:40], v149 offset:384
	ds_load_b128 v[41:44], v149 offset:544
	ds_load_b128 v[45:48], v149 offset:704
	ds_load_b128 v[49:52], v149 offset:864
	ds_load_b128 v[53:56], v149 offset:1024
	ds_load_b128 v[57:60], v149 offset:1184
	s_waitcnt lgkmcnt(7)
	;;#ASMSTART
	v_dot2_f32_f16 v24, v25, v29, v24
	;;#ASMEND
	;;#ASMSTART
	v_dot2_f32_f16 v24, v26, v30, v24
	;;#ASMEND
	;;#ASMSTART
	v_dot2_f32_f16 v24, v27, v31, v24
	;;#ASMEND
	;;#ASMSTART
	v_dot2_f32_f16 v24, v28, v32, v24
	;;#ASMEND
	s_waitcnt lgkmcnt(6)
	;;#ASMSTART
	v_dot2_f32_f16 v23, v25, v33, v23
	;;#ASMEND
	;;#ASMSTART
	v_dot2_f32_f16 v23, v26, v34, v23
	;;#ASMEND
	;;#ASMSTART
	v_dot2_f32_f16 v23, v27, v35, v23
	;;#ASMEND
	;;#ASMSTART
	v_dot2_f32_f16 v23, v28, v36, v23
	;;#ASMEND
	s_waitcnt lgkmcnt(5)
	;;#ASMSTART
	v_dot2_f32_f16 v22, v25, v37, v22
	;;#ASMEND
	;;#ASMSTART
	v_dot2_f32_f16 v22, v26, v38, v22
	;;#ASMEND
	;;#ASMSTART
	v_dot2_f32_f16 v22, v27, v39, v22
	;;#ASMEND
	;;#ASMSTART
	v_dot2_f32_f16 v22, v28, v40, v22
	;;#ASMEND
	s_waitcnt lgkmcnt(4)
	;;#ASMSTART
	v_dot2_f32_f16 v21, v25, v41, v21
	;;#ASMEND
	;;#ASMSTART
	v_dot2_f32_f16 v21, v26, v42, v21
	;;#ASMEND
	;;#ASMSTART
	v_dot2_f32_f16 v21, v27, v43, v21
	;;#ASMEND
	;;#ASMSTART
	v_dot2_f32_f16 v21, v28, v44, v21
	;;#ASMEND
	s_waitcnt lgkmcnt(3)
	;;#ASMSTART
	v_dot2_f32_f16 v18, v25, v45, v18
	;;#ASMEND
	;;#ASMSTART
	v_dot2_f32_f16 v18, v26, v46, v18
	;;#ASMEND
	;;#ASMSTART
	v_dot2_f32_f16 v18, v27, v47, v18
	;;#ASMEND
	;;#ASMSTART
	v_dot2_f32_f16 v18, v28, v48, v18
	;;#ASMEND
	s_waitcnt lgkmcnt(2)
	;;#ASMSTART
	v_dot2_f32_f16 v20, v25, v49, v20
	;;#ASMEND
	;;#ASMSTART
	v_dot2_f32_f16 v20, v26, v50, v20
	;;#ASMEND
	;;#ASMSTART
	v_dot2_f32_f16 v20, v27, v51, v20
	;;#ASMEND
	;;#ASMSTART
	v_dot2_f32_f16 v20, v28, v52, v20
	;;#ASMEND
	s_waitcnt lgkmcnt(1)
	;;#ASMSTART
	v_dot2_f32_f16 v19, v25, v53, v19
	;;#ASMEND
	;;#ASMSTART
	v_dot2_f32_f16 v19, v26, v54, v19
	;;#ASMEND
	;;#ASMSTART
	v_dot2_f32_f16 v19, v27, v55, v19
	;;#ASMEND
	;;#ASMSTART
	v_dot2_f32_f16 v19, v28, v56, v19
	;;#ASMEND
	s_waitcnt lgkmcnt(0)
	;;#ASMSTART
	v_dot2_f32_f16 v16, v25, v57, v16
	;;#ASMEND
	;;#ASMSTART
	v_dot2_f32_f16 v16, v26, v58, v16
	;;#ASMEND
	;;#ASMSTART
	v_dot2_f32_f16 v16, v27, v59, v16
	;;#ASMEND
	;;#ASMSTART
	v_dot2_f32_f16 v16, v28, v60, v16
	;;#ASMEND
	s_barrier
	buffer_gl0_inv
	s_and_saveexec_b32 s6, s3
	s_cbranch_execz .LBB52_68
; %bb.67:
	v_add_co_u32 v8, s3, s8, v8
	s_delay_alu instid0(VALU_DEP_1) | instskip(NEXT) | instid1(VALU_DEP_2)
	v_add_co_ci_u32_e64 v9, s3, s9, v9, s3
	v_add_co_u32 v8, s3, 0x90, v8
	v_mov_b32_e32 v25, 0
	s_delay_alu instid0(VALU_DEP_3) | instskip(NEXT) | instid1(VALU_DEP_3)
	v_add_co_ci_u32_e64 v9, s3, 0, v9, s3
	v_cndmask_b32_e32 v8, 0, v8, vcc_lo
	s_delay_alu instid0(VALU_DEP_2)
	v_dual_mov_b32 v26, v25 :: v_dual_cndmask_b32 v9, s7, v9
	v_mov_b32_e32 v27, v25
	s_clause 0x1
	scratch_store_b32 off, v25, off
	scratch_store_b96 off, v[25:27], off offset:4
	flat_load_b128 v[25:28], v[8:9]
	s_waitcnt vmcnt(0) lgkmcnt(0)
	ds_store_b128 v12, v[25:28]
.LBB52_68:
	s_or_b32 exec_lo, exec_lo, s6
	s_and_saveexec_b32 s3, s5
	s_cbranch_execz .LBB52_70
; %bb.69:
	v_add_co_u32 v8, vcc_lo, s8, v10
	v_add_co_ci_u32_e32 v9, vcc_lo, s9, v11, vcc_lo
	s_delay_alu instid0(VALU_DEP_2) | instskip(NEXT) | instid1(VALU_DEP_2)
	v_add_co_u32 v10, vcc_lo, v8, v17
	v_add_co_ci_u32_e32 v9, vcc_lo, 0, v9, vcc_lo
	v_mov_b32_e32 v8, 0
	s_delay_alu instid0(VALU_DEP_3) | instskip(NEXT) | instid1(VALU_DEP_3)
	v_add_co_u32 v11, vcc_lo, 0x50, v10
	v_add_co_ci_u32_e32 v12, vcc_lo, 0, v9, vcc_lo
	s_delay_alu instid0(VALU_DEP_3) | instskip(SKIP_1) | instid1(VALU_DEP_4)
	v_mov_b32_e32 v9, v8
	v_mov_b32_e32 v10, v8
	v_cndmask_b32_e64 v11, 0, v11, s4
	s_delay_alu instid0(VALU_DEP_4)
	v_cndmask_b32_e64 v12, s7, v12, s4
	s_clause 0x1
	scratch_store_b32 off, v8, off
	scratch_store_b96 off, v[8:10], off offset:4
	flat_load_b128 v[8:11], v[11:12]
	s_waitcnt vmcnt(0) lgkmcnt(0)
	ds_store_b128 v13, v[8:11]
.LBB52_70:
	s_or_b32 exec_lo, exec_lo, s3
	s_waitcnt lgkmcnt(0)
	s_waitcnt_vscnt null, 0x0
	s_barrier
	buffer_gl0_inv
	ds_load_b128 v[8:11], v150 offset:14336
	ds_load_b128 v[12:15], v149 offset:80
	;; [unrolled: 1-line block ×9, first 2 shown]
	s_cmp_lg_u64 s[40:41], 0
	v_cmp_gt_i32_e64 s3, s15, v119
	s_cselect_b32 s5, -1, 0
	v_add_nc_u32_e32 v17, s49, v119
	s_waitcnt lgkmcnt(7)
	;;#ASMSTART
	v_dot2_f32_f16 v24, v8, v12, v24
	;;#ASMEND
	;;#ASMSTART
	v_dot2_f32_f16 v24, v9, v13, v24
	;;#ASMEND
	;;#ASMSTART
	v_dot2_f32_f16 v24, v10, v14, v24
	;;#ASMEND
	;;#ASMSTART
	v_dot2_f32_f16 v24, v11, v15, v24
	;;#ASMEND
	s_waitcnt lgkmcnt(6)
	;;#ASMSTART
	v_dot2_f32_f16 v23, v8, v25, v23
	;;#ASMEND
	;;#ASMSTART
	v_dot2_f32_f16 v23, v9, v26, v23
	;;#ASMEND
	;;#ASMSTART
	v_dot2_f32_f16 v23, v10, v27, v23
	;;#ASMEND
	;;#ASMSTART
	v_dot2_f32_f16 v23, v11, v28, v23
	;;#ASMEND
	;; [unrolled: 13-line block ×8, first 2 shown]
	ds_load_b128 v[8:11], v150 offset:14352
	ds_load_b128 v[12:15], v149 offset:96
	;; [unrolled: 1-line block ×9, first 2 shown]
	s_waitcnt lgkmcnt(7)
	;;#ASMSTART
	v_dot2_f32_f16 v24, v8, v12, v24
	;;#ASMEND
	;;#ASMSTART
	v_dot2_f32_f16 v24, v9, v13, v24
	;;#ASMEND
	;;#ASMSTART
	v_dot2_f32_f16 v24, v10, v14, v24
	;;#ASMEND
	;;#ASMSTART
	v_dot2_f32_f16 v24, v11, v15, v24
	;;#ASMEND
	s_waitcnt lgkmcnt(6)
	;;#ASMSTART
	v_dot2_f32_f16 v23, v8, v25, v23
	;;#ASMEND
	;;#ASMSTART
	v_dot2_f32_f16 v23, v9, v26, v23
	;;#ASMEND
	;;#ASMSTART
	v_dot2_f32_f16 v23, v10, v27, v23
	;;#ASMEND
	;;#ASMSTART
	v_dot2_f32_f16 v23, v11, v28, v23
	;;#ASMEND
	;; [unrolled: 13-line block ×8, first 2 shown]
	ds_load_b128 v[8:11], v150 offset:14368
	ds_load_b128 v[12:15], v149 offset:112
	ds_load_b128 v[25:28], v149 offset:272
	ds_load_b128 v[29:32], v149 offset:432
	ds_load_b128 v[33:36], v149 offset:592
	ds_load_b128 v[37:40], v149 offset:752
	ds_load_b128 v[41:44], v149 offset:912
	ds_load_b128 v[45:48], v149 offset:1072
	ds_load_b128 v[49:52], v149 offset:1232
	s_waitcnt lgkmcnt(7)
	;;#ASMSTART
	v_dot2_f32_f16 v24, v8, v12, v24
	;;#ASMEND
	;;#ASMSTART
	v_dot2_f32_f16 v24, v9, v13, v24
	;;#ASMEND
	;;#ASMSTART
	v_dot2_f32_f16 v24, v10, v14, v24
	;;#ASMEND
	;;#ASMSTART
	v_dot2_f32_f16 v24, v11, v15, v24
	;;#ASMEND
	s_waitcnt lgkmcnt(6)
	;;#ASMSTART
	v_dot2_f32_f16 v23, v8, v25, v23
	;;#ASMEND
	;;#ASMSTART
	v_dot2_f32_f16 v23, v9, v26, v23
	;;#ASMEND
	;;#ASMSTART
	v_dot2_f32_f16 v23, v10, v27, v23
	;;#ASMEND
	;;#ASMSTART
	v_dot2_f32_f16 v23, v11, v28, v23
	;;#ASMEND
	;; [unrolled: 13-line block ×8, first 2 shown]
	ds_load_b128 v[8:11], v150 offset:14384
	ds_load_b128 v[12:15], v149 offset:128
	ds_load_b128 v[25:28], v149 offset:288
	ds_load_b128 v[29:32], v149 offset:448
	ds_load_b128 v[33:36], v149 offset:608
	ds_load_b128 v[37:40], v149 offset:768
	ds_load_b128 v[41:44], v149 offset:928
	ds_load_b128 v[45:48], v149 offset:1088
	ds_load_b128 v[49:52], v149 offset:1248
	s_waitcnt lgkmcnt(7)
	;;#ASMSTART
	v_dot2_f32_f16 v24, v8, v12, v24
	;;#ASMEND
	;;#ASMSTART
	v_dot2_f32_f16 v24, v9, v13, v24
	;;#ASMEND
	;;#ASMSTART
	v_dot2_f32_f16 v24, v10, v14, v24
	;;#ASMEND
	;;#ASMSTART
	v_dot2_f32_f16 v24, v11, v15, v24
	;;#ASMEND
	s_waitcnt lgkmcnt(6)
	;;#ASMSTART
	v_dot2_f32_f16 v23, v8, v25, v23
	;;#ASMEND
	;;#ASMSTART
	v_dot2_f32_f16 v23, v9, v26, v23
	;;#ASMEND
	;;#ASMSTART
	v_dot2_f32_f16 v23, v10, v27, v23
	;;#ASMEND
	;;#ASMSTART
	v_dot2_f32_f16 v23, v11, v28, v23
	;;#ASMEND
	s_waitcnt lgkmcnt(5)
	;;#ASMSTART
	v_dot2_f32_f16 v22, v8, v29, v22
	;;#ASMEND
	;;#ASMSTART
	v_dot2_f32_f16 v22, v9, v30, v22
	;;#ASMEND
	;;#ASMSTART
	v_dot2_f32_f16 v22, v10, v31, v22
	;;#ASMEND
	;;#ASMSTART
	v_dot2_f32_f16 v22, v11, v32, v22
	;;#ASMEND
	s_waitcnt lgkmcnt(4)
	;;#ASMSTART
	v_dot2_f32_f16 v21, v8, v33, v21
	;;#ASMEND
	;;#ASMSTART
	v_dot2_f32_f16 v21, v9, v34, v21
	;;#ASMEND
	;;#ASMSTART
	v_dot2_f32_f16 v21, v10, v35, v21
	;;#ASMEND
	;;#ASMSTART
	v_dot2_f32_f16 v21, v11, v36, v21
	;;#ASMEND
	s_waitcnt lgkmcnt(3)
	;;#ASMSTART
	v_dot2_f32_f16 v18, v8, v37, v18
	;;#ASMEND
	;;#ASMSTART
	v_dot2_f32_f16 v18, v9, v38, v18
	;;#ASMEND
	;;#ASMSTART
	v_dot2_f32_f16 v18, v10, v39, v18
	;;#ASMEND
	;;#ASMSTART
	v_dot2_f32_f16 v18, v11, v40, v18
	;;#ASMEND
	s_waitcnt lgkmcnt(2)
	;;#ASMSTART
	v_dot2_f32_f16 v20, v8, v41, v20
	;;#ASMEND
	;;#ASMSTART
	v_dot2_f32_f16 v20, v9, v42, v20
	;;#ASMEND
	;;#ASMSTART
	v_dot2_f32_f16 v20, v10, v43, v20
	;;#ASMEND
	;;#ASMSTART
	v_dot2_f32_f16 v20, v11, v44, v20
	;;#ASMEND
	s_waitcnt lgkmcnt(1)
	;;#ASMSTART
	v_dot2_f32_f16 v19, v8, v45, v19
	;;#ASMEND
	;;#ASMSTART
	v_dot2_f32_f16 v19, v9, v46, v19
	;;#ASMEND
	;;#ASMSTART
	v_dot2_f32_f16 v19, v10, v47, v19
	;;#ASMEND
	;;#ASMSTART
	v_dot2_f32_f16 v19, v11, v48, v19
	;;#ASMEND
	s_waitcnt lgkmcnt(0)
	;;#ASMSTART
	v_dot2_f32_f16 v16, v8, v49, v16
	;;#ASMEND
	;;#ASMSTART
	v_dot2_f32_f16 v16, v9, v50, v16
	;;#ASMEND
	;;#ASMSTART
	v_dot2_f32_f16 v16, v10, v51, v16
	;;#ASMEND
	;;#ASMSTART
	v_dot2_f32_f16 v16, v11, v52, v16
	;;#ASMEND
	ds_load_b128 v[28:31], v150 offset:14400
	ds_load_b128 v[32:35], v149 offset:144
	;; [unrolled: 1-line block ×9, first 2 shown]
	s_waitcnt lgkmcnt(7)
	;;#ASMSTART
	v_dot2_f32_f16 v24, v28, v32, v24
	;;#ASMEND
	;;#ASMSTART
	v_dot2_f32_f16 v24, v29, v33, v24
	;;#ASMEND
	;;#ASMSTART
	v_dot2_f32_f16 v24, v30, v34, v24
	;;#ASMEND
	;;#ASMSTART
	v_dot2_f32_f16 v24, v31, v35, v24
	;;#ASMEND
	s_waitcnt lgkmcnt(6)
	;;#ASMSTART
	v_dot2_f32_f16 v23, v28, v36, v23
	;;#ASMEND
	;;#ASMSTART
	v_dot2_f32_f16 v23, v29, v37, v23
	;;#ASMEND
	;;#ASMSTART
	v_dot2_f32_f16 v23, v30, v38, v23
	;;#ASMEND
	;;#ASMSTART
	v_dot2_f32_f16 v23, v31, v39, v23
	;;#ASMEND
	;; [unrolled: 13-line block ×5, first 2 shown]
	s_waitcnt lgkmcnt(2)
	;;#ASMSTART
	v_dot2_f32_f16 v20, v28, v52, v20
	;;#ASMEND
	;;#ASMSTART
	v_dot2_f32_f16 v20, v29, v53, v20
	;;#ASMEND
	;; [unrolled: 3-line block ×3, first 2 shown]
	v_dual_mov_b32 v15, v7 :: v_dual_mov_b32 v12, v4
	;;#ASMSTART
	v_dot2_f32_f16 v20, v31, v55, v20
	;;#ASMEND
	s_waitcnt lgkmcnt(1)
	;;#ASMSTART
	v_dot2_f32_f16 v19, v28, v56, v19
	;;#ASMEND
	v_dual_mov_b32 v14, v6 :: v_dual_mov_b32 v13, v5
	v_dual_mov_b32 v10, v2 :: v_dual_mov_b32 v11, v3
	v_dual_mov_b32 v8, v0 :: v_dual_mov_b32 v9, v1
	v_cndmask_b32_e64 v27, 0, 1, s5
	;;#ASMSTART
	v_dot2_f32_f16 v19, v29, v57, v19
	;;#ASMEND
	;;#ASMSTART
	v_dot2_f32_f16 v19, v30, v58, v19
	;;#ASMEND
	;; [unrolled: 3-line block ×3, first 2 shown]
	s_waitcnt lgkmcnt(0)
	;;#ASMSTART
	v_dot2_f32_f16 v16, v28, v60, v16
	;;#ASMEND
	;;#ASMSTART
	v_dot2_f32_f16 v16, v29, v61, v16
	;;#ASMEND
	;; [unrolled: 3-line block ×4, first 2 shown]
	s_and_saveexec_b32 s4, s3
	s_cbranch_execz .LBB52_75
; %bb.71:
	s_and_not1_b32 vcc_lo, exec_lo, s5
	s_cbranch_vccnz .LBB52_73
; %bb.72:
	v_mul_hi_u32 v8, s36, v123
	s_delay_alu instid0(VALU_DEP_1) | instskip(NEXT) | instid1(VALU_DEP_1)
	v_add_nc_u32_e32 v8, v123, v8
	v_lshrrev_b32_e32 v8, s37, v8
	s_delay_alu instid0(VALU_DEP_1) | instskip(NEXT) | instid1(VALU_DEP_1)
	v_mul_lo_u32 v8, v8, s38
	v_sub_nc_u32_e32 v10, v123, v8
	s_delay_alu instid0(VALU_DEP_1) | instskip(NEXT) | instid1(VALU_DEP_1)
	v_mad_u64_u32 v[8:9], null, v10, s50, v[17:18]
	v_ashrrev_i32_e32 v9, 31, v8
	s_delay_alu instid0(VALU_DEP_1) | instskip(NEXT) | instid1(VALU_DEP_1)
	v_lshlrev_b64 v[8:9], 1, v[8:9]
	v_add_co_u32 v8, vcc_lo, s40, v8
	s_delay_alu instid0(VALU_DEP_2) | instskip(SKIP_3) | instid1(VALU_DEP_1)
	v_add_co_ci_u32_e32 v9, vcc_lo, s41, v9, vcc_lo
	flat_load_u16 v8, v[8:9]
	s_waitcnt vmcnt(0) lgkmcnt(0)
	v_cvt_f32_f16_e32 v8, v8
	v_mul_f32_e32 v8, v144, v8
	s_branch .LBB52_74
.LBB52_73:
	v_mov_b32_e32 v8, 0
.LBB52_74:
	s_delay_alu instid0(VALU_DEP_1) | instskip(SKIP_2) | instid1(VALU_DEP_3)
	v_dual_add_f32 v24, v24, v8 :: v_dual_mov_b32 v15, v7
	v_dual_max_f32 v25, v0, v0 :: v_dual_mov_b32 v14, v6
	v_mov_b32_e32 v8, v0
	v_dual_add_f32 v26, 0x40051340, v24 :: v_dual_mov_b32 v13, v5
	v_dual_mov_b32 v12, v4 :: v_dual_mov_b32 v11, v3
	v_dual_mov_b32 v10, v2 :: v_dual_mov_b32 v9, v1
	s_delay_alu instid0(VALU_DEP_3)
	v_max_f32_e32 v8, v25, v26
.LBB52_75:
	s_or_b32 exec_lo, exec_lo, s4
	v_xor_b32_e32 v163, 16, v125
	v_xor_b32_e32 v162, 8, v125
	v_xor_b32_e32 v112, 4, v125
	v_xor_b32_e32 v111, 2, v125
	v_xor_b32_e32 v110, 1, v125
	v_cmp_gt_i32_e32 vcc_lo, 32, v163
	v_mov_b32_e32 v109, 32
	v_cndmask_b32_e32 v25, v125, v163, vcc_lo
	v_cmp_gt_i32_e32 vcc_lo, 32, v162
	v_cndmask_b32_e32 v26, v125, v162, vcc_lo
	v_cmp_gt_i32_e32 vcc_lo, 32, v112
	s_delay_alu instid0(VALU_DEP_2) | instskip(SKIP_2) | instid1(VALU_DEP_2)
	v_lshlrev_b32_e32 v30, 2, v26
	v_cndmask_b32_e32 v26, v125, v112, vcc_lo
	v_cmp_gt_i32_e32 vcc_lo, 32, v111
	v_dual_cndmask_b32 v26, v125, v111 :: v_dual_lshlrev_b32 v29, 2, v26
	v_cmp_gt_i32_e32 vcc_lo, 32, v110
	v_lshlrev_b32_e32 v28, 2, v25
	s_delay_alu instid0(VALU_DEP_3) | instskip(SKIP_4) | instid1(VALU_DEP_1)
	v_lshlrev_b32_e32 v26, 2, v26
	v_cndmask_b32_e32 v31, v125, v110, vcc_lo
	ds_bpermute_b32 v25, v28, v8
	s_waitcnt lgkmcnt(0)
	v_dual_max_f32 v8, v8, v8 :: v_dual_max_f32 v25, v25, v25
	v_max_f32_e32 v8, v8, v25
	ds_bpermute_b32 v25, v30, v8
	s_waitcnt lgkmcnt(0)
	v_max_f32_e32 v25, v25, v25
	s_delay_alu instid0(VALU_DEP_1) | instskip(SKIP_3) | instid1(VALU_DEP_1)
	v_max_f32_e32 v8, v8, v25
	ds_bpermute_b32 v25, v29, v8
	s_waitcnt lgkmcnt(0)
	v_max_f32_e32 v25, v25, v25
	v_max_f32_e32 v8, v8, v25
	ds_bpermute_b32 v25, v26, v8
	s_waitcnt lgkmcnt(0)
	v_dual_max_f32 v32, v25, v25 :: v_dual_lshlrev_b32 v25, 2, v31
	s_delay_alu instid0(VALU_DEP_1) | instskip(SKIP_3) | instid1(VALU_DEP_1)
	v_max_f32_e32 v8, v8, v32
	ds_bpermute_b32 v31, v25, v8
	s_waitcnt lgkmcnt(0)
	v_max_f32_e32 v31, v31, v31
	v_max_f32_e32 v8, v8, v31
	s_and_saveexec_b32 s4, s3
	s_cbranch_execz .LBB52_80
; %bb.76:
	v_cmp_ne_u32_e32 vcc_lo, 1, v27
	s_cbranch_vccnz .LBB52_78
; %bb.77:
	v_or_b32_e32 v31, 1, v123
	s_delay_alu instid0(VALU_DEP_1) | instskip(NEXT) | instid1(VALU_DEP_1)
	v_mul_hi_u32 v32, s36, v31
	v_add_nc_u32_e32 v32, v31, v32
	s_delay_alu instid0(VALU_DEP_1) | instskip(NEXT) | instid1(VALU_DEP_1)
	v_lshrrev_b32_e32 v32, s37, v32
	v_mul_lo_u32 v32, v32, s38
	s_delay_alu instid0(VALU_DEP_1) | instskip(NEXT) | instid1(VALU_DEP_1)
	v_sub_nc_u32_e32 v33, v31, v32
	v_mad_u64_u32 v[31:32], null, v33, s50, v[17:18]
	s_delay_alu instid0(VALU_DEP_1) | instskip(NEXT) | instid1(VALU_DEP_1)
	v_ashrrev_i32_e32 v32, 31, v31
	v_lshlrev_b64 v[31:32], 1, v[31:32]
	s_delay_alu instid0(VALU_DEP_1) | instskip(NEXT) | instid1(VALU_DEP_2)
	v_add_co_u32 v31, vcc_lo, s40, v31
	v_add_co_ci_u32_e32 v32, vcc_lo, s41, v32, vcc_lo
	flat_load_u16 v31, v[31:32]
	s_waitcnt vmcnt(0) lgkmcnt(0)
	v_cvt_f32_f16_e32 v31, v31
	s_delay_alu instid0(VALU_DEP_1)
	v_mul_f32_e32 v31, v144, v31
	s_branch .LBB52_79
.LBB52_78:
	v_mov_b32_e32 v31, 0
.LBB52_79:
	s_delay_alu instid0(VALU_DEP_1) | instskip(SKIP_1) | instid1(VALU_DEP_2)
	v_add_f32_e32 v23, v23, v31
	v_max_f32_e32 v9, v9, v9
	v_add_f32_e32 v31, 0x40051340, v23
	s_delay_alu instid0(VALU_DEP_1)
	v_max_f32_e32 v9, v9, v31
.LBB52_80:
	s_or_b32 exec_lo, exec_lo, s4
	ds_bpermute_b32 v31, v28, v9
	v_max_f32_e32 v9, v9, v9
	s_waitcnt lgkmcnt(0)
	v_max_f32_e32 v31, v31, v31
	s_delay_alu instid0(VALU_DEP_1) | instskip(SKIP_3) | instid1(VALU_DEP_1)
	v_max_f32_e32 v9, v9, v31
	ds_bpermute_b32 v31, v30, v9
	s_waitcnt lgkmcnt(0)
	v_max_f32_e32 v31, v31, v31
	v_max_f32_e32 v9, v9, v31
	ds_bpermute_b32 v31, v29, v9
	s_waitcnt lgkmcnt(0)
	v_max_f32_e32 v31, v31, v31
	s_delay_alu instid0(VALU_DEP_1) | instskip(SKIP_3) | instid1(VALU_DEP_1)
	v_max_f32_e32 v9, v9, v31
	ds_bpermute_b32 v31, v26, v9
	s_waitcnt lgkmcnt(0)
	v_max_f32_e32 v31, v31, v31
	v_max_f32_e32 v9, v9, v31
	ds_bpermute_b32 v31, v25, v9
	s_waitcnt lgkmcnt(0)
	v_max_f32_e32 v31, v31, v31
	s_delay_alu instid0(VALU_DEP_1)
	v_max_f32_e32 v9, v9, v31
	s_and_saveexec_b32 s4, s3
	s_cbranch_execz .LBB52_85
; %bb.81:
	v_cmp_ne_u32_e32 vcc_lo, 1, v27
	s_cbranch_vccnz .LBB52_83
; %bb.82:
	v_or_b32_e32 v31, 2, v123
	s_delay_alu instid0(VALU_DEP_1) | instskip(NEXT) | instid1(VALU_DEP_1)
	v_mul_hi_u32 v32, s36, v31
	v_add_nc_u32_e32 v32, v31, v32
	s_delay_alu instid0(VALU_DEP_1) | instskip(NEXT) | instid1(VALU_DEP_1)
	v_lshrrev_b32_e32 v32, s37, v32
	v_mul_lo_u32 v32, v32, s38
	s_delay_alu instid0(VALU_DEP_1) | instskip(NEXT) | instid1(VALU_DEP_1)
	v_sub_nc_u32_e32 v33, v31, v32
	v_mad_u64_u32 v[31:32], null, v33, s50, v[17:18]
	s_delay_alu instid0(VALU_DEP_1) | instskip(NEXT) | instid1(VALU_DEP_1)
	v_ashrrev_i32_e32 v32, 31, v31
	v_lshlrev_b64 v[31:32], 1, v[31:32]
	s_delay_alu instid0(VALU_DEP_1) | instskip(NEXT) | instid1(VALU_DEP_2)
	v_add_co_u32 v31, vcc_lo, s40, v31
	v_add_co_ci_u32_e32 v32, vcc_lo, s41, v32, vcc_lo
	flat_load_u16 v31, v[31:32]
	s_waitcnt vmcnt(0) lgkmcnt(0)
	v_cvt_f32_f16_e32 v31, v31
	s_delay_alu instid0(VALU_DEP_1)
	v_mul_f32_e32 v31, v144, v31
	s_branch .LBB52_84
.LBB52_83:
	v_mov_b32_e32 v31, 0
.LBB52_84:
	s_delay_alu instid0(VALU_DEP_1) | instskip(SKIP_1) | instid1(VALU_DEP_2)
	v_add_f32_e32 v22, v22, v31
	v_max_f32_e32 v10, v10, v10
	v_add_f32_e32 v31, 0x40051340, v22
	s_delay_alu instid0(VALU_DEP_1)
	v_max_f32_e32 v10, v10, v31
.LBB52_85:
	s_or_b32 exec_lo, exec_lo, s4
	ds_bpermute_b32 v31, v28, v10
	s_waitcnt lgkmcnt(0)
	v_dual_max_f32 v10, v10, v10 :: v_dual_max_f32 v31, v31, v31
	s_delay_alu instid0(VALU_DEP_1) | instskip(SKIP_3) | instid1(VALU_DEP_1)
	v_max_f32_e32 v10, v10, v31
	ds_bpermute_b32 v31, v30, v10
	s_waitcnt lgkmcnt(0)
	v_max_f32_e32 v31, v31, v31
	v_max_f32_e32 v10, v10, v31
	ds_bpermute_b32 v31, v29, v10
	s_waitcnt lgkmcnt(0)
	v_max_f32_e32 v31, v31, v31
	s_delay_alu instid0(VALU_DEP_1) | instskip(SKIP_3) | instid1(VALU_DEP_1)
	v_max_f32_e32 v10, v10, v31
	ds_bpermute_b32 v31, v26, v10
	s_waitcnt lgkmcnt(0)
	v_max_f32_e32 v31, v31, v31
	v_max_f32_e32 v10, v10, v31
	ds_bpermute_b32 v31, v25, v10
	s_waitcnt lgkmcnt(0)
	v_max_f32_e32 v31, v31, v31
	s_delay_alu instid0(VALU_DEP_1)
	v_max_f32_e32 v10, v10, v31
	s_and_saveexec_b32 s4, s3
	s_cbranch_execz .LBB52_90
; %bb.86:
	v_cmp_ne_u32_e32 vcc_lo, 1, v27
	s_cbranch_vccnz .LBB52_88
; %bb.87:
	v_or_b32_e32 v31, 3, v123
	s_delay_alu instid0(VALU_DEP_1) | instskip(NEXT) | instid1(VALU_DEP_1)
	v_mul_hi_u32 v32, s36, v31
	v_add_nc_u32_e32 v32, v31, v32
	s_delay_alu instid0(VALU_DEP_1) | instskip(NEXT) | instid1(VALU_DEP_1)
	v_lshrrev_b32_e32 v32, s37, v32
	v_mul_lo_u32 v32, v32, s38
	s_delay_alu instid0(VALU_DEP_1) | instskip(NEXT) | instid1(VALU_DEP_1)
	v_sub_nc_u32_e32 v33, v31, v32
	v_mad_u64_u32 v[31:32], null, v33, s50, v[17:18]
	s_delay_alu instid0(VALU_DEP_1) | instskip(NEXT) | instid1(VALU_DEP_1)
	v_ashrrev_i32_e32 v32, 31, v31
	v_lshlrev_b64 v[31:32], 1, v[31:32]
	s_delay_alu instid0(VALU_DEP_1) | instskip(NEXT) | instid1(VALU_DEP_2)
	v_add_co_u32 v31, vcc_lo, s40, v31
	v_add_co_ci_u32_e32 v32, vcc_lo, s41, v32, vcc_lo
	flat_load_u16 v31, v[31:32]
	s_waitcnt vmcnt(0) lgkmcnt(0)
	v_cvt_f32_f16_e32 v31, v31
	s_delay_alu instid0(VALU_DEP_1)
	v_mul_f32_e32 v31, v144, v31
	s_branch .LBB52_89
.LBB52_88:
	v_mov_b32_e32 v31, 0
.LBB52_89:
	s_delay_alu instid0(VALU_DEP_1) | instskip(SKIP_1) | instid1(VALU_DEP_2)
	v_add_f32_e32 v21, v21, v31
	v_max_f32_e32 v11, v11, v11
	v_add_f32_e32 v31, 0x40051340, v21
	s_delay_alu instid0(VALU_DEP_1)
	v_max_f32_e32 v11, v11, v31
.LBB52_90:
	s_or_b32 exec_lo, exec_lo, s4
	ds_bpermute_b32 v31, v28, v11
	v_max_f32_e32 v11, v11, v11
	s_waitcnt lgkmcnt(0)
	v_max_f32_e32 v31, v31, v31
	s_delay_alu instid0(VALU_DEP_1) | instskip(SKIP_3) | instid1(VALU_DEP_1)
	v_max_f32_e32 v11, v11, v31
	ds_bpermute_b32 v31, v30, v11
	s_waitcnt lgkmcnt(0)
	v_max_f32_e32 v31, v31, v31
	v_max_f32_e32 v11, v11, v31
	ds_bpermute_b32 v31, v29, v11
	s_waitcnt lgkmcnt(0)
	v_max_f32_e32 v31, v31, v31
	s_delay_alu instid0(VALU_DEP_1) | instskip(SKIP_3) | instid1(VALU_DEP_1)
	v_max_f32_e32 v11, v11, v31
	ds_bpermute_b32 v31, v26, v11
	s_waitcnt lgkmcnt(0)
	v_max_f32_e32 v31, v31, v31
	v_max_f32_e32 v11, v11, v31
	ds_bpermute_b32 v31, v25, v11
	s_waitcnt lgkmcnt(0)
	v_max_f32_e32 v31, v31, v31
	s_delay_alu instid0(VALU_DEP_1)
	v_max_f32_e32 v11, v11, v31
	s_and_saveexec_b32 s4, s3
	s_cbranch_execz .LBB52_95
; %bb.91:
	v_cmp_ne_u32_e32 vcc_lo, 1, v27
	s_cbranch_vccnz .LBB52_93
; %bb.92:
	v_or_b32_e32 v31, 4, v123
	s_delay_alu instid0(VALU_DEP_1) | instskip(NEXT) | instid1(VALU_DEP_1)
	v_mul_hi_u32 v32, s36, v31
	v_add_nc_u32_e32 v32, v31, v32
	s_delay_alu instid0(VALU_DEP_1) | instskip(NEXT) | instid1(VALU_DEP_1)
	v_lshrrev_b32_e32 v32, s37, v32
	v_mul_lo_u32 v32, v32, s38
	s_delay_alu instid0(VALU_DEP_1) | instskip(NEXT) | instid1(VALU_DEP_1)
	v_sub_nc_u32_e32 v33, v31, v32
	v_mad_u64_u32 v[31:32], null, v33, s50, v[17:18]
	s_delay_alu instid0(VALU_DEP_1) | instskip(NEXT) | instid1(VALU_DEP_1)
	v_ashrrev_i32_e32 v32, 31, v31
	v_lshlrev_b64 v[31:32], 1, v[31:32]
	s_delay_alu instid0(VALU_DEP_1) | instskip(NEXT) | instid1(VALU_DEP_2)
	v_add_co_u32 v31, vcc_lo, s40, v31
	v_add_co_ci_u32_e32 v32, vcc_lo, s41, v32, vcc_lo
	flat_load_u16 v31, v[31:32]
	s_waitcnt vmcnt(0) lgkmcnt(0)
	v_cvt_f32_f16_e32 v31, v31
	s_delay_alu instid0(VALU_DEP_1)
	v_mul_f32_e32 v31, v144, v31
	s_branch .LBB52_94
.LBB52_93:
	v_mov_b32_e32 v31, 0
.LBB52_94:
	s_delay_alu instid0(VALU_DEP_1) | instskip(NEXT) | instid1(VALU_DEP_1)
	v_add_f32_e32 v18, v18, v31
	v_dual_max_f32 v12, v12, v12 :: v_dual_add_f32 v31, 0x40051340, v18
	s_delay_alu instid0(VALU_DEP_1)
	v_max_f32_e32 v12, v12, v31
.LBB52_95:
	s_or_b32 exec_lo, exec_lo, s4
	ds_bpermute_b32 v31, v28, v12
	s_waitcnt lgkmcnt(0)
	v_dual_max_f32 v12, v12, v12 :: v_dual_max_f32 v31, v31, v31
	s_delay_alu instid0(VALU_DEP_1) | instskip(SKIP_3) | instid1(VALU_DEP_1)
	v_max_f32_e32 v12, v12, v31
	ds_bpermute_b32 v31, v30, v12
	s_waitcnt lgkmcnt(0)
	v_max_f32_e32 v31, v31, v31
	v_max_f32_e32 v12, v12, v31
	ds_bpermute_b32 v31, v29, v12
	s_waitcnt lgkmcnt(0)
	v_max_f32_e32 v31, v31, v31
	s_delay_alu instid0(VALU_DEP_1) | instskip(SKIP_3) | instid1(VALU_DEP_1)
	v_max_f32_e32 v12, v12, v31
	ds_bpermute_b32 v31, v26, v12
	s_waitcnt lgkmcnt(0)
	v_max_f32_e32 v31, v31, v31
	v_max_f32_e32 v12, v12, v31
	ds_bpermute_b32 v31, v25, v12
	s_waitcnt lgkmcnt(0)
	v_max_f32_e32 v31, v31, v31
	s_delay_alu instid0(VALU_DEP_1)
	v_max_f32_e32 v12, v12, v31
	s_and_saveexec_b32 s4, s3
	s_cbranch_execz .LBB52_100
; %bb.96:
	v_cmp_ne_u32_e32 vcc_lo, 1, v27
	s_cbranch_vccnz .LBB52_98
; %bb.97:
	v_or_b32_e32 v31, 5, v123
	s_delay_alu instid0(VALU_DEP_1) | instskip(NEXT) | instid1(VALU_DEP_1)
	v_mul_hi_u32 v32, s36, v31
	v_add_nc_u32_e32 v32, v31, v32
	s_delay_alu instid0(VALU_DEP_1) | instskip(NEXT) | instid1(VALU_DEP_1)
	v_lshrrev_b32_e32 v32, s37, v32
	v_mul_lo_u32 v32, v32, s38
	s_delay_alu instid0(VALU_DEP_1) | instskip(NEXT) | instid1(VALU_DEP_1)
	v_sub_nc_u32_e32 v33, v31, v32
	v_mad_u64_u32 v[31:32], null, v33, s50, v[17:18]
	s_delay_alu instid0(VALU_DEP_1) | instskip(NEXT) | instid1(VALU_DEP_1)
	v_ashrrev_i32_e32 v32, 31, v31
	v_lshlrev_b64 v[31:32], 1, v[31:32]
	s_delay_alu instid0(VALU_DEP_1) | instskip(NEXT) | instid1(VALU_DEP_2)
	v_add_co_u32 v31, vcc_lo, s40, v31
	v_add_co_ci_u32_e32 v32, vcc_lo, s41, v32, vcc_lo
	flat_load_u16 v31, v[31:32]
	s_waitcnt vmcnt(0) lgkmcnt(0)
	v_cvt_f32_f16_e32 v31, v31
	s_delay_alu instid0(VALU_DEP_1)
	v_mul_f32_e32 v31, v144, v31
	s_branch .LBB52_99
.LBB52_98:
	v_mov_b32_e32 v31, 0
.LBB52_99:
	s_delay_alu instid0(VALU_DEP_1) | instskip(NEXT) | instid1(VALU_DEP_1)
	v_dual_add_f32 v20, v20, v31 :: v_dual_max_f32 v13, v13, v13
	v_add_f32_e32 v31, 0x40051340, v20
	s_delay_alu instid0(VALU_DEP_1)
	v_max_f32_e32 v13, v13, v31
.LBB52_100:
	s_or_b32 exec_lo, exec_lo, s4
	ds_bpermute_b32 v31, v28, v13
	v_max_f32_e32 v13, v13, v13
	s_waitcnt lgkmcnt(0)
	v_max_f32_e32 v31, v31, v31
	s_delay_alu instid0(VALU_DEP_1) | instskip(SKIP_3) | instid1(VALU_DEP_1)
	v_max_f32_e32 v13, v13, v31
	ds_bpermute_b32 v31, v30, v13
	s_waitcnt lgkmcnt(0)
	v_max_f32_e32 v31, v31, v31
	v_max_f32_e32 v13, v13, v31
	ds_bpermute_b32 v31, v29, v13
	s_waitcnt lgkmcnt(0)
	v_max_f32_e32 v31, v31, v31
	s_delay_alu instid0(VALU_DEP_1) | instskip(SKIP_3) | instid1(VALU_DEP_1)
	v_max_f32_e32 v13, v13, v31
	ds_bpermute_b32 v31, v26, v13
	s_waitcnt lgkmcnt(0)
	v_max_f32_e32 v31, v31, v31
	v_max_f32_e32 v13, v13, v31
	ds_bpermute_b32 v31, v25, v13
	s_waitcnt lgkmcnt(0)
	v_max_f32_e32 v31, v31, v31
	s_delay_alu instid0(VALU_DEP_1)
	v_max_f32_e32 v13, v13, v31
	s_and_saveexec_b32 s4, s3
	s_cbranch_execz .LBB52_105
; %bb.101:
	v_cmp_ne_u32_e32 vcc_lo, 1, v27
	s_cbranch_vccnz .LBB52_103
; %bb.102:
	v_or_b32_e32 v31, 6, v123
	s_delay_alu instid0(VALU_DEP_1) | instskip(NEXT) | instid1(VALU_DEP_1)
	v_mul_hi_u32 v32, s36, v31
	v_add_nc_u32_e32 v32, v31, v32
	s_delay_alu instid0(VALU_DEP_1) | instskip(NEXT) | instid1(VALU_DEP_1)
	v_lshrrev_b32_e32 v32, s37, v32
	v_mul_lo_u32 v32, v32, s38
	s_delay_alu instid0(VALU_DEP_1) | instskip(NEXT) | instid1(VALU_DEP_1)
	v_sub_nc_u32_e32 v33, v31, v32
	v_mad_u64_u32 v[31:32], null, v33, s50, v[17:18]
	s_delay_alu instid0(VALU_DEP_1) | instskip(NEXT) | instid1(VALU_DEP_1)
	v_ashrrev_i32_e32 v32, 31, v31
	v_lshlrev_b64 v[31:32], 1, v[31:32]
	s_delay_alu instid0(VALU_DEP_1) | instskip(NEXT) | instid1(VALU_DEP_2)
	v_add_co_u32 v31, vcc_lo, s40, v31
	v_add_co_ci_u32_e32 v32, vcc_lo, s41, v32, vcc_lo
	flat_load_u16 v31, v[31:32]
	s_waitcnt vmcnt(0) lgkmcnt(0)
	v_cvt_f32_f16_e32 v31, v31
	s_delay_alu instid0(VALU_DEP_1)
	v_mul_f32_e32 v31, v144, v31
	s_branch .LBB52_104
.LBB52_103:
	v_mov_b32_e32 v31, 0
.LBB52_104:
	s_delay_alu instid0(VALU_DEP_1) | instskip(NEXT) | instid1(VALU_DEP_1)
	v_dual_add_f32 v19, v19, v31 :: v_dual_max_f32 v14, v14, v14
	v_add_f32_e32 v31, 0x40051340, v19
	s_delay_alu instid0(VALU_DEP_1)
	v_max_f32_e32 v14, v14, v31
.LBB52_105:
	s_or_b32 exec_lo, exec_lo, s4
	ds_bpermute_b32 v31, v28, v14
	s_waitcnt lgkmcnt(0)
	v_dual_max_f32 v14, v14, v14 :: v_dual_max_f32 v31, v31, v31
	s_delay_alu instid0(VALU_DEP_1) | instskip(SKIP_3) | instid1(VALU_DEP_1)
	v_max_f32_e32 v14, v14, v31
	ds_bpermute_b32 v31, v30, v14
	s_waitcnt lgkmcnt(0)
	v_max_f32_e32 v31, v31, v31
	v_max_f32_e32 v14, v14, v31
	ds_bpermute_b32 v31, v29, v14
	s_waitcnt lgkmcnt(0)
	v_max_f32_e32 v31, v31, v31
	s_delay_alu instid0(VALU_DEP_1) | instskip(SKIP_3) | instid1(VALU_DEP_1)
	v_max_f32_e32 v14, v14, v31
	ds_bpermute_b32 v31, v26, v14
	s_waitcnt lgkmcnt(0)
	v_max_f32_e32 v31, v31, v31
	v_max_f32_e32 v14, v14, v31
	ds_bpermute_b32 v31, v25, v14
	s_waitcnt lgkmcnt(0)
	v_max_f32_e32 v31, v31, v31
	s_delay_alu instid0(VALU_DEP_1)
	v_max_f32_e32 v14, v14, v31
	s_and_saveexec_b32 s4, s3
	s_cbranch_execz .LBB52_110
; %bb.106:
	v_cmp_ne_u32_e32 vcc_lo, 1, v27
	s_cbranch_vccnz .LBB52_108
; %bb.107:
	v_or_b32_e32 v27, 7, v123
	s_delay_alu instid0(VALU_DEP_1) | instskip(NEXT) | instid1(VALU_DEP_1)
	v_mul_hi_u32 v31, s36, v27
	v_add_nc_u32_e32 v31, v27, v31
	s_delay_alu instid0(VALU_DEP_1) | instskip(NEXT) | instid1(VALU_DEP_1)
	v_lshrrev_b32_e32 v31, s37, v31
	v_mul_lo_u32 v31, v31, s38
	s_delay_alu instid0(VALU_DEP_1) | instskip(NEXT) | instid1(VALU_DEP_1)
	v_sub_nc_u32_e32 v27, v27, v31
	v_mad_u64_u32 v[31:32], null, v27, s50, v[17:18]
	s_delay_alu instid0(VALU_DEP_1) | instskip(NEXT) | instid1(VALU_DEP_1)
	v_ashrrev_i32_e32 v32, 31, v31
	v_lshlrev_b64 v[31:32], 1, v[31:32]
	s_delay_alu instid0(VALU_DEP_1) | instskip(NEXT) | instid1(VALU_DEP_2)
	v_add_co_u32 v31, vcc_lo, s40, v31
	v_add_co_ci_u32_e32 v32, vcc_lo, s41, v32, vcc_lo
	flat_load_u16 v17, v[31:32]
	s_waitcnt vmcnt(0) lgkmcnt(0)
	v_cvt_f32_f16_e32 v17, v17
	s_delay_alu instid0(VALU_DEP_1)
	v_mul_f32_e32 v17, v144, v17
	s_branch .LBB52_109
.LBB52_108:
	v_mov_b32_e32 v17, 0
.LBB52_109:
	s_delay_alu instid0(VALU_DEP_1) | instskip(NEXT) | instid1(VALU_DEP_1)
	v_dual_add_f32 v16, v16, v17 :: v_dual_max_f32 v15, v15, v15
	v_add_f32_e32 v17, 0x40051340, v16
	s_delay_alu instid0(VALU_DEP_1)
	v_max_f32_e32 v15, v15, v17
.LBB52_110:
	s_or_b32 exec_lo, exec_lo, s4
	ds_bpermute_b32 v17, v28, v15
	v_dual_max_f32 v15, v15, v15 :: v_dual_sub_f32 v24, v24, v8
	v_dual_sub_f32 v27, v21, v11 :: v_dual_sub_f32 v28, v20, v13
	s_mul_hi_i32 s5, s49, s43
	s_mul_i32 s4, s49, s43
	s_delay_alu instid0(VALU_DEP_2)
	v_cmp_ngt_f32_e64 s3, 0xc2ce8ed0, v24
	s_lshl_b64 s[6:7], s[4:5], 2
	v_lshl_add_u32 v165, v139, 4, v148
	s_mov_b64 s[12:13], src_private_base
	s_waitcnt lgkmcnt(0)
	s_barrier
	buffer_gl0_inv
	v_mul_u32_u24_e32 v21, 0xa0, v165
	v_mul_lo_u32 v20, s43, v165
	v_cmp_gt_u32_e32 vcc_lo, 16, v165
	v_sub_f32_e32 v22, v22, v10
	v_dual_sub_f32 v18, v18, v12 :: v_dual_sub_f32 v23, v23, v9
	v_max_f32_e32 v17, v17, v17
	v_lshl_or_b32 v50, v147, 2, v21
	s_delay_alu instid0(VALU_DEP_4) | instskip(NEXT) | instid1(VALU_DEP_4)
	v_mul_f32_e32 v32, 0x3fb8aa3b, v22
	v_mul_f32_e32 v34, 0x3fb8aa3b, v18
	v_cmp_nlt_f32_e64 s4, 0x42b17218, v23
	v_max_f32_e32 v15, v15, v17
	v_ashrrev_i32_e32 v21, 31, v20
	v_add_nc_u32_e32 v166, 0x3880, v50
	v_fma_f32 v44, 0x3fb8aa3b, v18, -v34
	v_rndne_f32_e32 v45, v34
	ds_bpermute_b32 v17, v30, v15
	v_mul_f32_e32 v30, 0x3fb8aa3b, v24
	v_lshlrev_b64 v[105:106], 2, v[20:21]
	v_fma_f32 v40, 0x3fb8aa3b, v22, -v32
	v_rndne_f32_e32 v41, v32
	v_mul_f32_e32 v33, 0x3fb8aa3b, v27
	v_rndne_f32_e32 v37, v30
	v_dual_sub_f32 v19, v19, v14 :: v_dual_sub_f32 v34, v34, v45
	s_delay_alu instid0(VALU_DEP_4) | instskip(NEXT) | instid1(VALU_DEP_4)
	v_sub_f32_e32 v32, v32, v41
	v_fma_f32 v42, 0x3fb8aa3b, v27, -v33
	v_rndne_f32_e32 v43, v33
	v_cvt_i32_f32_e32 v41, v41
	v_fmac_f32_e32 v40, 0x32a5705f, v22
	v_fmac_f32_e32 v44, 0x32a5705f, v18
	;; [unrolled: 1-line block ×3, first 2 shown]
	v_sub_f32_e32 v33, v33, v43
	v_lshlrev_b32_e32 v147, 2, v147
	s_waitcnt lgkmcnt(0)
	v_max_f32_e32 v17, v17, v17
	s_delay_alu instid0(VALU_DEP_1) | instskip(SKIP_4) | instid1(VALU_DEP_1)
	v_max_f32_e32 v15, v15, v17
	ds_bpermute_b32 v17, v29, v15
	v_lshl_add_u32 v29, v119, 4, v126
	s_waitcnt lgkmcnt(0)
	v_max_f32_e32 v17, v17, v17
	v_max_f32_e32 v15, v15, v17
	v_fma_f32 v17, 0x3fb8aa3b, v24, -v30
	v_dual_sub_f32 v30, v30, v37 :: v_dual_mul_f32 v35, 0x3fb8aa3b, v28
	v_mul_f32_e32 v36, 0x3fb8aa3b, v19
	ds_bpermute_b32 v26, v26, v15
	v_mul_f32_e32 v31, 0x3fb8aa3b, v23
	v_fmac_f32_e32 v17, 0x32a5705f, v24
	v_fma_f32 v46, 0x3fb8aa3b, v28, -v35
	v_fma_f32 v48, 0x3fb8aa3b, v19, -v36
	v_rndne_f32_e32 v47, v35
	v_cvt_i32_f32_e32 v37, v37
	s_delay_alu instid0(VALU_DEP_4) | instskip(NEXT) | instid1(VALU_DEP_4)
	v_dual_add_f32 v17, v30, v17 :: v_dual_fmac_f32 v46, 0x32a5705f, v28
	v_fmac_f32_e32 v48, 0x32a5705f, v19
	v_rndne_f32_e32 v49, v36
	v_sub_f32_e32 v35, v35, v47
	s_delay_alu instid0(VALU_DEP_4) | instskip(NEXT) | instid1(VALU_DEP_2)
	v_exp_f32_e32 v17, v17
	v_sub_f32_e32 v36, v36, v49
	s_waitcnt lgkmcnt(0)
	v_max_f32_e32 v26, v26, v26
	v_fma_f32 v38, 0x3fb8aa3b, v23, -v31
	v_rndne_f32_e32 v39, v31
	s_waitcnt_depctr 0xfff
	v_ldexp_f32 v17, v17, v37
	v_dual_max_f32 v15, v15, v26 :: v_dual_fmac_f32 v38, 0x32a5705f, v23
	v_sub_f32_e32 v31, v31, v39
	v_cvt_i32_f32_e32 v39, v39
	s_delay_alu instid0(VALU_DEP_4)
	v_cndmask_b32_e64 v17, 0, v17, s3
	ds_bpermute_b32 v25, v25, v15
	v_cmp_ngt_f32_e64 s3, 0xc2ce8ed0, v23
	v_dual_add_f32 v30, v31, v38 :: v_dual_add_f32 v31, v32, v40
	v_dual_add_f32 v32, v33, v42 :: v_dual_add_f32 v33, v34, v44
	;; [unrolled: 1-line block ×3, first 2 shown]
	s_delay_alu instid0(VALU_DEP_3) | instskip(NEXT) | instid1(VALU_DEP_3)
	v_exp_f32_e32 v30, v30
	v_exp_f32_e32 v31, v31
	s_delay_alu instid0(VALU_DEP_2)
	v_exp_f32_e32 v32, v32
	v_cvt_i32_f32_e32 v26, v43
	v_exp_f32_e32 v33, v33
	v_exp_f32_e32 v34, v34
	v_cvt_i32_f32_e32 v43, v45
	v_cvt_i32_f32_e32 v36, v47
	v_exp_f32_e32 v35, v35
	v_cvt_i32_f32_e32 v38, v49
	v_ldexp_f32 v30, v30, v39
	v_ldexp_f32 v31, v31, v41
	s_waitcnt lgkmcnt(0)
	v_max_f32_e32 v25, v25, v25
	s_delay_alu instid0(VALU_DEP_3) | instskip(SKIP_1) | instid1(VALU_DEP_3)
	v_cndmask_b32_e64 v30, 0, v30, s3
	v_cmp_ngt_f32_e64 s3, 0xc2ce8ed0, v22
	v_max_f32_e32 v15, v15, v25
	v_ldexp_f32 v25, v32, v26
	v_ldexp_f32 v26, v33, v43
	;; [unrolled: 1-line block ×3, first 2 shown]
	v_cndmask_b32_e64 v31, 0, v31, s3
	v_sub_f32_e32 v16, v16, v15
	v_cmp_ngt_f32_e64 s3, 0xc2ce8ed0, v27
	v_ldexp_f32 v33, v35, v38
	v_cndmask_b32_e64 v23, 0x7f800000, v30, s4
	v_cmp_nlt_f32_e64 s4, 0x42b17218, v22
	v_mul_f32_e32 v34, 0x3fb8aa3b, v16
	v_cndmask_b32_e64 v25, 0, v25, s3
	v_cmp_ngt_f32_e64 s3, 0xc2ce8ed0, v18
	s_delay_alu instid0(VALU_DEP_4) | instskip(NEXT) | instid1(VALU_DEP_4)
	v_cndmask_b32_e64 v22, 0x7f800000, v31, s4
	v_fma_f32 v35, 0x3fb8aa3b, v16, -v34
	v_rndne_f32_e32 v36, v34
	s_delay_alu instid0(VALU_DEP_4) | instskip(SKIP_4) | instid1(VALU_DEP_4)
	v_cndmask_b32_e64 v26, 0, v26, s3
	v_cmp_ngt_f32_e64 s3, 0xc2ce8ed0, v28
	v_cmp_nlt_f32_e64 s4, 0x42b17218, v27
	v_fmac_f32_e32 v35, 0x32a5705f, v16
	v_sub_f32_e32 v34, v34, v36
	v_cndmask_b32_e64 v32, 0, v32, s3
	v_cmp_ngt_f32_e64 s3, 0xc2ce8ed0, v19
	v_cndmask_b32_e64 v25, 0x7f800000, v25, s4
	v_cmp_nlt_f32_e64 s4, 0x42b17218, v18
	s_delay_alu instid0(VALU_DEP_3) | instskip(SKIP_2) | instid1(VALU_DEP_4)
	v_cndmask_b32_e64 v33, 0, v33, s3
	v_cmp_nlt_f32_e64 s3, 0x42b17218, v24
	v_add_f32_e32 v24, v34, v35
	v_cndmask_b32_e64 v18, 0x7f800000, v26, s4
	v_cmp_nlt_f32_e64 s4, 0x42b17218, v28
	v_cvt_i32_f32_e32 v26, v36
	v_cndmask_b32_e64 v17, 0x7f800000, v17, s3
	v_exp_f32_e32 v24, v24
	v_cmp_gt_u32_e64 s3, s15, v119
	v_cndmask_b32_e64 v27, 0x7f800000, v32, s4
	v_cmp_nlt_f32_e64 s4, 0x42b17218, v19
	s_delay_alu instid0(VALU_DEP_3) | instskip(SKIP_1) | instid1(VALU_DEP_3)
	v_cndmask_b32_e64 v144, 0, v17, s3
	v_cndmask_b32_e64 v148, 0, v23, s3
	;; [unrolled: 1-line block ×3, first 2 shown]
	v_cmp_ngt_f32_e64 s4, 0xc2ce8ed0, v16
	s_delay_alu instid0(TRANS32_DEP_1)
	v_ldexp_f32 v24, v24, v26
	v_cndmask_b32_e64 v149, 0, v22, s3
	v_cndmask_b32_e64 v150, 0, v25, s3
	v_cndmask_b32_e64 v159, 0, v18, s3
	v_cndmask_b32_e64 v160, 0, v27, s3
	v_cndmask_b32_e64 v17, 0, v24, s4
	v_cmp_nlt_f32_e64 s4, 0x42b17218, v16
	v_cndmask_b32_e64 v161, 0, v19, s3
	v_cvt_f16_f32_e64 v19, v144
	v_cvt_f16_f32_e64 v22, v148
	;; [unrolled: 1-line block ×3, first 2 shown]
	v_cndmask_b32_e64 v16, 0x7f800000, v17, s4
	v_cvt_f16_f32_e64 v17, v149
	v_cvt_f16_f32_e64 v23, v150
	;; [unrolled: 1-line block ×3, first 2 shown]
	s_add_u32 s4, s47, s6
	v_cndmask_b32_e64 v164, 0, v16, s3
	v_cvt_f16_f32_e64 v16, v159
	v_pack_b32_f16 v17, v17, v23
	s_addc_u32 s5, s48, s7
	s_delay_alu instid0(VALU_DEP_3) | instskip(NEXT) | instid1(VALU_DEP_3)
	v_cvt_f16_f32_e64 v25, v164
	v_pack_b32_f16 v18, v16, v18
	v_pack_b32_f16 v16, v19, v22
	s_delay_alu instid0(VALU_DEP_3)
	v_pack_b32_f16 v19, v24, v25
	ds_store_b128 v29, v[16:19]
	s_and_saveexec_b32 s6, vcc_lo
	s_cbranch_execz .LBB52_112
; %bb.111:
	v_add_co_u32 v16, s3, s4, v105
	s_delay_alu instid0(VALU_DEP_1) | instskip(NEXT) | instid1(VALU_DEP_2)
	v_add_co_ci_u32_e64 v17, s3, s5, v106, s3
	v_add_co_u32 v18, s3, v16, v147
	s_delay_alu instid0(VALU_DEP_1) | instskip(SKIP_1) | instid1(VALU_DEP_3)
	v_add_co_ci_u32_e64 v17, s3, 0, v17, s3
	v_mov_b32_e32 v16, 0
	v_add_co_u32 v19, s3, 0x80, v18
	s_delay_alu instid0(VALU_DEP_1) | instskip(SKIP_1) | instid1(VALU_DEP_4)
	v_add_co_ci_u32_e64 v20, s3, 0, v17, s3
	v_cmp_gt_i32_e64 s3, s15, v165
	v_mov_b32_e32 v17, v16
	v_mov_b32_e32 v18, v16
	s_clause 0x1
	scratch_store_b32 off, v16, off
	scratch_store_b96 off, v[16:18], off offset:4
	v_cndmask_b32_e64 v20, s13, v20, s3
	v_cndmask_b32_e64 v19, 0, v19, s3
	flat_load_b128 v[16:19], v[19:20]
	s_waitcnt vmcnt(0) lgkmcnt(0)
	ds_store_b128 v166, v[16:19]
.LBB52_112:
	s_or_b32 exec_lo, exec_lo, s6
	v_lshl_add_u32 v167, v139, 2, v146
	v_lshlrev_b32_e32 v169, 2, v145
	s_delay_alu instid0(VALU_DEP_2) | instskip(SKIP_2) | instid1(VALU_DEP_2)
	v_mul_lo_u32 v16, s43, v167
	v_mul_u32_u24_e32 v18, 0xa0, v167
	v_cmp_gt_u32_e64 s3, 16, v167
	v_add3_u32 v168, v18, v169, 0x3800
	s_delay_alu instid0(VALU_DEP_4) | instskip(NEXT) | instid1(VALU_DEP_1)
	v_ashrrev_i32_e32 v17, 31, v16
	v_lshlrev_b64 v[107:108], 2, v[16:17]
	s_delay_alu instid0(VALU_DEP_4)
	s_and_saveexec_b32 s6, s3
	s_cbranch_execz .LBB52_114
; %bb.113:
	s_delay_alu instid0(VALU_DEP_1) | instskip(NEXT) | instid1(VALU_DEP_1)
	v_add_co_u32 v17, s4, s4, v107
	v_add_co_ci_u32_e64 v18, s4, s5, v108, s4
	v_mov_b32_e32 v16, 0
	s_delay_alu instid0(VALU_DEP_3) | instskip(NEXT) | instid1(VALU_DEP_1)
	v_add_co_u32 v19, s4, v17, v169
	v_add_co_ci_u32_e64 v20, s4, 0, v18, s4
	v_cmp_gt_i32_e64 s4, s15, v167
	s_delay_alu instid0(VALU_DEP_4)
	v_mov_b32_e32 v17, v16
	v_mov_b32_e32 v18, v16
	s_clause 0x1
	scratch_store_b32 off, v16, off
	scratch_store_b96 off, v[16:18], off offset:4
	v_cndmask_b32_e64 v20, s13, v20, s4
	v_cndmask_b32_e64 v19, 0, v19, s4
	flat_load_b128 v[16:19], v[19:20]
	s_waitcnt vmcnt(0) lgkmcnt(0)
	ds_store_b128 v168, v[16:19]
.LBB52_114:
	s_or_b32 exec_lo, exec_lo, s6
	v_dual_sub_f32 v0, v0, v8 :: v_dual_sub_f32 v1, v1, v9
	v_sub_f32_e32 v2, v2, v10
	s_waitcnt lgkmcnt(0)
	s_waitcnt_vscnt null, 0x0
	s_barrier
	v_dual_mul_f32 v16, 0x3fb8aa3b, v0 :: v_dual_sub_f32 v3, v3, v11
	v_mul_f32_e32 v17, 0x3fb8aa3b, v1
	v_cmp_ngt_f32_e64 s5, 0xc2ce8ed0, v0
	v_cmp_nlt_f32_e64 s4, 0x42b17218, v0
	s_delay_alu instid0(VALU_DEP_4)
	v_rndne_f32_e32 v20, v16
	v_fma_f32 v19, 0x3fb8aa3b, v0, -v16
	v_fma_f32 v21, 0x3fb8aa3b, v1, -v17
	v_rndne_f32_e32 v22, v17
	v_cmp_ngt_f32_e64 s6, 0xc2ce8ed0, v2
	v_sub_f32_e32 v16, v16, v20
	s_delay_alu instid0(VALU_DEP_4) | instskip(NEXT) | instid1(VALU_DEP_4)
	v_dual_sub_f32 v4, v4, v12 :: v_dual_fmac_f32 v21, 0x32a5705f, v1
	v_sub_f32_e32 v17, v17, v22
	v_mul_f32_e32 v18, 0x3fb8aa3b, v2
	v_cvt_i32_f32_e32 v20, v20
	v_cvt_i32_f32_e32 v22, v22
	v_cmp_ngt_f32_e64 s7, 0xc2ce8ed0, v3
	v_add_f32_e32 v17, v17, v21
	v_fma_f32 v23, 0x3fb8aa3b, v2, -v18
	v_rndne_f32_e32 v24, v18
	v_cmp_ngt_f32_e64 s8, 0xc2ce8ed0, v4
	buffer_gl0_inv
	v_exp_f32_e32 v17, v17
	v_dual_fmac_f32 v23, 0x32a5705f, v2 :: v_dual_sub_f32 v18, v18, v24
	v_fmac_f32_e32 v19, 0x32a5705f, v0
	v_cvt_i32_f32_e32 v24, v24
	v_sub_f32_e32 v174, v6, v14
	s_or_b32 s12, s49, 16
	v_add_f32_e32 v18, v18, v23
	v_add_f32_e32 v16, v16, v19
	v_mul_f32_e32 v19, 0x3fb8aa3b, v3
	s_delay_alu instid0(TRANS32_DEP_1)
	v_ldexp_f32 v17, v17, v22
	v_cmp_ngt_f32_e64 s10, 0xc2ce8ed0, v174
	v_exp_f32_e32 v18, v18
	v_exp_f32_e32 v16, v16
	v_fma_f32 v21, 0x3fb8aa3b, v3, -v19
	v_rndne_f32_e32 v23, v19
	s_mul_hi_i32 s17, s12, s43
	s_mul_i32 s16, s12, s43
	s_delay_alu instid0(SALU_CYCLE_1) | instskip(NEXT) | instid1(VALU_DEP_1)
	s_lshl_b64 s[16:17], s[16:17], 2
	v_sub_f32_e32 v19, v19, v23
	s_add_u32 s12, s47, s16
	s_waitcnt_depctr 0xfff
	v_ldexp_f32 v0, v18, v24
	v_ldexp_f32 v16, v16, v20
	s_addc_u32 s16, s48, s17
	s_add_i32 s15, s15, -16
	s_delay_alu instid0(VALU_DEP_2) | instskip(NEXT) | instid1(VALU_DEP_2)
	v_cndmask_b32_e64 v146, 0, v0, s6
	v_cndmask_b32_e64 v139, 0, v16, s5
	v_cmp_ngt_f32_e64 s5, 0xc2ce8ed0, v1
	v_cmp_nlt_f32_e64 s6, 0x42b17218, v2
	v_mul_f32_e32 v2, 0x3fb8aa3b, v174
	s_delay_alu instid0(VALU_DEP_3)
	v_cndmask_b32_e64 v145, 0, v17, s5
	v_mul_f32_e32 v17, 0x3fb8aa3b, v4
	v_fmac_f32_e32 v21, 0x32a5705f, v3
	v_cmp_nlt_f32_e64 s5, 0x42b17218, v1
	v_fma_f32 v18, 0x3fb8aa3b, v174, -v2
	v_sub_f32_e32 v173, v5, v13
	v_fma_f32 v1, 0x3fb8aa3b, v4, -v17
	v_add_f32_e32 v16, v19, v21
	v_cvt_i32_f32_e32 v5, v23
	v_rndne_f32_e32 v19, v2
	s_delay_alu instid0(VALU_DEP_4) | instskip(NEXT) | instid1(VALU_DEP_4)
	v_dual_fmac_f32 v18, 0x32a5705f, v174 :: v_dual_fmac_f32 v1, 0x32a5705f, v4
	v_exp_f32_e32 v0, v16
	v_rndne_f32_e32 v16, v17
	s_delay_alu instid0(VALU_DEP_3) | instskip(SKIP_2) | instid1(VALU_DEP_4)
	v_sub_f32_e32 v2, v2, v19
	v_sub_f32_e32 v175, v7, v15
	v_cmp_ngt_f32_e64 s9, 0xc2ce8ed0, v173
	v_sub_f32_e32 v6, v17, v16
	s_delay_alu instid0(VALU_DEP_4) | instskip(SKIP_1) | instid1(TRANS32_DEP_1)
	v_dual_add_f32 v2, v2, v18 :: v_dual_mul_f32 v17, 0x3fb8aa3b, v173
	v_cvt_i32_f32_e32 v16, v16
	v_ldexp_f32 v0, v0, v5
	s_delay_alu instid0(VALU_DEP_4) | instskip(NEXT) | instid1(VALU_DEP_4)
	v_add_f32_e32 v1, v6, v1
	v_exp_f32_e32 v2, v2
	v_fma_f32 v5, 0x3fb8aa3b, v173, -v17
	v_rndne_f32_e32 v6, v17
	v_cndmask_b32_e64 v170, 0, v0, s7
	v_exp_f32_e32 v0, v1
	v_cmp_nlt_f32_e64 s7, 0x42b17218, v3
	v_fmac_f32_e32 v5, 0x32a5705f, v173
	v_sub_f32_e32 v7, v17, v6
	v_mul_f32_e32 v17, 0x3fb8aa3b, v175
	v_cvt_i32_f32_e32 v3, v6
	v_cvt_i32_f32_e32 v6, v19
	v_cmp_ngt_f32_e64 s11, 0xc2ce8ed0, v175
	s_delay_alu instid0(TRANS32_DEP_1) | instskip(NEXT) | instid1(VALU_DEP_3)
	v_ldexp_f32 v0, v0, v16
	v_ldexp_f32 v176, v2, v6
	s_delay_alu instid0(VALU_DEP_2)
	v_cndmask_b32_e64 v171, 0, v0, s8
	v_add_nc_u32_e32 v0, 0x3800, v127
	ds_load_2addr_b64 v[92:95], v0 offset1:20
	ds_load_b128 v[100:103], v126
	ds_load_b128 v[96:99], v126 offset:16
	ds_load_b128 v[88:91], v126 offset:32
	;; [unrolled: 1-line block ×3, first 2 shown]
	ds_load_2addr_b64 v[84:87], v0 offset0:40 offset1:60
	ds_load_2addr_b64 v[68:71], v0 offset0:80 offset1:100
	ds_load_b128 v[76:79], v126 offset:64
	ds_load_b128 v[72:75], v126 offset:80
	ds_load_2addr_b64 v[56:59], v0 offset0:120 offset1:140
	ds_load_b128 v[64:67], v126 offset:96
	ds_load_b128 v[60:63], v126 offset:112
	;; [unrolled: 3-line block ×3, first 2 shown]
	ds_load_2addr_b64 v[32:35], v0 offset0:200 offset1:220
	v_dual_add_f32 v1, v7, v5 :: v_dual_add_nc_u32 v0, 0x4000, v127
	v_fma_f32 v5, 0x3fb8aa3b, v175, -v17
	v_rndne_f32_e32 v7, v17
	v_cmp_nlt_f32_e64 s8, 0x42b17218, v4
	s_delay_alu instid0(VALU_DEP_4) | instskip(NEXT) | instid1(VALU_DEP_3)
	v_exp_f32_e32 v1, v1
	v_fmac_f32_e32 v5, 0x32a5705f, v175
	s_delay_alu instid0(VALU_DEP_3) | instskip(SKIP_1) | instid1(VALU_DEP_2)
	v_sub_f32_e32 v17, v17, v7
	v_cvt_i32_f32_e32 v178, v7
	v_add_f32_e32 v5, v17, v5
	s_waitcnt_depctr 0xfff
	v_ldexp_f32 v172, v1, v3
	v_add_nc_u32_e32 v1, 0x3c00, v127
	v_exp_f32_e32 v177, v5
	ds_load_b128 v[44:47], v126 offset:160
	ds_load_b128 v[36:39], v126 offset:176
	ds_load_2addr_b64 v[20:23], v1 offset0:112 offset1:132
	ds_load_b128 v[28:31], v126 offset:192
	ds_load_b128 v[24:27], v126 offset:208
	ds_load_2addr_b64 v[0:3], v0 offset0:24 offset1:44
	ds_load_b128 v[16:19], v126 offset:224
	ds_load_b128 v[4:7], v126 offset:240
	v_cndmask_b32_e64 v172, 0, v172, s9
	v_cmp_nlt_f32_e64 s9, 0x42b17218, v173
	v_cndmask_b32_e64 v173, 0, v176, s10
	v_cmp_nlt_f32_e64 s10, 0x42b17218, v174
	s_waitcnt lgkmcnt(0)
	s_barrier
	buffer_gl0_inv
	v_ldexp_f32 v177, v177, v178
	s_delay_alu instid0(VALU_DEP_1)
	v_cndmask_b32_e64 v174, 0, v177, s11
	v_cmp_nlt_f32_e64 s11, 0x42b17218, v175
	s_and_saveexec_b32 s17, vcc_lo
	s_cbranch_execz .LBB52_116
; %bb.115:
	v_add_co_u32 v105, vcc_lo, s12, v105
	v_add_co_ci_u32_e32 v106, vcc_lo, s16, v106, vcc_lo
	s_delay_alu instid0(VALU_DEP_2) | instskip(NEXT) | instid1(VALU_DEP_2)
	v_add_co_u32 v105, vcc_lo, v105, v147
	v_add_co_ci_u32_e32 v106, vcc_lo, 0, v106, vcc_lo
	s_delay_alu instid0(VALU_DEP_2) | instskip(NEXT) | instid1(VALU_DEP_2)
	v_add_co_u32 v105, vcc_lo, 0x80, v105
	v_add_co_ci_u32_e32 v106, vcc_lo, 0, v106, vcc_lo
	v_cmp_gt_i32_e32 vcc_lo, s15, v165
	s_delay_alu instid0(VALU_DEP_2) | instskip(NEXT) | instid1(VALU_DEP_1)
	v_dual_mov_b32 v175, 0 :: v_dual_cndmask_b32 v106, s13, v106
	v_dual_mov_b32 v176, v175 :: v_dual_cndmask_b32 v105, 0, v105
	v_mov_b32_e32 v177, v175
	s_clause 0x1
	scratch_store_b32 off, v175, off
	scratch_store_b96 off, v[175:177], off offset:4
	flat_load_b128 v[175:178], v[105:106]
	s_waitcnt vmcnt(0) lgkmcnt(0)
	ds_store_b128 v166, v[175:178]
.LBB52_116:
	s_or_b32 exec_lo, exec_lo, s17
	v_cndmask_b32_e64 v105, 0x7f800000, v139, s4
	v_cndmask_b32_e64 v106, 0x7f800000, v145, s5
	;; [unrolled: 1-line block ×8, first 2 shown]
	s_and_saveexec_b32 s4, s3
	s_cbranch_execz .LBB52_118
; %bb.117:
	v_add_co_u32 v107, vcc_lo, s12, v107
	v_add_co_ci_u32_e32 v108, vcc_lo, s16, v108, vcc_lo
	s_delay_alu instid0(VALU_DEP_2) | instskip(NEXT) | instid1(VALU_DEP_2)
	v_add_co_u32 v107, vcc_lo, v107, v169
	v_add_co_ci_u32_e32 v108, vcc_lo, 0, v108, vcc_lo
	v_cmp_gt_i32_e32 vcc_lo, s15, v167
	s_delay_alu instid0(VALU_DEP_3) | instskip(NEXT) | instid1(VALU_DEP_1)
	v_dual_mov_b32 v170, 0 :: v_dual_cndmask_b32 v107, 0, v107
	v_dual_mov_b32 v171, v170 :: v_dual_cndmask_b32 v108, s13, v108
	v_mov_b32_e32 v172, v170
	s_clause 0x1
	scratch_store_b32 off, v170, off
	scratch_store_b96 off, v[170:172], off offset:4
	flat_load_b128 v[169:172], v[107:108]
	s_waitcnt vmcnt(0) lgkmcnt(0)
	ds_store_b128 v168, v[169:172]
.LBB52_118:
	s_or_b32 exec_lo, exec_lo, s4
	v_cvt_f16_f32_e32 v107, v105
	v_cvt_f16_f32_e32 v108, v106
	v_cvt_f16_f32_e64 v167, v139
	s_waitcnt lgkmcnt(0)
	s_waitcnt_vscnt null, 0x0
	s_barrier
	v_pk_mul_f16 v142, v107, v142 op_sel_hi:[0,1]
	v_pk_mul_f16 v107, v107, v143 op_sel_hi:[0,1]
	;; [unrolled: 1-line block ×3, first 2 shown]
	v_cvt_f16_f32_e64 v143, v145
	v_pk_mul_f16 v108, v108, v141 op_sel_hi:[0,1]
	v_cvt_f16_f32_e64 v141, v146
	v_pk_mul_f16 v137, v167, v137 op_sel_hi:[0,1]
	v_pk_mul_f16 v138, v167, v138 op_sel_hi:[0,1]
	;; [unrolled: 1-line block ×4, first 2 shown]
	v_cvt_f16_f32_e64 v143, v147
	v_pk_mul_f16 v133, v141, v133 op_sel_hi:[0,1]
	v_cvt_f16_f32_e64 v167, v165
	v_pk_mul_f16 v134, v141, v134 op_sel_hi:[0,1]
	;; [unrolled: 2-line block ×3, first 2 shown]
	v_pk_mul_f16 v132, v143, v132 op_sel_hi:[0,1]
	v_pk_mul_f16 v129, v167, v129 op_sel_hi:[0,1]
	;; [unrolled: 1-line block ×5, first 2 shown]
	v_pk_fma_f16 v141, v92, v100, v142 op_sel_hi:[1,0,1]
	v_pk_fma_f16 v140, v92, v100, v140 op_sel:[0,1,0]
	v_pk_fma_f16 v133, v92, v102, v133 op_sel_hi:[1,0,1]
	v_pk_fma_f16 v137, v92, v101, v137 op_sel_hi:[1,0,1]
	v_pk_fma_f16 v135, v92, v101, v135 op_sel:[0,1,0]
	v_pk_fma_f16 v131, v92, v102, v131 op_sel:[0,1,0]
	v_pk_fma_f16 v129, v92, v103, v129 op_sel_hi:[1,0,1]
	v_pk_fma_f16 v92, v92, v103, v128 op_sel:[0,1,0]
	v_pk_fma_f16 v107, v93, v100, v107 op_sel_hi:[1,0,1]
	v_pk_fma_f16 v100, v93, v100, v108 op_sel:[0,1,0]
	v_pk_fma_f16 v108, v93, v101, v138 op_sel_hi:[1,0,1]
	v_pk_fma_f16 v101, v93, v101, v136 op_sel:[0,1,0]
	v_pk_fma_f16 v128, v93, v102, v134 op_sel_hi:[1,0,1]
	v_pk_fma_f16 v102, v93, v102, v132 op_sel:[0,1,0]
	v_pk_fma_f16 v130, v93, v103, v130 op_sel_hi:[1,0,1]
	v_pk_fma_f16 v93, v93, v103, v124 op_sel:[0,1,0]
	v_pk_fma_f16 v103, v94, v96, v141 op_sel_hi:[1,0,1]
	v_pk_fma_f16 v124, v94, v96, v140 op_sel:[0,1,0]
	v_pk_fma_f16 v133, v94, v98, v133 op_sel_hi:[1,0,1]
	v_pk_fma_f16 v132, v94, v97, v137 op_sel_hi:[1,0,1]
	v_pk_fma_f16 v134, v94, v97, v135 op_sel:[0,1,0]
	v_pk_fma_f16 v131, v94, v98, v131 op_sel:[0,1,0]
	v_pk_fma_f16 v129, v94, v99, v129 op_sel_hi:[1,0,1]
	v_pk_fma_f16 v92, v94, v99, v92 op_sel:[0,1,0]
	v_pk_fma_f16 v94, v95, v96, v107 op_sel_hi:[1,0,1]
	v_pk_fma_f16 v96, v95, v96, v100 op_sel:[0,1,0]
	v_pk_fma_f16 v100, v95, v97, v108 op_sel_hi:[1,0,1]
	v_pk_fma_f16 v97, v95, v97, v101 op_sel:[0,1,0]
	v_pk_fma_f16 v101, v95, v98, v128 op_sel_hi:[1,0,1]
	v_pk_fma_f16 v98, v95, v98, v102 op_sel:[0,1,0]
	v_pk_fma_f16 v102, v95, v99, v130 op_sel_hi:[1,0,1]
	v_pk_fma_f16 v93, v95, v99, v93 op_sel:[0,1,0]
	;; [unrolled: 16-line block ×14, first 2 shown]
	v_pk_fma_f16 v23, v0, v16, v31 op_sel_hi:[1,0,1]
	v_pk_fma_f16 v27, v0, v16, v33 op_sel:[0,1,0]
	v_pk_fma_f16 v33, v0, v18, v39 op_sel_hi:[1,0,1]
	v_dual_fmac_f32 v144, v158, v105 :: v_dual_add_nc_u32 v39, 0x3800, v127
	v_pk_fma_f16 v31, v0, v17, v35 op_sel_hi:[1,0,1]
	v_pk_fma_f16 v32, v0, v17, v38 op_sel:[0,1,0]
	v_pk_fma_f16 v34, v0, v18, v40 op_sel:[0,1,0]
	v_pk_fma_f16 v35, v0, v19, v41 op_sel_hi:[1,0,1]
	v_pk_fma_f16 v0, v0, v19, v20 op_sel:[0,1,0]
	v_pk_fma_f16 v36, v1, v16, v22 op_sel_hi:[1,0,1]
	;; [unrolled: 2-line block ×6, first 2 shown]
	buffer_gl0_inv
	ds_load_2addr_b64 v[16:19], v39 offset1:20
	ds_load_b128 v[20:23], v126 offset:256
	v_pk_fma_f16 v38, v2, v4, v27 op_sel:[0,1,0]
	v_pk_fma_f16 v31, v2, v5, v31 op_sel_hi:[1,0,1]
	v_pk_fma_f16 v32, v2, v5, v32 op_sel:[0,1,0]
	v_pk_fma_f16 v33, v2, v6, v33 op_sel_hi:[1,0,1]
	;; [unrolled: 2-line block ×5, first 2 shown]
	v_pk_fma_f16 v29, v3, v6, v29 op_sel_hi:[1,0,1]
	v_pk_fma_f16 v42, v3, v5, v25 op_sel:[0,1,0]
	v_pk_fma_f16 v43, v3, v6, v26 op_sel:[0,1,0]
	v_pk_fma_f16 v44, v3, v7, v30 op_sel_hi:[1,0,1]
	v_pk_fma_f16 v45, v3, v7, v1 op_sel:[0,1,0]
	ds_load_b128 v[0:3], v126 offset:272
	ds_load_b128 v[4:7], v126 offset:288
	;; [unrolled: 1-line block ×3, first 2 shown]
	v_dual_fmac_f32 v160, v153, v147 :: v_dual_fmac_f32 v161, v152, v165
	v_fmac_f32_e32 v164, v151, v166
	s_waitcnt lgkmcnt(3)
	v_pk_fma_f16 v37, v16, v20, v37 op_sel_hi:[1,0,1]
	v_pk_fma_f16 v38, v16, v20, v38 op_sel:[0,1,0]
	v_mov_b32_e32 v153, v160
	v_pk_fma_f16 v46, v16, v21, v31 op_sel_hi:[1,0,1]
	v_pk_fma_f16 v32, v16, v21, v32 op_sel:[0,1,0]
	v_pk_fma_f16 v33, v16, v22, v33 op_sel_hi:[1,0,1]
	v_pk_fma_f16 v34, v16, v22, v34 op_sel:[0,1,0]
	;; [unrolled: 2-line block ×4, first 2 shown]
	v_pk_fma_f16 v40, v17, v21, v28 op_sel_hi:[1,0,1]
	v_pk_fma_f16 v41, v17, v22, v29 op_sel_hi:[1,0,1]
	ds_load_2addr_b64 v[28:31], v39 offset0:40 offset1:60
	v_pk_fma_f16 v21, v17, v21, v42 op_sel:[0,1,0]
	v_pk_fma_f16 v22, v17, v22, v43 op_sel:[0,1,0]
	v_pk_fma_f16 v42, v17, v23, v44 op_sel_hi:[1,0,1]
	v_pk_fma_f16 v17, v17, v23, v45 op_sel:[0,1,0]
	s_waitcnt lgkmcnt(3)
	v_pk_fma_f16 v23, v18, v0, v37 op_sel_hi:[1,0,1]
	v_pk_fma_f16 v37, v18, v0, v38 op_sel:[0,1,0]
	v_pk_fma_f16 v38, v18, v1, v46 op_sel_hi:[1,0,1]
	v_pk_fma_f16 v32, v18, v1, v32 op_sel:[0,1,0]
	v_pk_fma_f16 v33, v18, v2, v33 op_sel_hi:[1,0,1]
	v_pk_fma_f16 v34, v18, v2, v34 op_sel:[0,1,0]
	v_pk_fma_f16 v35, v18, v3, v35 op_sel_hi:[1,0,1]
	v_pk_fma_f16 v16, v18, v3, v16 op_sel:[0,1,0]
	v_pk_fma_f16 v18, v19, v0, v36 op_sel_hi:[1,0,1]
	v_pk_fma_f16 v0, v19, v0, v20 op_sel:[0,1,0]
	v_pk_fma_f16 v20, v19, v1, v40 op_sel_hi:[1,0,1]
	v_pk_fma_f16 v1, v19, v1, v21 op_sel:[0,1,0]
	v_pk_fma_f16 v21, v19, v2, v41 op_sel_hi:[1,0,1]
	v_pk_fma_f16 v2, v19, v2, v22 op_sel:[0,1,0]
	v_pk_fma_f16 v22, v19, v3, v42 op_sel_hi:[1,0,1]
	v_pk_fma_f16 v36, v19, v3, v17 op_sel:[0,1,0]
	s_waitcnt lgkmcnt(0)
	v_pk_fma_f16 v23, v28, v4, v23 op_sel_hi:[1,0,1]
	v_pk_fma_f16 v37, v28, v4, v37 op_sel:[0,1,0]
	v_pk_fma_f16 v38, v28, v5, v38 op_sel_hi:[1,0,1]
	v_pk_fma_f16 v32, v28, v5, v32 op_sel:[0,1,0]
	;; [unrolled: 2-line block ×7, first 2 shown]
	ds_load_2addr_b64 v[0:3], v39 offset0:80 offset1:100
	ds_load_b128 v[16:19], v126 offset:320
	v_pk_fma_f16 v22, v29, v7, v22 op_sel_hi:[1,0,1]
	v_pk_fma_f16 v29, v29, v7, v36 op_sel:[0,1,0]
	v_pk_fma_f16 v23, v30, v24, v23 op_sel_hi:[1,0,1]
	v_pk_fma_f16 v36, v30, v24, v37 op_sel:[0,1,0]
	;; [unrolled: 2-line block ×8, first 2 shown]
	ds_load_b128 v[4:7], v126 offset:336
	v_pk_fma_f16 v38, v31, v27, v22 op_sel_hi:[1,0,1]
	v_pk_fma_f16 v29, v31, v27, v29 op_sel:[0,1,0]
	s_waitcnt lgkmcnt(1)
	v_pk_fma_f16 v31, v0, v16, v23 op_sel_hi:[1,0,1]
	v_pk_fma_f16 v36, v0, v16, v36 op_sel:[0,1,0]
	v_pk_fma_f16 v37, v0, v17, v37 op_sel_hi:[1,0,1]
	v_pk_fma_f16 v32, v0, v17, v32 op_sel:[0,1,0]
	v_pk_fma_f16 v33, v0, v18, v33 op_sel_hi:[1,0,1]
	v_pk_fma_f16 v34, v0, v18, v34 op_sel:[0,1,0]
	v_pk_fma_f16 v35, v0, v19, v35 op_sel_hi:[1,0,1]
	v_pk_fma_f16 v0, v0, v19, v28 op_sel:[0,1,0]
	v_pk_fma_f16 v28, v1, v16, v30 op_sel_hi:[1,0,1]
	v_pk_fma_f16 v16, v1, v16, v24 op_sel:[0,1,0]
	v_pk_fma_f16 v30, v1, v17, v20 op_sel_hi:[1,0,1]
	v_pk_fma_f16 v17, v1, v17, v25 op_sel:[0,1,0]
	v_pk_fma_f16 v40, v1, v18, v21 op_sel_hi:[1,0,1]
	v_pk_fma_f16 v18, v1, v18, v26 op_sel:[0,1,0]
	ds_load_2addr_b64 v[20:23], v39 offset0:120 offset1:140
	ds_load_b128 v[24:27], v126 offset:352
	v_pk_fma_f16 v38, v1, v19, v38 op_sel_hi:[1,0,1]
	v_pk_fma_f16 v1, v1, v19, v29 op_sel:[0,1,0]
	s_waitcnt lgkmcnt(2)
	v_pk_fma_f16 v29, v2, v4, v31 op_sel_hi:[1,0,1]
	v_pk_fma_f16 v31, v2, v4, v36 op_sel:[0,1,0]
	v_pk_fma_f16 v36, v2, v5, v37 op_sel_hi:[1,0,1]
	v_pk_fma_f16 v32, v2, v5, v32 op_sel:[0,1,0]
	v_pk_fma_f16 v33, v2, v6, v33 op_sel_hi:[1,0,1]
	v_pk_fma_f16 v34, v2, v6, v34 op_sel:[0,1,0]
	v_pk_fma_f16 v35, v2, v7, v35 op_sel_hi:[1,0,1]
	v_pk_fma_f16 v0, v2, v7, v0 op_sel:[0,1,0]
	v_pk_fma_f16 v2, v3, v4, v28 op_sel_hi:[1,0,1]
	v_pk_fma_f16 v4, v3, v4, v16 op_sel:[0,1,0]
	v_pk_fma_f16 v28, v3, v5, v30 op_sel_hi:[1,0,1]
	v_pk_fma_f16 v5, v3, v5, v17 op_sel:[0,1,0]
	v_pk_fma_f16 v30, v3, v6, v40 op_sel_hi:[1,0,1]
	v_pk_fma_f16 v6, v3, v6, v18 op_sel:[0,1,0]
	ds_load_b128 v[16:19], v126 offset:368
	v_pk_fma_f16 v37, v3, v7, v38 op_sel_hi:[1,0,1]
	v_pk_fma_f16 v38, v3, v7, v1 op_sel:[0,1,0]
	s_waitcnt lgkmcnt(1)
	v_pk_fma_f16 v29, v20, v24, v29 op_sel_hi:[1,0,1]
	v_pk_fma_f16 v31, v20, v24, v31 op_sel:[0,1,0]
	v_pk_fma_f16 v36, v20, v25, v36 op_sel_hi:[1,0,1]
	v_pk_fma_f16 v32, v20, v25, v32 op_sel:[0,1,0]
	v_pk_fma_f16 v33, v20, v26, v33 op_sel_hi:[1,0,1]
	v_pk_fma_f16 v34, v20, v26, v34 op_sel:[0,1,0]
	v_pk_fma_f16 v35, v20, v27, v35 op_sel_hi:[1,0,1]
	v_pk_fma_f16 v20, v20, v27, v0 op_sel:[0,1,0]
	v_pk_fma_f16 v40, v21, v24, v2 op_sel_hi:[1,0,1]
	v_pk_fma_f16 v24, v21, v24, v4 op_sel:[0,1,0]
	v_pk_fma_f16 v28, v21, v25, v28 op_sel_hi:[1,0,1]
	v_pk_fma_f16 v25, v21, v25, v5 op_sel:[0,1,0]
	v_pk_fma_f16 v30, v21, v26, v30 op_sel_hi:[1,0,1]
	v_pk_fma_f16 v26, v21, v26, v6 op_sel:[0,1,0]
	ds_load_2addr_b64 v[0:3], v39 offset0:160 offset1:180
	ds_load_b128 v[4:7], v126 offset:384
	v_pk_fma_f16 v37, v21, v27, v37 op_sel_hi:[1,0,1]
	v_pk_fma_f16 v21, v21, v27, v38 op_sel:[0,1,0]
	s_waitcnt lgkmcnt(2)
	v_pk_fma_f16 v29, v22, v16, v29 op_sel_hi:[1,0,1]
	v_pk_fma_f16 v31, v22, v16, v31 op_sel:[0,1,0]
	v_pk_fma_f16 v36, v22, v17, v36 op_sel_hi:[1,0,1]
	v_pk_fma_f16 v32, v22, v17, v32 op_sel:[0,1,0]
	v_pk_fma_f16 v33, v22, v18, v33 op_sel_hi:[1,0,1]
	v_pk_fma_f16 v34, v22, v18, v34 op_sel:[0,1,0]
	v_pk_fma_f16 v35, v22, v19, v35 op_sel_hi:[1,0,1]
	v_pk_fma_f16 v20, v22, v19, v20 op_sel:[0,1,0]
	v_pk_fma_f16 v22, v23, v16, v40 op_sel_hi:[1,0,1]
	v_pk_fma_f16 v16, v23, v16, v24 op_sel:[0,1,0]
	v_pk_fma_f16 v28, v23, v17, v28 op_sel_hi:[1,0,1]
	v_pk_fma_f16 v17, v23, v17, v25 op_sel:[0,1,0]
	v_pk_fma_f16 v30, v23, v18, v30 op_sel_hi:[1,0,1]
	v_pk_fma_f16 v18, v23, v18, v26 op_sel:[0,1,0]
	;; [unrolled: 37-line block ×3, first 2 shown]
	v_pk_fma_f16 v28, v3, v27, v37 op_sel_hi:[1,0,1]
	v_pk_fma_f16 v30, v3, v27, v1 op_sel:[0,1,0]
	ds_load_b128 v[0:3], v126 offset:432
	s_waitcnt lgkmcnt(1)
	v_pk_fma_f16 v37, v16, v20, v7 op_sel_hi:[1,0,1]
	v_pk_fma_f16 v29, v16, v20, v29 op_sel:[0,1,0]
	v_pk_fma_f16 v31, v16, v21, v31 op_sel_hi:[1,0,1]
	v_pk_fma_f16 v32, v16, v21, v32 op_sel:[0,1,0]
	;; [unrolled: 2-line block ×5, first 2 shown]
	v_dual_mov_b32 v151, v164 :: v_dual_add_nc_u32 v4, 0x3c00, v127
	v_pk_fma_f16 v38, v17, v21, v24 op_sel_hi:[1,0,1]
	v_pk_fma_f16 v21, v17, v21, v5 op_sel:[0,1,0]
	v_pk_fma_f16 v39, v17, v22, v25 op_sel_hi:[1,0,1]
	v_pk_fma_f16 v22, v17, v22, v6 op_sel:[0,1,0]
	ds_load_2addr_b64 v[4:7], v4 offset0:112 offset1:132
	ds_load_b128 v[24:27], v126 offset:448
	v_pk_fma_f16 v28, v17, v23, v28 op_sel_hi:[1,0,1]
	v_pk_fma_f16 v17, v17, v23, v30 op_sel:[0,1,0]
	s_waitcnt lgkmcnt(2)
	v_pk_fma_f16 v23, v18, v0, v37 op_sel_hi:[1,0,1]
	v_pk_fma_f16 v29, v18, v0, v29 op_sel:[0,1,0]
	v_pk_fma_f16 v30, v18, v1, v31 op_sel_hi:[1,0,1]
	v_pk_fma_f16 v31, v18, v1, v32 op_sel:[0,1,0]
	;; [unrolled: 2-line block ×8, first 2 shown]
	ds_load_b128 v[0:3], v126 offset:464
	v_dual_fmac_f32 v150, v155, v145 :: v_dual_fmac_f32 v159, v154, v146
	s_waitcnt lgkmcnt(1)
	v_pk_fma_f16 v38, v4, v24, v23 op_sel_hi:[1,0,1]
	v_pk_fma_f16 v29, v4, v24, v29 op_sel:[0,1,0]
	v_pk_fma_f16 v30, v4, v25, v30 op_sel_hi:[1,0,1]
	v_pk_fma_f16 v31, v4, v25, v31 op_sel:[0,1,0]
	;; [unrolled: 2-line block ×4, first 2 shown]
	v_dual_mov_b32 v155, v150 :: v_dual_add_nc_u32 v16, 0x4000, v127
	v_pk_fma_f16 v39, v5, v24, v18 op_sel_hi:[1,0,1]
	v_pk_fma_f16 v24, v5, v24, v20 op_sel:[0,1,0]
	v_pk_fma_f16 v35, v5, v25, v35 op_sel_hi:[1,0,1]
	v_pk_fma_f16 v25, v5, v25, v21 op_sel:[0,1,0]
	v_pk_fma_f16 v40, v5, v26, v22 op_sel:[0,1,0]
	ds_load_2addr_b64 v[16:19], v16 offset0:24 offset1:44
	ds_load_b128 v[20:23], v126 offset:480
	v_pk_fma_f16 v36, v5, v26, v36 op_sel_hi:[1,0,1]
	v_pk_fma_f16 v28, v5, v27, v28 op_sel_hi:[1,0,1]
	v_pk_fma_f16 v5, v5, v27, v37 op_sel:[0,1,0]
	s_waitcnt lgkmcnt(2)
	v_pk_fma_f16 v37, v6, v0, v38 op_sel_hi:[1,0,1]
	v_pk_fma_f16 v29, v6, v0, v29 op_sel:[0,1,0]
	v_pk_fma_f16 v30, v6, v1, v30 op_sel_hi:[1,0,1]
	v_pk_fma_f16 v31, v6, v1, v31 op_sel:[0,1,0]
	;; [unrolled: 2-line block ×6, first 2 shown]
	ds_load_b128 v[24:27], v126 offset:496
	v_pk_fma_f16 v36, v7, v2, v36 op_sel_hi:[1,0,1]
	v_pk_fma_f16 v2, v7, v2, v40 op_sel:[0,1,0]
	v_pk_fma_f16 v28, v7, v3, v28 op_sel_hi:[1,0,1]
	v_pk_fma_f16 v3, v7, v3, v5 op_sel:[0,1,0]
	s_waitcnt lgkmcnt(1)
	v_pk_fma_f16 v5, v16, v20, v37 op_sel_hi:[1,0,1]
	v_pk_fma_f16 v7, v16, v20, v29 op_sel:[0,1,0]
	v_pk_fma_f16 v4, v16, v23, v4 op_sel:[0,1,0]
	v_pk_fma_f16 v6, v17, v20, v6 op_sel_hi:[1,0,1]
	v_pk_fma_f16 v0, v17, v20, v0 op_sel:[0,1,0]
	v_pk_fma_f16 v1, v17, v21, v1 op_sel:[0,1,0]
	;; [unrolled: 1-line block ×4, first 2 shown]
	v_dual_fmac_f32 v148, v157, v106 :: v_dual_fmac_f32 v149, v156, v139
	v_pk_fma_f16 v29, v16, v21, v30 op_sel_hi:[1,0,1]
	v_pk_fma_f16 v30, v16, v21, v31 op_sel:[0,1,0]
	v_pk_fma_f16 v31, v16, v22, v32 op_sel_hi:[1,0,1]
	v_pk_fma_f16 v32, v16, v22, v33 op_sel:[0,1,0]
	v_pk_fma_f16 v33, v16, v23, v34 op_sel_hi:[1,0,1]
	v_pk_fma_f16 v16, v17, v21, v35 op_sel_hi:[1,0,1]
	v_pk_fma_f16 v20, v17, v22, v36 op_sel_hi:[1,0,1]
	v_pk_fma_f16 v21, v17, v23, v28 op_sel_hi:[1,0,1]
	s_waitcnt lgkmcnt(0)
	v_pk_fma_f16 v142, v18, v24, v5 op_sel_hi:[1,0,1]
	v_pk_fma_f16 v140, v18, v24, v7 op_sel:[0,1,0]
	v_pk_fma_f16 v128, v18, v27, v4 op_sel:[0,1,0]
	v_pk_fma_f16 v143, v19, v24, v6 op_sel_hi:[1,0,1]
	v_pk_fma_f16 v141, v19, v24, v0 op_sel:[0,1,0]
	v_pk_fma_f16 v136, v19, v25, v1 op_sel:[0,1,0]
	;; [unrolled: 1-line block ×4, first 2 shown]
	v_dual_mov_b32 v0, v8 :: v_dual_mov_b32 v7, v15
	v_pk_fma_f16 v137, v18, v25, v29 op_sel_hi:[1,0,1]
	v_pk_fma_f16 v135, v18, v25, v30 op_sel:[0,1,0]
	v_pk_fma_f16 v133, v18, v26, v31 op_sel_hi:[1,0,1]
	v_pk_fma_f16 v131, v18, v26, v32 op_sel:[0,1,0]
	v_pk_fma_f16 v129, v18, v27, v33 op_sel_hi:[1,0,1]
	v_pk_fma_f16 v138, v19, v25, v16 op_sel_hi:[1,0,1]
	;; [unrolled: 1-line block ×4, first 2 shown]
	v_dual_mov_b32 v152, v161 :: v_dual_mov_b32 v157, v148
	v_dual_mov_b32 v154, v159 :: v_dual_mov_b32 v1, v9
	;; [unrolled: 1-line block ×4, first 2 shown]
	v_mov_b32_e32 v2, v10
	v_mov_b32_e32 v4, v12
	;; [unrolled: 1-line block ×4, first 2 shown]
	s_barrier
	buffer_gl0_inv
.LBB52_119:
	v_cmp_lt_i32_e32 vcc_lo, v163, v109
	s_cmp_eq_u64 s[24:25], 0
	s_cselect_b32 s3, -1, 0
	s_cmp_lg_u32 s14, 0
	v_cndmask_b32_e32 v9, v8, v163, vcc_lo
	v_cmp_lt_i32_e32 vcc_lo, v162, v109
	s_cselect_b32 s4, -1, 0
	s_delay_alu instid0(SALU_CYCLE_1) | instskip(NEXT) | instid1(VALU_DEP_2)
	s_or_b32 s3, s4, s3
	v_lshlrev_b32_e32 v9, 2, v9
	v_cndmask_b32_e32 v17, v8, v162, vcc_lo
	v_cmp_lt_i32_e32 vcc_lo, v112, v109
	ds_bpermute_b32 v12, v9, v156
	s_waitcnt lgkmcnt(0)
	v_add_f32_e32 v12, v156, v12
	ds_bpermute_b32 v10, v9, v158
	ds_bpermute_b32 v14, v9, v154
	;; [unrolled: 1-line block ×7, first 2 shown]
	s_waitcnt lgkmcnt(6)
	v_dual_add_f32 v10, v158, v10 :: v_dual_lshlrev_b32 v17, 2, v17
	s_waitcnt lgkmcnt(5)
	v_add_f32_e32 v14, v154, v14
	ds_bpermute_b32 v20, v17, v12
	s_waitcnt lgkmcnt(4)
	v_dual_add_f32 v11, v157, v11 :: v_dual_add_f32 v16, v152, v16
	ds_bpermute_b32 v18, v17, v10
	ds_bpermute_b32 v22, v17, v14
	s_waitcnt lgkmcnt(5)
	v_add_f32_e32 v13, v155, v13
	s_waitcnt lgkmcnt(4)
	v_add_f32_e32 v15, v153, v15
	s_waitcnt lgkmcnt(3)
	v_add_f32_e32 v9, v151, v9
	ds_bpermute_b32 v24, v17, v16
	ds_bpermute_b32 v19, v17, v11
	s_waitcnt lgkmcnt(4)
	v_add_f32_e32 v12, v12, v20
	ds_bpermute_b32 v23, v17, v15
	s_waitcnt lgkmcnt(4)
	v_add_f32_e32 v10, v10, v18
	s_waitcnt lgkmcnt(3)
	v_add_f32_e32 v14, v14, v22
	ds_bpermute_b32 v21, v17, v13
	ds_bpermute_b32 v17, v17, v9
	v_cndmask_b32_e32 v25, v8, v112, vcc_lo
	s_waitcnt lgkmcnt(3)
	v_dual_add_f32 v16, v16, v24 :: v_dual_add_f32 v11, v11, v19
	v_cmp_lt_i32_e32 vcc_lo, v111, v109
	s_delay_alu instid0(VALU_DEP_3)
	v_lshlrev_b32_e32 v25, 2, v25
	ds_bpermute_b32 v19, v25, v12
	ds_bpermute_b32 v18, v25, v11
	s_waitcnt lgkmcnt(4)
	v_add_f32_e32 v15, v15, v23
	ds_bpermute_b32 v23, v25, v16
	s_waitcnt lgkmcnt(4)
	v_add_f32_e32 v13, v13, v21
	s_waitcnt lgkmcnt(3)
	v_add_f32_e32 v9, v9, v17
	ds_bpermute_b32 v17, v25, v10
	ds_bpermute_b32 v21, v25, v14
	;; [unrolled: 1-line block ×3, first 2 shown]
	s_waitcnt lgkmcnt(5)
	v_add_f32_e32 v12, v12, v19
	ds_bpermute_b32 v20, v25, v13
	s_waitcnt lgkmcnt(4)
	v_add_f32_e32 v16, v16, v23
	ds_bpermute_b32 v24, v25, v9
	s_waitcnt lgkmcnt(4)
	v_dual_add_f32 v10, v10, v17 :: v_dual_cndmask_b32 v25, v8, v111
	v_cmp_lt_i32_e32 vcc_lo, v110, v109
	s_waitcnt lgkmcnt(3)
	v_add_f32_e32 v14, v14, v21
	s_delay_alu instid0(VALU_DEP_3)
	v_dual_cndmask_b32 v8, v8, v110 :: v_dual_lshlrev_b32 v25, 2, v25
	s_and_b32 vcc_lo, exec_lo, s3
	ds_bpermute_b32 v19, v25, v12
	v_lshlrev_b32_e32 v8, 2, v8
	s_waitcnt lgkmcnt(0)
	v_add_f32_e32 v12, v12, v19
	ds_bpermute_b32 v17, v25, v10
	ds_bpermute_b32 v21, v25, v14
	;; [unrolled: 1-line block ×3, first 2 shown]
	v_add_f32_e32 v11, v11, v18
	ds_bpermute_b32 v19, v8, v12
	v_add_f32_e32 v9, v9, v24
	v_add_f32_e32 v13, v13, v20
	ds_bpermute_b32 v24, v25, v9
	s_waitcnt lgkmcnt(4)
	v_add_f32_e32 v10, v10, v17
	s_waitcnt lgkmcnt(3)
	v_add_f32_e32 v14, v14, v21
	;; [unrolled: 2-line block ×3, first 2 shown]
	ds_bpermute_b32 v18, v25, v11
	ds_bpermute_b32 v20, v25, v13
	;; [unrolled: 1-line block ×4, first 2 shown]
	s_waitcnt lgkmcnt(4)
	v_add_f32_e32 v17, v9, v24
	ds_bpermute_b32 v9, v8, v10
	v_add_f32_e32 v15, v15, v22
	ds_bpermute_b32 v24, v8, v17
	ds_bpermute_b32 v22, v25, v15
	s_waitcnt lgkmcnt(6)
	v_add_f32_e32 v11, v11, v18
	s_waitcnt lgkmcnt(5)
	v_add_f32_e32 v13, v13, v20
	ds_bpermute_b32 v18, v8, v11
	ds_bpermute_b32 v20, v8, v13
	s_waitcnt lgkmcnt(2)
	v_add_f32_e32 v15, v15, v22
	ds_bpermute_b32 v22, v8, v15
	v_add_f32_e32 v8, v10, v9
	v_add_f32_e32 v10, v12, v19
	;; [unrolled: 1-line block ×3, first 2 shown]
	s_waitcnt lgkmcnt(2)
	v_dual_add_f32 v14, v16, v23 :: v_dual_add_f32 v9, v11, v18
	s_waitcnt lgkmcnt(1)
	v_add_f32_e32 v11, v13, v20
	s_waitcnt lgkmcnt(0)
	v_add_f32_e32 v13, v15, v22
	v_add_f32_e32 v15, v17, v24
	s_cbranch_vccnz .LBB52_122
; %bb.120:
	s_lshl_b64 s[4:5], s[34:35], 2
	v_dual_mov_b32 v16, 0 :: v_dual_max_f32 v17, v0, v0
	s_add_u32 s4, s24, s4
	s_addc_u32 s5, s25, s5
	v_dual_max_f32 v18, v1, v1 :: v_dual_max_f32 v19, v2, v2
	global_load_b32 v16, v16, s[4:5]
	v_max_f32_e32 v20, v3, v3
	v_dual_max_f32 v22, v4, v4 :: v_dual_max_f32 v23, v5, v5
	v_dual_max_f32 v30, v6, v6 :: v_dual_max_f32 v31, v7, v7
	s_waitcnt vmcnt(0)
	v_max_f32_e32 v21, v16, v16
	s_delay_alu instid0(VALU_DEP_1) | instskip(NEXT) | instid1(VALU_DEP_1)
	v_max_f32_e32 v26, v19, v21
	v_dual_max_f32 v24, v17, v21 :: v_dual_sub_f32 v19, v16, v26
	s_delay_alu instid0(VALU_DEP_1) | instskip(SKIP_2) | instid1(VALU_DEP_2)
	v_sub_f32_e32 v17, v16, v24
	v_dual_max_f32 v27, v20, v21 :: v_dual_sub_f32 v2, v2, v26
	v_dual_max_f32 v25, v18, v21 :: v_dual_sub_f32 v0, v0, v24
	;; [unrolled: 1-line block ×4, first 2 shown]
	v_max_f32_e32 v30, v30, v21
	s_delay_alu instid0(VALU_DEP_3) | instskip(SKIP_2) | instid1(VALU_DEP_3)
	v_dual_max_f32 v31, v31, v21 :: v_dual_sub_f32 v4, v4, v28
	v_sub_f32_e32 v18, v16, v25
	v_sub_f32_e32 v21, v16, v28
	v_dual_sub_f32 v5, v5, v29 :: v_dual_sub_f32 v32, v16, v31
	v_sub_f32_e32 v23, v16, v30
	v_dual_sub_f32 v7, v7, v31 :: v_dual_sub_f32 v22, v16, v29
	v_dual_mul_f32 v35, 0x3fb8aa3b, v18 :: v_dual_mul_f32 v16, 0x3fb8aa3b, v0
	v_dual_sub_f32 v1, v1, v25 :: v_dual_sub_f32 v6, v6, v30
	v_dual_mul_f32 v33, 0x3fb8aa3b, v17 :: v_dual_mul_f32 v36, 0x3fb8aa3b, v2
	s_delay_alu instid0(VALU_DEP_3) | instskip(SKIP_1) | instid1(VALU_DEP_4)
	v_fma_f32 v48, 0x3fb8aa3b, v0, -v16
	v_rndne_f32_e32 v49, v16
	v_dual_mul_f32 v34, 0x3fb8aa3b, v1 :: v_dual_mul_f32 v37, 0x3fb8aa3b, v19
	s_delay_alu instid0(VALU_DEP_4)
	v_fma_f32 v50, 0x3fb8aa3b, v17, -v33
	v_rndne_f32_e32 v51, v33
	v_rndne_f32_e32 v55, v35
	v_fmac_f32_e32 v48, 0x32a5705f, v0
	v_sub_f32_e32 v16, v16, v49
	v_dual_mul_f32 v38, 0x3fb8aa3b, v3 :: v_dual_mul_f32 v39, 0x3fb8aa3b, v20
	v_dual_mul_f32 v40, 0x3fb8aa3b, v4 :: v_dual_mul_f32 v41, 0x3fb8aa3b, v21
	v_fma_f32 v52, 0x3fb8aa3b, v1, -v34
	v_rndne_f32_e32 v53, v34
	v_fma_f32 v54, 0x3fb8aa3b, v18, -v35
	v_fma_f32 v58, 0x3fb8aa3b, v19, -v37
	v_rndne_f32_e32 v59, v37
	v_dual_fmac_f32 v50, 0x32a5705f, v17 :: v_dual_sub_f32 v33, v33, v51
	v_dual_sub_f32 v35, v35, v55 :: v_dual_add_f32 v16, v16, v48
	v_dual_mul_f32 v42, 0x3fb8aa3b, v5 :: v_dual_mul_f32 v43, 0x3fb8aa3b, v22
	v_rndne_f32_e32 v63, v39
	v_rndne_f32_e32 v67, v41
	v_fmac_f32_e32 v52, 0x32a5705f, v1
	v_dual_sub_f32 v34, v34, v53 :: v_dual_sub_f32 v37, v37, v59
	v_dual_fmac_f32 v58, 0x32a5705f, v19 :: v_dual_add_f32 v33, v33, v50
	v_exp_f32_e32 v16, v16
	v_dual_mul_f32 v44, 0x3fb8aa3b, v6 :: v_dual_mul_f32 v45, 0x3fb8aa3b, v23
	v_dual_mul_f32 v46, 0x3fb8aa3b, v7 :: v_dual_mul_f32 v47, 0x3fb8aa3b, v32
	v_fma_f32 v56, 0x3fb8aa3b, v2, -v36
	v_rndne_f32_e32 v57, v36
	v_fma_f32 v60, 0x3fb8aa3b, v3, -v38
	v_fma_f32 v62, 0x3fb8aa3b, v20, -v39
	v_fma_f32 v66, 0x3fb8aa3b, v21, -v41
	v_rndne_f32_e32 v71, v43
	v_cvt_i32_f32_e32 v49, v49
	v_dual_fmac_f32 v54, 0x32a5705f, v18 :: v_dual_sub_f32 v39, v39, v63
	v_dual_sub_f32 v41, v41, v67 :: v_dual_add_f32 v34, v34, v52
	v_exp_f32_e32 v33, v33
	v_fma_f32 v70, 0x3fb8aa3b, v22, -v43
	v_rndne_f32_e32 v75, v45
	v_rndne_f32_e32 v79, v47
	v_cvt_i32_f32_e32 v51, v51
	v_fmac_f32_e32 v56, 0x32a5705f, v2
	v_dual_sub_f32 v36, v36, v57 :: v_dual_sub_f32 v43, v43, v71
	v_dual_fmac_f32 v60, 0x32a5705f, v3 :: v_dual_add_f32 v35, v35, v54
	v_exp_f32_e32 v34, v34
	v_ldexp_f32 v16, v16, v49
	v_cmp_ngt_f32_e32 vcc_lo, 0xc2ce8ed0, v0
	v_rndne_f32_e32 v61, v38
	v_fma_f32 v74, 0x3fb8aa3b, v23, -v45
	v_fma_f32 v78, 0x3fb8aa3b, v32, -v47
	v_cvt_i32_f32_e32 v53, v53
	v_sub_f32_e32 v45, v45, v75
	v_dual_sub_f32 v47, v47, v79 :: v_dual_add_f32 v36, v36, v56
	v_exp_f32_e32 v35, v35
	v_ldexp_f32 v33, v33, v51
	v_cndmask_b32_e32 v16, 0, v16, vcc_lo
	v_cmp_ngt_f32_e32 vcc_lo, 0xc2ce8ed0, v17
	v_cvt_i32_f32_e32 v55, v55
	v_dual_sub_f32 v38, v38, v61 :: v_dual_add_f32 v37, v37, v58
	v_dual_fmac_f32 v70, 0x32a5705f, v22 :: v_dual_cndmask_b32 v33, 0, v33
	v_fmac_f32_e32 v74, 0x32a5705f, v23
	v_exp_f32_e32 v36, v36
	v_ldexp_f32 v34, v34, v53
	v_cmp_ngt_f32_e32 vcc_lo, 0xc2ce8ed0, v1
	v_fma_f32 v64, 0x3fb8aa3b, v4, -v40
	v_rndne_f32_e32 v65, v40
	v_rndne_f32_e32 v69, v42
	v_cvt_i32_f32_e32 v57, v57
	v_dual_fmac_f32 v66, 0x32a5705f, v21 :: v_dual_add_f32 v45, v45, v74
	v_fmac_f32_e32 v62, 0x32a5705f, v20
	v_add_f32_e32 v38, v38, v60
	v_exp_f32_e32 v37, v37
	v_ldexp_f32 v35, v35, v55
	v_cndmask_b32_e32 v34, 0, v34, vcc_lo
	v_cmp_ngt_f32_e32 vcc_lo, 0xc2ce8ed0, v18
	v_fma_f32 v68, 0x3fb8aa3b, v5, -v42
	v_cvt_i32_f32_e32 v59, v59
	v_dual_sub_f32 v40, v40, v65 :: v_dual_add_f32 v43, v43, v70
	v_dual_sub_f32 v42, v42, v69 :: v_dual_cndmask_b32 v35, 0, v35
	v_dual_add_f32 v41, v41, v66 :: v_dual_fmac_f32 v64, 0x32a5705f, v4
	v_add_f32_e32 v39, v39, v62
	v_exp_f32_e32 v38, v38
	v_ldexp_f32 v36, v36, v57
	v_cmp_ngt_f32_e32 vcc_lo, 0xc2ce8ed0, v2
	v_fma_f32 v72, 0x3fb8aa3b, v6, -v44
	v_cvt_i32_f32_e32 v61, v61
	v_add_f32_e32 v40, v40, v64
	v_exp_f32_e32 v39, v39
	v_ldexp_f32 v37, v37, v59
	v_cndmask_b32_e32 v36, 0, v36, vcc_lo
	v_cmp_ngt_f32_e32 vcc_lo, 0xc2ce8ed0, v19
	v_cvt_i32_f32_e32 v63, v63
	v_fmac_f32_e32 v72, 0x32a5705f, v6
	v_fmac_f32_e32 v78, 0x32a5705f, v32
	;; [unrolled: 1-line block ×3, first 2 shown]
	v_exp_f32_e32 v40, v40
	v_ldexp_f32 v38, v38, v61
	v_cndmask_b32_e32 v37, 0, v37, vcc_lo
	v_add_f32_e32 v47, v47, v78
	v_cmp_ngt_f32_e32 vcc_lo, 0xc2ce8ed0, v3
	v_rndne_f32_e32 v73, v44
	v_cvt_i32_f32_e32 v65, v65
	v_add_f32_e32 v42, v42, v68
	v_exp_f32_e32 v41, v41
	v_ldexp_f32 v39, v39, v63
	v_cndmask_b32_e32 v38, 0, v38, vcc_lo
	v_cmp_ngt_f32_e32 vcc_lo, 0xc2ce8ed0, v20
	v_cvt_i32_f32_e32 v67, v67
	v_sub_f32_e32 v44, v44, v73
	v_exp_f32_e32 v42, v42
	v_ldexp_f32 v40, v40, v65
	v_cndmask_b32_e32 v39, 0, v39, vcc_lo
	v_cmp_ngt_f32_e32 vcc_lo, 0xc2ce8ed0, v4
	v_cvt_i32_f32_e32 v69, v69
	v_add_f32_e32 v44, v44, v72
	v_exp_f32_e32 v43, v43
	v_ldexp_f32 v41, v41, v67
	v_cndmask_b32_e32 v40, 0, v40, vcc_lo
	v_cmp_ngt_f32_e32 vcc_lo, 0xc2ce8ed0, v21
	v_cvt_i32_f32_e32 v71, v71
	v_exp_f32_e32 v44, v44
	v_ldexp_f32 v42, v42, v69
	v_rndne_f32_e32 v77, v46
	v_cndmask_b32_e32 v41, 0, v41, vcc_lo
	v_cmp_ngt_f32_e32 vcc_lo, 0xc2ce8ed0, v5
	v_cvt_i32_f32_e32 v73, v73
	v_exp_f32_e32 v45, v45
	v_ldexp_f32 v43, v43, v71
	v_fma_f32 v76, 0x3fb8aa3b, v7, -v46
	v_cndmask_b32_e32 v42, 0, v42, vcc_lo
	v_cmp_ngt_f32_e32 vcc_lo, 0xc2ce8ed0, v22
	v_cvt_i32_f32_e32 v75, v75
	v_sub_f32_e32 v46, v46, v77
	v_ldexp_f32 v44, v44, v73
	v_cvt_i32_f32_e32 v77, v77
	v_cndmask_b32_e32 v43, 0, v43, vcc_lo
	v_cmp_ngt_f32_e32 vcc_lo, 0xc2ce8ed0, v6
	v_ldexp_f32 v45, v45, v75
	v_exp_f32_e32 v47, v47
	v_cvt_i32_f32_e32 v79, v79
	v_cndmask_b32_e32 v44, 0, v44, vcc_lo
	v_cmp_ngt_f32_e32 vcc_lo, 0xc2ce8ed0, v23
	v_dual_fmac_f32 v76, 0x32a5705f, v7 :: v_dual_cndmask_b32 v45, 0, v45
	s_delay_alu instid0(VALU_DEP_1) | instskip(SKIP_1) | instid1(TRANS32_DEP_1)
	v_add_f32_e32 v46, v46, v76
	v_cmp_ngt_f32_e32 vcc_lo, 0xc2ce8ed0, v7
	v_ldexp_f32 v47, v47, v79
	s_delay_alu instid0(VALU_DEP_3) | instskip(SKIP_2) | instid1(VALU_DEP_1)
	v_exp_f32_e32 v46, v46
	s_waitcnt_depctr 0xfff
	v_ldexp_f32 v46, v46, v77
	v_cndmask_b32_e32 v46, 0, v46, vcc_lo
	v_cmp_ngt_f32_e32 vcc_lo, 0xc2ce8ed0, v32
	v_cndmask_b32_e32 v47, 0, v47, vcc_lo
	v_cmp_nlt_f32_e32 vcc_lo, 0x42b17218, v0
	v_cndmask_b32_e32 v0, 0x7f800000, v16, vcc_lo
	v_cmp_nlt_f32_e32 vcc_lo, 0x42b17218, v17
	;; [unrolled: 2-line block ×3, first 2 shown]
	s_delay_alu instid0(VALU_DEP_2) | instskip(SKIP_4) | instid1(VALU_DEP_3)
	v_dual_fmac_f32 v16, v8, v0 :: v_dual_cndmask_b32 v1, 0x7f800000, v34
	v_cmp_nlt_f32_e32 vcc_lo, 0x42b17218, v18
	v_cvt_f16_f32_e32 v0, v0
	v_cndmask_b32_e32 v17, 0x7f800000, v35, vcc_lo
	v_cmp_nlt_f32_e32 vcc_lo, 0x42b17218, v2
	v_pk_mul_f16 v142, v0, v142 op_sel_hi:[0,1]
	v_pk_mul_f16 v143, v0, v143 op_sel_hi:[0,1]
	s_delay_alu instid0(VALU_DEP_4) | instskip(SKIP_4) | instid1(VALU_DEP_3)
	v_dual_fmac_f32 v17, v9, v1 :: v_dual_cndmask_b32 v2, 0x7f800000, v36
	v_cmp_nlt_f32_e32 vcc_lo, 0x42b17218, v19
	v_cvt_f16_f32_e32 v1, v1
	v_cndmask_b32_e32 v18, 0x7f800000, v37, vcc_lo
	v_cmp_nlt_f32_e32 vcc_lo, 0x42b17218, v3
	v_pk_mul_f16 v140, v1, v140 op_sel_hi:[0,1]
	v_pk_mul_f16 v141, v1, v141 op_sel_hi:[0,1]
	s_delay_alu instid0(VALU_DEP_4)
	v_fmac_f32_e32 v18, v10, v2
	v_cndmask_b32_e32 v3, 0x7f800000, v38, vcc_lo
	v_cmp_nlt_f32_e32 vcc_lo, 0x42b17218, v20
	v_cvt_f16_f32_e32 v2, v2
	v_cndmask_b32_e32 v19, 0x7f800000, v39, vcc_lo
	v_cmp_nlt_f32_e32 vcc_lo, 0x42b17218, v4
	s_delay_alu instid0(VALU_DEP_3) | instskip(SKIP_1) | instid1(VALU_DEP_4)
	v_pk_mul_f16 v137, v2, v137 op_sel_hi:[0,1]
	v_pk_mul_f16 v138, v2, v138 op_sel_hi:[0,1]
	v_dual_fmac_f32 v19, v11, v3 :: v_dual_cndmask_b32 v4, 0x7f800000, v40
	v_cmp_nlt_f32_e32 vcc_lo, 0x42b17218, v21
	v_cvt_f16_f32_e32 v3, v3
	v_cndmask_b32_e32 v20, 0x7f800000, v41, vcc_lo
	v_cmp_nlt_f32_e32 vcc_lo, 0x42b17218, v5
	s_delay_alu instid0(VALU_DEP_3) | instskip(SKIP_1) | instid1(VALU_DEP_4)
	v_pk_mul_f16 v135, v3, v135 op_sel_hi:[0,1]
	v_pk_mul_f16 v136, v3, v136 op_sel_hi:[0,1]
	v_dual_fmac_f32 v20, v12, v4 :: v_dual_cndmask_b32 v5, 0x7f800000, v42
	;; [unrolled: 8-line block ×3, first 2 shown]
	v_cmp_nlt_f32_e32 vcc_lo, 0x42b17218, v23
	v_cvt_f16_f32_e32 v5, v5
	v_cndmask_b32_e32 v22, 0x7f800000, v45, vcc_lo
	v_cmp_nlt_f32_e32 vcc_lo, 0x42b17218, v7
	s_delay_alu instid0(VALU_DEP_3) | instskip(SKIP_1) | instid1(VALU_DEP_4)
	v_pk_mul_f16 v131, v5, v131 op_sel_hi:[0,1]
	v_pk_mul_f16 v132, v5, v132 op_sel_hi:[0,1]
	v_fmac_f32_e32 v22, v14, v6
	v_cndmask_b32_e32 v7, 0x7f800000, v46, vcc_lo
	v_cmp_nlt_f32_e32 vcc_lo, 0x42b17218, v32
	v_cvt_f16_f32_e32 v6, v6
	v_cndmask_b32_e32 v23, 0x7f800000, v47, vcc_lo
	s_delay_alu instid0(VALU_DEP_2) | instskip(SKIP_1) | instid1(VALU_DEP_3)
	v_pk_mul_f16 v129, v6, v129 op_sel_hi:[0,1]
	v_pk_mul_f16 v130, v6, v130 op_sel_hi:[0,1]
	v_fmac_f32_e32 v23, v15, v7
	v_cvt_f16_f32_e32 v7, v7
	v_dual_mov_b32 v8, v16 :: v_dual_mov_b32 v9, v17
	v_dual_mov_b32 v10, v18 :: v_dual_mov_b32 v11, v19
	s_delay_alu instid0(VALU_DEP_3)
	v_pk_mul_f16 v128, v7, v128 op_sel_hi:[0,1]
	v_pk_mul_f16 v124, v7, v124 op_sel_hi:[0,1]
	v_dual_mov_b32 v0, v24 :: v_dual_mov_b32 v7, v31
	v_dual_mov_b32 v12, v20 :: v_dual_mov_b32 v13, v21
	v_dual_mov_b32 v14, v22 :: v_dual_mov_b32 v15, v23
	v_dual_mov_b32 v1, v25 :: v_dual_mov_b32 v2, v26
	v_dual_mov_b32 v3, v27 :: v_dual_mov_b32 v4, v28
	v_dual_mov_b32 v5, v29 :: v_dual_mov_b32 v6, v30
	s_mov_b32 s3, exec_lo
	v_cmpx_gt_i32_e64 s38, v123
	s_cbranch_execnz .LBB52_123
.LBB52_121:
	s_nop 0
	s_sendmsg sendmsg(MSG_DEALLOC_VGPRS)
	s_endpgm
.LBB52_122:
	v_dual_mov_b32 v16, v8 :: v_dual_mov_b32 v17, v9
	v_dual_mov_b32 v18, v10 :: v_dual_mov_b32 v19, v11
	v_dual_mov_b32 v20, v12 :: v_dual_mov_b32 v21, v13
	v_dual_mov_b32 v22, v14 :: v_dual_mov_b32 v23, v15
	s_mov_b32 s3, exec_lo
	v_cmpx_gt_i32_e64 s38, v123
	s_cbranch_execz .LBB52_121
.LBB52_123:
	s_load_b32 s0, s[0:1], 0xd4
	v_mov_b32_e32 v26, 1.0
	s_waitcnt lgkmcnt(0)
	s_cmp_lg_u32 s0, 1
	s_cselect_b32 s3, -1, 0
	s_cmp_eq_u32 s0, 1
	s_cselect_b32 s4, -1, 0
	s_and_b32 vcc_lo, exec_lo, s3
	s_cbranch_vccnz .LBB52_125
; %bb.124:
	v_div_scale_f32 v24, null, v16, v16, 1.0
	s_delay_alu instid0(VALU_DEP_1) | instskip(SKIP_2) | instid1(VALU_DEP_1)
	v_rcp_f32_e32 v25, v24
	s_waitcnt_depctr 0xfff
	v_fma_f32 v26, -v24, v25, 1.0
	v_fmac_f32_e32 v25, v26, v25
	v_div_scale_f32 v26, vcc_lo, 1.0, v16, 1.0
	s_delay_alu instid0(VALU_DEP_1) | instskip(NEXT) | instid1(VALU_DEP_1)
	v_mul_f32_e32 v27, v26, v25
	v_fma_f32 v28, -v24, v27, v26
	s_delay_alu instid0(VALU_DEP_1) | instskip(NEXT) | instid1(VALU_DEP_1)
	v_fmac_f32_e32 v27, v28, v25
	v_fma_f32 v24, -v24, v27, v26
	s_delay_alu instid0(VALU_DEP_1) | instskip(NEXT) | instid1(VALU_DEP_1)
	v_div_fmas_f32 v24, v24, v25, v27
	v_div_fixup_f32 v26, v24, v16, 1.0
.LBB52_125:
	s_mul_i32 s1, s46, s38
	s_delay_alu instid0(SALU_CYCLE_1) | instskip(NEXT) | instid1(SALU_CYCLE_1)
	s_add_i32 s1, s1, s33
	v_add_nc_u32_e32 v16, s1, v122
	s_delay_alu instid0(VALU_DEP_1) | instskip(NEXT) | instid1(VALU_DEP_1)
	v_mad_u64_u32 v[27:28], null, v16, s39, s[34:35]
	v_mad_u64_u32 v[24:25], null, s0, v27, s[14:15]
	s_and_saveexec_b32 s5, s2
	s_cbranch_execz .LBB52_127
; %bb.126:
	v_lshrrev_b32_e32 v16, 16, v143
	s_delay_alu instid0(VALU_DEP_2) | instskip(SKIP_2) | instid1(VALU_DEP_4)
	v_mad_u64_u32 v[27:28], null, 0x50, v24, v[104:105]
	v_lshrrev_b32_e32 v25, 16, v142
	v_cvt_f32_f16_e64 v32, v143
	v_cvt_f32_f16_e32 v16, v16
	v_mov_b32_e32 v28, 0
	v_cvt_f32_f16_e64 v33, v142
	v_cvt_f32_f16_e32 v25, v25
	s_delay_alu instid0(VALU_DEP_4) | instskip(NEXT) | instid1(VALU_DEP_4)
	v_mul_f32_e32 v29, v26, v16
	v_lshlrev_b64 v[30:31], 2, v[27:28]
	v_mul_f32_e32 v28, v26, v32
	s_delay_alu instid0(VALU_DEP_4) | instskip(SKIP_1) | instid1(VALU_DEP_4)
	v_mul_f32_e32 v27, v26, v25
	v_mul_f32_e32 v26, v26, v33
	v_add_co_u32 v30, vcc_lo, s28, v30
	v_add_co_ci_u32_e32 v31, vcc_lo, s29, v31, vcc_lo
	global_store_b128 v[30:31], v[26:29], off
.LBB52_127:
	s_or_b32 exec_lo, exec_lo, s5
	v_cmp_eq_u32_e32 vcc_lo, 0, v119
	s_and_b32 s3, vcc_lo, s3
	s_delay_alu instid0(SALU_CYCLE_1)
	s_and_saveexec_b32 s5, s3
	s_cbranch_execz .LBB52_129
; %bb.128:
	v_ashrrev_i32_e32 v25, 31, v24
	v_mov_b32_e32 v26, v0
	v_mov_b32_e32 v27, v8
	s_delay_alu instid0(VALU_DEP_3) | instskip(NEXT) | instid1(VALU_DEP_1)
	v_lshlrev_b64 v[24:25], 3, v[24:25]
	v_add_co_u32 v24, vcc_lo, s30, v24
	s_delay_alu instid0(VALU_DEP_2)
	v_add_co_ci_u32_e32 v25, vcc_lo, s31, v25, vcc_lo
	global_store_b64 v[24:25], v[26:27], off
.LBB52_129:
	s_or_b32 exec_lo, exec_lo, s5
	v_cmp_gt_i32_e32 vcc_lo, s38, v121
	s_and_b32 exec_lo, exec_lo, vcc_lo
	s_cbranch_execz .LBB52_121
; %bb.130:
	v_cndmask_b32_e64 v24, 0, 1, s4
	v_mov_b32_e32 v0, 1.0
	s_and_not1_b32 vcc_lo, exec_lo, s4
	s_cbranch_vccnz .LBB52_132
; %bb.131:
	v_div_scale_f32 v0, null, v17, v17, 1.0
	s_delay_alu instid0(VALU_DEP_1) | instskip(SKIP_2) | instid1(VALU_DEP_1)
	v_rcp_f32_e32 v8, v0
	s_waitcnt_depctr 0xfff
	v_fma_f32 v16, -v0, v8, 1.0
	v_fmac_f32_e32 v8, v16, v8
	v_div_scale_f32 v16, vcc_lo, 1.0, v17, 1.0
	s_delay_alu instid0(VALU_DEP_1) | instskip(NEXT) | instid1(VALU_DEP_1)
	v_mul_f32_e32 v25, v16, v8
	v_fma_f32 v26, -v0, v25, v16
	s_delay_alu instid0(VALU_DEP_1) | instskip(NEXT) | instid1(VALU_DEP_1)
	v_fmac_f32_e32 v25, v26, v8
	v_fma_f32 v0, -v0, v25, v16
	s_delay_alu instid0(VALU_DEP_1) | instskip(NEXT) | instid1(VALU_DEP_1)
	v_div_fmas_f32 v0, v0, v8, v25
	v_div_fixup_f32 v0, v0, v17, 1.0
.LBB52_132:
	v_add_nc_u32_e32 v8, s1, v120
	s_delay_alu instid0(VALU_DEP_1) | instskip(NEXT) | instid1(VALU_DEP_1)
	v_mad_u64_u32 v[25:26], null, v8, s39, s[34:35]
	v_mad_u64_u32 v[16:17], null, s0, v25, s[14:15]
	s_and_saveexec_b32 s4, s2
	s_cbranch_execz .LBB52_134
; %bb.133:
	s_delay_alu instid0(VALU_DEP_1)
	v_mad_u64_u32 v[25:26], null, 0x50, v16, v[104:105]
	v_cvt_f32_f16_e64 v27, v141
	v_mov_b32_e32 v26, 0
	v_lshrrev_b32_e32 v8, 16, v141
	v_lshrrev_b32_e32 v17, 16, v140
	v_cvt_f32_f16_e64 v31, v140
	v_mul_f32_e32 v27, v0, v27
	v_lshlrev_b64 v[29:30], 2, v[25:26]
	v_cvt_f32_f16_e32 v8, v8
	v_cvt_f32_f16_e32 v17, v17
	v_mul_f32_e32 v25, v0, v31
	s_delay_alu instid0(VALU_DEP_3) | instskip(SKIP_1) | instid1(VALU_DEP_4)
	v_mul_f32_e32 v28, v0, v8
	v_add_co_u32 v29, vcc_lo, s28, v29
	v_mul_f32_e32 v26, v0, v17
	v_add_co_ci_u32_e32 v30, vcc_lo, s29, v30, vcc_lo
	global_store_b128 v[29:30], v[25:28], off
.LBB52_134:
	s_or_b32 exec_lo, exec_lo, s4
	s_and_saveexec_b32 s4, s3
	s_cbranch_execz .LBB52_136
; %bb.135:
	s_delay_alu instid0(VALU_DEP_1) | instskip(SKIP_1) | instid1(VALU_DEP_2)
	v_ashrrev_i32_e32 v17, 31, v16
	v_mov_b32_e32 v8, v1
	v_lshlrev_b64 v[16:17], 3, v[16:17]
	s_delay_alu instid0(VALU_DEP_1) | instskip(NEXT) | instid1(VALU_DEP_2)
	v_add_co_u32 v16, vcc_lo, s30, v16
	v_add_co_ci_u32_e32 v17, vcc_lo, s31, v17, vcc_lo
	global_store_b64 v[16:17], v[8:9], off
.LBB52_136:
	s_or_b32 exec_lo, exec_lo, s4
	v_add_nc_u32_e32 v0, s33, v118
	s_delay_alu instid0(VALU_DEP_1)
	v_cmp_gt_i32_e32 vcc_lo, s38, v0
	s_and_b32 exec_lo, exec_lo, vcc_lo
	s_cbranch_execz .LBB52_121
; %bb.137:
	v_cmp_ne_u32_e32 vcc_lo, 1, v24
	v_mov_b32_e32 v8, 1.0
	s_cbranch_vccnz .LBB52_139
; %bb.138:
	v_div_scale_f32 v0, null, v18, v18, 1.0
	s_delay_alu instid0(VALU_DEP_1) | instskip(SKIP_2) | instid1(VALU_DEP_1)
	v_rcp_f32_e32 v1, v0
	s_waitcnt_depctr 0xfff
	v_fma_f32 v8, -v0, v1, 1.0
	v_fmac_f32_e32 v1, v8, v1
	v_div_scale_f32 v8, vcc_lo, 1.0, v18, 1.0
	s_delay_alu instid0(VALU_DEP_1) | instskip(NEXT) | instid1(VALU_DEP_1)
	v_mul_f32_e32 v9, v8, v1
	v_fma_f32 v16, -v0, v9, v8
	s_delay_alu instid0(VALU_DEP_1) | instskip(NEXT) | instid1(VALU_DEP_1)
	v_fmac_f32_e32 v9, v16, v1
	v_fma_f32 v0, -v0, v9, v8
	s_delay_alu instid0(VALU_DEP_1) | instskip(NEXT) | instid1(VALU_DEP_1)
	v_div_fmas_f32 v0, v0, v1, v9
	v_div_fixup_f32 v8, v0, v18, 1.0
.LBB52_139:
	v_add_nc_u32_e32 v0, s1, v118
	s_delay_alu instid0(VALU_DEP_1) | instskip(NEXT) | instid1(VALU_DEP_1)
	v_mad_u64_u32 v[16:17], null, v0, s39, s[34:35]
	v_mad_u64_u32 v[0:1], null, s0, v16, s[14:15]
	s_and_saveexec_b32 s4, s2
	s_cbranch_execz .LBB52_141
; %bb.140:
	v_lshrrev_b32_e32 v1, 16, v138
	s_delay_alu instid0(VALU_DEP_2) | instskip(SKIP_2) | instid1(VALU_DEP_4)
	v_mad_u64_u32 v[16:17], null, 0x50, v0, v[104:105]
	v_lshrrev_b32_e32 v9, 16, v137
	v_cvt_f32_f16_e64 v18, v138
	v_cvt_f32_f16_e32 v1, v1
	v_mov_b32_e32 v17, 0
	v_cvt_f32_f16_e64 v25, v137
	v_cvt_f32_f16_e32 v9, v9
	v_mul_f32_e32 v27, v8, v18
	v_mul_f32_e32 v28, v8, v1
	v_lshlrev_b64 v[16:17], 2, v[16:17]
	v_mul_f32_e32 v25, v8, v25
	v_mul_f32_e32 v26, v8, v9
	s_delay_alu instid0(VALU_DEP_3) | instskip(NEXT) | instid1(VALU_DEP_4)
	v_add_co_u32 v8, vcc_lo, s28, v16
	v_add_co_ci_u32_e32 v9, vcc_lo, s29, v17, vcc_lo
	global_store_b128 v[8:9], v[25:28], off
.LBB52_141:
	s_or_b32 exec_lo, exec_lo, s4
	s_and_saveexec_b32 s4, s3
	s_cbranch_execz .LBB52_143
; %bb.142:
	s_delay_alu instid0(VALU_DEP_1) | instskip(SKIP_1) | instid1(VALU_DEP_2)
	v_ashrrev_i32_e32 v1, 31, v0
	v_mov_b32_e32 v9, v2
	v_lshlrev_b64 v[0:1], 3, v[0:1]
	s_delay_alu instid0(VALU_DEP_1) | instskip(NEXT) | instid1(VALU_DEP_2)
	v_add_co_u32 v0, vcc_lo, s30, v0
	v_add_co_ci_u32_e32 v1, vcc_lo, s31, v1, vcc_lo
	global_store_b64 v[0:1], v[9:10], off
.LBB52_143:
	s_or_b32 exec_lo, exec_lo, s4
	v_add_nc_u32_e32 v0, s33, v117
	s_delay_alu instid0(VALU_DEP_1)
	v_cmp_gt_i32_e32 vcc_lo, s38, v0
	s_and_b32 exec_lo, exec_lo, vcc_lo
	s_cbranch_execz .LBB52_121
; %bb.144:
	v_cmp_ne_u32_e32 vcc_lo, 1, v24
	v_mov_b32_e32 v2, 1.0
	s_cbranch_vccnz .LBB52_146
; %bb.145:
	v_div_scale_f32 v0, null, v19, v19, 1.0
	s_delay_alu instid0(VALU_DEP_1) | instskip(SKIP_2) | instid1(VALU_DEP_1)
	v_rcp_f32_e32 v1, v0
	s_waitcnt_depctr 0xfff
	v_fma_f32 v2, -v0, v1, 1.0
	v_fmac_f32_e32 v1, v2, v1
	v_div_scale_f32 v2, vcc_lo, 1.0, v19, 1.0
	s_delay_alu instid0(VALU_DEP_1) | instskip(NEXT) | instid1(VALU_DEP_1)
	v_mul_f32_e32 v8, v2, v1
	v_fma_f32 v9, -v0, v8, v2
	s_delay_alu instid0(VALU_DEP_1) | instskip(NEXT) | instid1(VALU_DEP_1)
	v_fmac_f32_e32 v8, v9, v1
	v_fma_f32 v0, -v0, v8, v2
	s_delay_alu instid0(VALU_DEP_1) | instskip(NEXT) | instid1(VALU_DEP_1)
	v_div_fmas_f32 v0, v0, v1, v8
	v_div_fixup_f32 v2, v0, v19, 1.0
.LBB52_146:
	v_add_nc_u32_e32 v0, s1, v117
	s_delay_alu instid0(VALU_DEP_1) | instskip(NEXT) | instid1(VALU_DEP_1)
	v_mad_u64_u32 v[8:9], null, v0, s39, s[34:35]
	v_mad_u64_u32 v[0:1], null, s0, v8, s[14:15]
	s_and_saveexec_b32 s4, s2
	s_cbranch_execz .LBB52_148
; %bb.147:
	s_delay_alu instid0(VALU_DEP_1)
	v_mad_u64_u32 v[8:9], null, 0x50, v0, v[104:105]
	v_cvt_f32_f16_e64 v16, v136
	v_mov_b32_e32 v9, 0
	v_lshrrev_b32_e32 v1, 16, v136
	v_lshrrev_b32_e32 v10, 16, v135
	v_cvt_f32_f16_e64 v25, v135
	v_mul_f32_e32 v18, v2, v16
	v_lshlrev_b64 v[8:9], 2, v[8:9]
	v_cvt_f32_f16_e32 v1, v1
	v_cvt_f32_f16_e32 v10, v10
	v_mul_f32_e32 v16, v2, v25
	s_delay_alu instid0(VALU_DEP_3) | instskip(SKIP_1) | instid1(VALU_DEP_4)
	v_mul_f32_e32 v19, v2, v1
	v_add_co_u32 v1, vcc_lo, s28, v8
	v_mul_f32_e32 v17, v2, v10
	v_add_co_ci_u32_e32 v2, vcc_lo, s29, v9, vcc_lo
	global_store_b128 v[1:2], v[16:19], off
.LBB52_148:
	s_or_b32 exec_lo, exec_lo, s4
	s_and_saveexec_b32 s4, s3
	s_cbranch_execz .LBB52_150
; %bb.149:
	s_delay_alu instid0(VALU_DEP_1) | instskip(SKIP_1) | instid1(VALU_DEP_2)
	v_ashrrev_i32_e32 v1, 31, v0
	v_mov_b32_e32 v10, v3
	v_lshlrev_b64 v[0:1], 3, v[0:1]
	s_delay_alu instid0(VALU_DEP_1) | instskip(NEXT) | instid1(VALU_DEP_2)
	v_add_co_u32 v0, vcc_lo, s30, v0
	v_add_co_ci_u32_e32 v1, vcc_lo, s31, v1, vcc_lo
	global_store_b64 v[0:1], v[10:11], off
.LBB52_150:
	s_or_b32 exec_lo, exec_lo, s4
	v_add_nc_u32_e32 v0, s33, v116
	s_delay_alu instid0(VALU_DEP_1)
	v_cmp_gt_i32_e32 vcc_lo, s38, v0
	s_and_b32 exec_lo, exec_lo, vcc_lo
	s_cbranch_execz .LBB52_121
; %bb.151:
	v_cmp_ne_u32_e32 vcc_lo, 1, v24
	v_mov_b32_e32 v2, 1.0
	s_cbranch_vccnz .LBB52_153
; %bb.152:
	v_div_scale_f32 v0, null, v20, v20, 1.0
	s_delay_alu instid0(VALU_DEP_1) | instskip(SKIP_2) | instid1(VALU_DEP_1)
	v_rcp_f32_e32 v1, v0
	s_waitcnt_depctr 0xfff
	v_fma_f32 v2, -v0, v1, 1.0
	v_fmac_f32_e32 v1, v2, v1
	v_div_scale_f32 v2, vcc_lo, 1.0, v20, 1.0
	s_delay_alu instid0(VALU_DEP_1) | instskip(NEXT) | instid1(VALU_DEP_1)
	v_mul_f32_e32 v3, v2, v1
	v_fma_f32 v8, -v0, v3, v2
	s_delay_alu instid0(VALU_DEP_1) | instskip(NEXT) | instid1(VALU_DEP_1)
	v_fmac_f32_e32 v3, v8, v1
	v_fma_f32 v0, -v0, v3, v2
	s_delay_alu instid0(VALU_DEP_1) | instskip(NEXT) | instid1(VALU_DEP_1)
	v_div_fmas_f32 v0, v0, v1, v3
	v_div_fixup_f32 v2, v0, v20, 1.0
.LBB52_153:
	v_add_nc_u32_e32 v0, s1, v116
	s_delay_alu instid0(VALU_DEP_1) | instskip(NEXT) | instid1(VALU_DEP_1)
	v_mad_u64_u32 v[8:9], null, v0, s39, s[34:35]
	v_mad_u64_u32 v[0:1], null, s0, v8, s[14:15]
	s_and_saveexec_b32 s4, s2
	s_cbranch_execz .LBB52_155
; %bb.154:
	s_delay_alu instid0(VALU_DEP_1)
	v_mad_u64_u32 v[8:9], null, 0x50, v0, v[104:105]
	v_cvt_f32_f16_e64 v10, v134
	v_mov_b32_e32 v9, 0
	v_lshrrev_b32_e32 v1, 16, v134
	v_lshrrev_b32_e32 v3, 16, v133
	v_cvt_f32_f16_e64 v18, v133
	v_mul_f32_e32 v10, v2, v10
	v_lshlrev_b64 v[16:17], 2, v[8:9]
	v_cvt_f32_f16_e32 v1, v1
	v_cvt_f32_f16_e32 v3, v3
	v_mul_f32_e32 v8, v2, v18
	s_delay_alu instid0(VALU_DEP_3) | instskip(SKIP_1) | instid1(VALU_DEP_4)
	v_mul_f32_e32 v11, v2, v1
	v_add_co_u32 v1, vcc_lo, s28, v16
	v_mul_f32_e32 v9, v2, v3
	v_add_co_ci_u32_e32 v2, vcc_lo, s29, v17, vcc_lo
	global_store_b128 v[1:2], v[8:11], off
.LBB52_155:
	s_or_b32 exec_lo, exec_lo, s4
	s_and_saveexec_b32 s4, s3
	s_cbranch_execz .LBB52_157
; %bb.156:
	s_delay_alu instid0(VALU_DEP_1) | instskip(SKIP_1) | instid1(VALU_DEP_2)
	v_ashrrev_i32_e32 v1, 31, v0
	v_mov_b32_e32 v11, v4
	v_lshlrev_b64 v[0:1], 3, v[0:1]
	s_delay_alu instid0(VALU_DEP_1) | instskip(NEXT) | instid1(VALU_DEP_2)
	v_add_co_u32 v0, vcc_lo, s30, v0
	v_add_co_ci_u32_e32 v1, vcc_lo, s31, v1, vcc_lo
	global_store_b64 v[0:1], v[11:12], off
.LBB52_157:
	s_or_b32 exec_lo, exec_lo, s4
	v_add_nc_u32_e32 v0, s33, v115
	s_delay_alu instid0(VALU_DEP_1)
	v_cmp_gt_i32_e32 vcc_lo, s38, v0
	s_and_b32 exec_lo, exec_lo, vcc_lo
	s_cbranch_execz .LBB52_121
; %bb.158:
	v_cmp_ne_u32_e32 vcc_lo, 1, v24
	v_mov_b32_e32 v2, 1.0
	s_cbranch_vccnz .LBB52_160
; %bb.159:
	v_div_scale_f32 v0, null, v21, v21, 1.0
	s_delay_alu instid0(VALU_DEP_1) | instskip(SKIP_2) | instid1(VALU_DEP_1)
	v_rcp_f32_e32 v1, v0
	s_waitcnt_depctr 0xfff
	v_fma_f32 v2, -v0, v1, 1.0
	v_fmac_f32_e32 v1, v2, v1
	v_div_scale_f32 v2, vcc_lo, 1.0, v21, 1.0
	s_delay_alu instid0(VALU_DEP_1) | instskip(NEXT) | instid1(VALU_DEP_1)
	v_mul_f32_e32 v3, v2, v1
	v_fma_f32 v4, -v0, v3, v2
	s_delay_alu instid0(VALU_DEP_1) | instskip(NEXT) | instid1(VALU_DEP_1)
	v_fmac_f32_e32 v3, v4, v1
	v_fma_f32 v0, -v0, v3, v2
	s_delay_alu instid0(VALU_DEP_1) | instskip(NEXT) | instid1(VALU_DEP_1)
	v_div_fmas_f32 v0, v0, v1, v3
	v_div_fixup_f32 v2, v0, v21, 1.0
.LBB52_160:
	v_add_nc_u32_e32 v0, s1, v115
	s_delay_alu instid0(VALU_DEP_1) | instskip(NEXT) | instid1(VALU_DEP_1)
	v_mad_u64_u32 v[3:4], null, v0, s39, s[34:35]
	v_mad_u64_u32 v[0:1], null, s0, v3, s[14:15]
	s_and_saveexec_b32 s4, s2
	s_cbranch_execz .LBB52_162
; %bb.161:
	v_lshrrev_b32_e32 v1, 16, v132
	s_delay_alu instid0(VALU_DEP_2) | instskip(SKIP_2) | instid1(VALU_DEP_4)
	v_mad_u64_u32 v[3:4], null, 0x50, v0, v[104:105]
	v_lshrrev_b32_e32 v8, 16, v131
	v_cvt_f32_f16_e64 v9, v132
	v_cvt_f32_f16_e32 v1, v1
	v_mov_b32_e32 v4, 0
	v_cvt_f32_f16_e64 v12, v131
	v_cvt_f32_f16_e32 v8, v8
	v_mul_f32_e32 v10, v2, v9
	v_mul_f32_e32 v11, v2, v1
	v_lshlrev_b64 v[3:4], 2, v[3:4]
	s_delay_alu instid0(VALU_DEP_4) | instskip(SKIP_1) | instid1(VALU_DEP_3)
	v_mul_f32_e32 v9, v2, v8
	v_mul_f32_e32 v8, v2, v12
	v_add_co_u32 v1, vcc_lo, s28, v3
	s_delay_alu instid0(VALU_DEP_4)
	v_add_co_ci_u32_e32 v2, vcc_lo, s29, v4, vcc_lo
	global_store_b128 v[1:2], v[8:11], off
.LBB52_162:
	s_or_b32 exec_lo, exec_lo, s4
	s_and_saveexec_b32 s4, s3
	s_cbranch_execz .LBB52_164
; %bb.163:
	s_delay_alu instid0(VALU_DEP_1) | instskip(SKIP_1) | instid1(VALU_DEP_2)
	v_ashrrev_i32_e32 v1, 31, v0
	v_mov_b32_e32 v12, v5
	v_lshlrev_b64 v[0:1], 3, v[0:1]
	s_delay_alu instid0(VALU_DEP_1) | instskip(NEXT) | instid1(VALU_DEP_2)
	v_add_co_u32 v0, vcc_lo, s30, v0
	v_add_co_ci_u32_e32 v1, vcc_lo, s31, v1, vcc_lo
	global_store_b64 v[0:1], v[12:13], off
.LBB52_164:
	s_or_b32 exec_lo, exec_lo, s4
	v_add_nc_u32_e32 v0, s33, v114
	s_delay_alu instid0(VALU_DEP_1)
	v_cmp_gt_i32_e32 vcc_lo, s38, v0
	s_and_b32 exec_lo, exec_lo, vcc_lo
	s_cbranch_execz .LBB52_121
; %bb.165:
	v_cmp_ne_u32_e32 vcc_lo, 1, v24
	v_mov_b32_e32 v2, 1.0
	s_cbranch_vccnz .LBB52_167
; %bb.166:
	v_div_scale_f32 v0, null, v22, v22, 1.0
	s_delay_alu instid0(VALU_DEP_1) | instskip(SKIP_2) | instid1(VALU_DEP_1)
	v_rcp_f32_e32 v1, v0
	s_waitcnt_depctr 0xfff
	v_fma_f32 v2, -v0, v1, 1.0
	v_fmac_f32_e32 v1, v2, v1
	v_div_scale_f32 v2, vcc_lo, 1.0, v22, 1.0
	s_delay_alu instid0(VALU_DEP_1) | instskip(NEXT) | instid1(VALU_DEP_1)
	v_mul_f32_e32 v3, v2, v1
	v_fma_f32 v4, -v0, v3, v2
	s_delay_alu instid0(VALU_DEP_1) | instskip(NEXT) | instid1(VALU_DEP_1)
	v_fmac_f32_e32 v3, v4, v1
	v_fma_f32 v0, -v0, v3, v2
	s_delay_alu instid0(VALU_DEP_1) | instskip(NEXT) | instid1(VALU_DEP_1)
	v_div_fmas_f32 v0, v0, v1, v3
	v_div_fixup_f32 v2, v0, v22, 1.0
.LBB52_167:
	v_add_nc_u32_e32 v0, s1, v114
	s_delay_alu instid0(VALU_DEP_1) | instskip(NEXT) | instid1(VALU_DEP_1)
	v_mad_u64_u32 v[3:4], null, v0, s39, s[34:35]
	v_mad_u64_u32 v[0:1], null, s0, v3, s[14:15]
	s_and_saveexec_b32 s4, s2
	s_cbranch_execz .LBB52_169
; %bb.168:
	v_lshrrev_b32_e32 v1, 16, v130
	s_delay_alu instid0(VALU_DEP_2) | instskip(SKIP_2) | instid1(VALU_DEP_4)
	v_mad_u64_u32 v[3:4], null, 0x50, v0, v[104:105]
	v_lshrrev_b32_e32 v5, 16, v129
	v_cvt_f32_f16_e64 v10, v130
	v_cvt_f32_f16_e32 v1, v1
	v_mov_b32_e32 v4, 0
	v_cvt_f32_f16_e64 v12, v129
	v_cvt_f32_f16_e32 v11, v5
	s_delay_alu instid0(VALU_DEP_4) | instskip(NEXT) | instid1(VALU_DEP_4)
	v_mul_f32_e32 v5, v2, v1
	v_lshlrev_b64 v[8:9], 2, v[3:4]
	v_mul_f32_e32 v4, v2, v10
	s_delay_alu instid0(VALU_DEP_4) | instskip(SKIP_1) | instid1(VALU_DEP_4)
	v_mul_f32_e32 v3, v2, v11
	v_mul_f32_e32 v2, v2, v12
	v_add_co_u32 v8, vcc_lo, s28, v8
	v_add_co_ci_u32_e32 v9, vcc_lo, s29, v9, vcc_lo
	global_store_b128 v[8:9], v[2:5], off
.LBB52_169:
	s_or_b32 exec_lo, exec_lo, s4
	s_and_saveexec_b32 s4, s3
	s_cbranch_execz .LBB52_171
; %bb.170:
	s_delay_alu instid0(VALU_DEP_1) | instskip(SKIP_1) | instid1(VALU_DEP_2)
	v_ashrrev_i32_e32 v1, 31, v0
	v_mov_b32_e32 v13, v6
	v_lshlrev_b64 v[0:1], 3, v[0:1]
	s_delay_alu instid0(VALU_DEP_1) | instskip(NEXT) | instid1(VALU_DEP_2)
	v_add_co_u32 v0, vcc_lo, s30, v0
	v_add_co_ci_u32_e32 v1, vcc_lo, s31, v1, vcc_lo
	global_store_b64 v[0:1], v[13:14], off
.LBB52_171:
	s_or_b32 exec_lo, exec_lo, s4
	v_add_nc_u32_e32 v0, s33, v113
	s_delay_alu instid0(VALU_DEP_1)
	v_cmp_gt_i32_e32 vcc_lo, s38, v0
	s_and_b32 exec_lo, exec_lo, vcc_lo
	s_cbranch_execz .LBB52_121
; %bb.172:
	v_cmp_ne_u32_e32 vcc_lo, 1, v24
	v_mov_b32_e32 v2, 1.0
	s_cbranch_vccnz .LBB52_174
; %bb.173:
	v_div_scale_f32 v0, null, v23, v23, 1.0
	s_delay_alu instid0(VALU_DEP_1) | instskip(SKIP_2) | instid1(VALU_DEP_1)
	v_rcp_f32_e32 v1, v0
	s_waitcnt_depctr 0xfff
	v_fma_f32 v2, -v0, v1, 1.0
	v_fmac_f32_e32 v1, v2, v1
	v_div_scale_f32 v2, vcc_lo, 1.0, v23, 1.0
	s_delay_alu instid0(VALU_DEP_1) | instskip(NEXT) | instid1(VALU_DEP_1)
	v_mul_f32_e32 v3, v2, v1
	v_fma_f32 v4, -v0, v3, v2
	s_delay_alu instid0(VALU_DEP_1) | instskip(NEXT) | instid1(VALU_DEP_1)
	v_fmac_f32_e32 v3, v4, v1
	v_fma_f32 v0, -v0, v3, v2
	s_delay_alu instid0(VALU_DEP_1) | instskip(NEXT) | instid1(VALU_DEP_1)
	v_div_fmas_f32 v0, v0, v1, v3
	v_div_fixup_f32 v2, v0, v23, 1.0
.LBB52_174:
	v_add_nc_u32_e32 v0, s1, v113
	s_delay_alu instid0(VALU_DEP_1) | instskip(NEXT) | instid1(VALU_DEP_1)
	v_mad_u64_u32 v[3:4], null, v0, s39, s[34:35]
	v_mad_u64_u32 v[0:1], null, s0, v3, s[14:15]
	s_and_saveexec_b32 s0, s2
	s_cbranch_execz .LBB52_176
; %bb.175:
	v_lshrrev_b32_e32 v1, 16, v124
	s_delay_alu instid0(VALU_DEP_2) | instskip(SKIP_2) | instid1(VALU_DEP_4)
	v_mad_u64_u32 v[3:4], null, 0x50, v0, v[104:105]
	v_lshrrev_b32_e32 v5, 16, v128
	v_cvt_f32_f16_e32 v6, v124
	v_cvt_f32_f16_e32 v1, v1
	v_mov_b32_e32 v4, 0
	v_cvt_f32_f16_e64 v11, v128
	v_cvt_f32_f16_e32 v10, v5
	s_delay_alu instid0(VALU_DEP_4) | instskip(NEXT) | instid1(VALU_DEP_4)
	v_mul_f32_e32 v5, v2, v1
	v_lshlrev_b64 v[8:9], 2, v[3:4]
	v_mul_f32_e32 v4, v2, v6
	s_delay_alu instid0(VALU_DEP_4) | instskip(SKIP_1) | instid1(VALU_DEP_4)
	v_mul_f32_e32 v3, v2, v10
	v_mul_f32_e32 v2, v2, v11
	v_add_co_u32 v8, vcc_lo, s28, v8
	v_add_co_ci_u32_e32 v9, vcc_lo, s29, v9, vcc_lo
	global_store_b128 v[8:9], v[2:5], off
.LBB52_176:
	s_or_b32 exec_lo, exec_lo, s0
	s_delay_alu instid0(SALU_CYCLE_1)
	s_and_b32 exec_lo, exec_lo, s3
	s_cbranch_execz .LBB52_121
; %bb.177:
	s_delay_alu instid0(VALU_DEP_1) | instskip(SKIP_1) | instid1(VALU_DEP_2)
	v_ashrrev_i32_e32 v1, 31, v0
	v_mov_b32_e32 v14, v7
	v_lshlrev_b64 v[0:1], 3, v[0:1]
	s_delay_alu instid0(VALU_DEP_1) | instskip(NEXT) | instid1(VALU_DEP_2)
	v_add_co_u32 v0, vcc_lo, s30, v0
	v_add_co_ci_u32_e32 v1, vcc_lo, s31, v1, vcc_lo
	global_store_b64 v[0:1], v[14:15], off
	s_nop 0
	s_sendmsg sendmsg(MSG_DEALLOC_VGPRS)
	s_endpgm
	.section	.rodata,"a",@progbits
	.p2align	6, 0x0
	.amdhsa_kernel _ZL15flash_attn_tileILi80ELi80ELi64ELi1ELb0EEvPKcS1_S1_S1_S1_PKiPfP15HIP_vector_typeIfLj2EEffffjfiS5_IjLj3EEiiiiiiiiiiiliiliiiiil
		.amdhsa_group_segment_fixed_size 17600
		.amdhsa_private_segment_fixed_size 32
		.amdhsa_kernarg_size 464
		.amdhsa_user_sgpr_count 13
		.amdhsa_user_sgpr_dispatch_ptr 0
		.amdhsa_user_sgpr_queue_ptr 0
		.amdhsa_user_sgpr_kernarg_segment_ptr 1
		.amdhsa_user_sgpr_dispatch_id 0
		.amdhsa_user_sgpr_private_segment_size 0
		.amdhsa_wavefront_size32 1
		.amdhsa_uses_dynamic_stack 0
		.amdhsa_enable_private_segment 1
		.amdhsa_system_sgpr_workgroup_id_x 1
		.amdhsa_system_sgpr_workgroup_id_y 1
		.amdhsa_system_sgpr_workgroup_id_z 1
		.amdhsa_system_sgpr_workgroup_info 0
		.amdhsa_system_vgpr_workitem_id 1
		.amdhsa_next_free_vgpr 220
		.amdhsa_next_free_sgpr 57
		.amdhsa_reserve_vcc 1
		.amdhsa_float_round_mode_32 0
		.amdhsa_float_round_mode_16_64 0
		.amdhsa_float_denorm_mode_32 3
		.amdhsa_float_denorm_mode_16_64 3
		.amdhsa_dx10_clamp 1
		.amdhsa_ieee_mode 1
		.amdhsa_fp16_overflow 0
		.amdhsa_workgroup_processor_mode 1
		.amdhsa_memory_ordered 1
		.amdhsa_forward_progress 0
		.amdhsa_shared_vgpr_count 0
		.amdhsa_exception_fp_ieee_invalid_op 0
		.amdhsa_exception_fp_denorm_src 0
		.amdhsa_exception_fp_ieee_div_zero 0
		.amdhsa_exception_fp_ieee_overflow 0
		.amdhsa_exception_fp_ieee_underflow 0
		.amdhsa_exception_fp_ieee_inexact 0
		.amdhsa_exception_int_div_zero 0
	.end_amdhsa_kernel
	.section	.text._ZL15flash_attn_tileILi80ELi80ELi64ELi1ELb0EEvPKcS1_S1_S1_S1_PKiPfP15HIP_vector_typeIfLj2EEffffjfiS5_IjLj3EEiiiiiiiiiiiliiliiiiil,"axG",@progbits,_ZL15flash_attn_tileILi80ELi80ELi64ELi1ELb0EEvPKcS1_S1_S1_S1_PKiPfP15HIP_vector_typeIfLj2EEffffjfiS5_IjLj3EEiiiiiiiiiiiliiliiiiil,comdat
.Lfunc_end52:
	.size	_ZL15flash_attn_tileILi80ELi80ELi64ELi1ELb0EEvPKcS1_S1_S1_S1_PKiPfP15HIP_vector_typeIfLj2EEffffjfiS5_IjLj3EEiiiiiiiiiiiliiliiiiil, .Lfunc_end52-_ZL15flash_attn_tileILi80ELi80ELi64ELi1ELb0EEvPKcS1_S1_S1_S1_PKiPfP15HIP_vector_typeIfLj2EEffffjfiS5_IjLj3EEiiiiiiiiiiiliiliiiiil
                                        ; -- End function
	.section	.AMDGPU.csdata,"",@progbits
; Kernel info:
; codeLenInByte = 44680
; NumSgprs: 59
; NumVgprs: 220
; ScratchSize: 32
; MemoryBound: 0
; FloatMode: 240
; IeeeMode: 1
; LDSByteSize: 17600 bytes/workgroup (compile time only)
; SGPRBlocks: 7
; VGPRBlocks: 27
; NumSGPRsForWavesPerEU: 59
; NumVGPRsForWavesPerEU: 220
; Occupancy: 6
; WaveLimiterHint : 1
; COMPUTE_PGM_RSRC2:SCRATCH_EN: 1
; COMPUTE_PGM_RSRC2:USER_SGPR: 13
; COMPUTE_PGM_RSRC2:TRAP_HANDLER: 0
; COMPUTE_PGM_RSRC2:TGID_X_EN: 1
; COMPUTE_PGM_RSRC2:TGID_Y_EN: 1
; COMPUTE_PGM_RSRC2:TGID_Z_EN: 1
; COMPUTE_PGM_RSRC2:TIDIG_COMP_CNT: 1
	.section	.text._ZL25flash_attn_mask_to_KV_maxILi64EEvPK7__half2Piiii,"axG",@progbits,_ZL25flash_attn_mask_to_KV_maxILi64EEvPK7__half2Piiii,comdat
	.globl	_ZL25flash_attn_mask_to_KV_maxILi64EEvPK7__half2Piiii ; -- Begin function _ZL25flash_attn_mask_to_KV_maxILi64EEvPK7__half2Piiii
	.p2align	8
	.type	_ZL25flash_attn_mask_to_KV_maxILi64EEvPK7__half2Piiii,@function
_ZL25flash_attn_mask_to_KV_maxILi64EEvPK7__half2Piiii: ; @_ZL25flash_attn_mask_to_KV_maxILi64EEvPK7__half2Piiii
; %bb.0:
	s_load_b128 s[4:7], s[0:1], 0x0
	s_mov_b32 s2, exec_lo
	v_cmpx_gt_u32_e32 32, v0
	s_cbranch_execz .LBB53_2
; %bb.1:
	v_dual_mov_b32 v2, 1 :: v_dual_lshlrev_b32 v1, 2, v0
	ds_store_b32 v1, v2
.LBB53_2:
	s_or_b32 exec_lo, exec_lo, s2
	s_clause 0x1
	s_load_b128 s[8:11], s[0:1], 0x10
	s_load_b32 s1, s[0:1], 0x20
	v_dual_mov_b32 v2, 0 :: v_dual_and_b32 v1, 31, v0
	v_lshrrev_b32_e32 v5, 3, v0
	s_waitcnt lgkmcnt(0)
	s_barrier
	s_delay_alu instid0(VALU_DEP_2) | instskip(SKIP_4) | instid1(SALU_CYCLE_1)
	v_lshlrev_b32_e32 v6, 2, v1
	buffer_gl0_inv
	s_mul_i32 s0, s14, s9
	s_mul_i32 s2, s15, s10
	s_lshl_b32 s0, s0, 6
	s_add_i32 s2, s2, s0
	v_cmp_eq_u32_e64 s0, 0, v1
	s_ashr_i32 s3, s2, 31
	s_delay_alu instid0(SALU_CYCLE_1) | instskip(NEXT) | instid1(SALU_CYCLE_1)
	s_lshl_b64 s[10:11], s[2:3], 2
	s_add_u32 s3, s4, s10
	s_addc_u32 s4, s5, s11
	s_lshl_b32 s5, s8, 8
	s_branch .LBB53_4
.LBB53_3:                               ;   in Loop: Header=BB53_4 Depth=1
	s_or_b32 exec_lo, exec_lo, s10
	s_waitcnt lgkmcnt(0)
	s_barrier
	buffer_gl0_inv
	ds_load_b32 v1, v6
	s_waitcnt lgkmcnt(0)
	s_barrier
	buffer_gl0_inv
	;;#ASMSTART
	;;#ASMEND
	v_cmp_ne_u32_e32 vcc_lo, 0, v1
	s_cmp_lg_u32 vcc_lo, exec_lo
	s_cselect_b32 s8, -1, 0
	s_delay_alu instid0(SALU_CYCLE_1)
	s_and_b32 vcc_lo, exec_lo, s8
	s_cbranch_vccnz .LBB53_260
.LBB53_4:                               ; =>This Inner Loop Header: Depth=1
	s_mov_b32 s2, s5
	s_addk_i32 s5, 0xff00
	s_delay_alu instid0(SALU_CYCLE_1)
	s_cmp_lt_i32 s5, 0
	s_cbranch_scc1 .LBB53_259
; %bb.5:                                ;   in Loop: Header=BB53_4 Depth=1
	s_lshr_b32 s8, s5, 1
	s_mov_b32 s10, 0
	v_add_nc_u32_e32 v1, s8, v0
	s_delay_alu instid0(VALU_DEP_1) | instskip(NEXT) | instid1(VALU_DEP_1)
	v_lshlrev_b64 v[3:4], 2, v[1:2]
	v_add_co_u32 v3, vcc_lo, s3, v3
	s_delay_alu instid0(VALU_DEP_2) | instskip(SKIP_4) | instid1(VALU_DEP_2)
	v_add_co_ci_u32_e32 v4, vcc_lo, s4, v4, vcc_lo
	global_load_b32 v3, v[3:4], off
	s_waitcnt vmcnt(0)
	v_lshrrev_b32_e32 v4, 16, v3
	v_cmp_class_f16_e64 s8, v3, 0x204
	v_and_b32_e32 v4, 0x7fff, v4
	s_delay_alu instid0(VALU_DEP_1) | instskip(NEXT) | instid1(VALU_DEP_3)
	v_cmp_eq_f16_e32 vcc_lo, 0x7c00, v4
	s_and_b32 s11, s8, vcc_lo
	s_delay_alu instid0(SALU_CYCLE_1)
	s_and_saveexec_b32 s8, s11
	s_cbranch_execz .LBB53_257
; %bb.6:                                ;   in Loop: Header=BB53_4 Depth=1
	v_add_nc_u32_e32 v3, s9, v1
	s_mov_b32 s11, 0
	s_delay_alu instid0(VALU_DEP_1) | instskip(NEXT) | instid1(VALU_DEP_1)
	v_ashrrev_i32_e32 v4, 31, v3
	v_lshlrev_b64 v[7:8], 2, v[3:4]
	s_delay_alu instid0(VALU_DEP_1) | instskip(NEXT) | instid1(VALU_DEP_2)
	v_add_co_u32 v7, vcc_lo, s3, v7
	v_add_co_ci_u32_e32 v8, vcc_lo, s4, v8, vcc_lo
	global_load_b32 v1, v[7:8], off
	s_waitcnt vmcnt(0)
	v_cmp_class_f16_e64 s12, v1, 0x204
	s_delay_alu instid0(VALU_DEP_1)
	s_and_saveexec_b32 s10, s12
	s_cbranch_execz .LBB53_256
; %bb.7:                                ;   in Loop: Header=BB53_4 Depth=1
	v_lshrrev_b32_e32 v1, 16, v1
	s_mov_b32 s12, 0
	s_delay_alu instid0(VALU_DEP_1) | instskip(NEXT) | instid1(VALU_DEP_1)
	v_cmp_class_f16_e64 s13, v1, 0x204
	s_and_saveexec_b32 s11, s13
	s_cbranch_execz .LBB53_255
; %bb.8:                                ;   in Loop: Header=BB53_4 Depth=1
	v_add_nc_u32_e32 v3, s9, v3
	s_mov_b32 s13, 0
	s_delay_alu instid0(VALU_DEP_1) | instskip(NEXT) | instid1(VALU_DEP_1)
	v_ashrrev_i32_e32 v4, 31, v3
	v_lshlrev_b64 v[7:8], 2, v[3:4]
	s_delay_alu instid0(VALU_DEP_1) | instskip(NEXT) | instid1(VALU_DEP_2)
	v_add_co_u32 v7, vcc_lo, s3, v7
	v_add_co_ci_u32_e32 v8, vcc_lo, s4, v8, vcc_lo
	global_load_b32 v1, v[7:8], off
	s_waitcnt vmcnt(0)
	v_cmp_class_f16_e64 s16, v1, 0x204
	s_delay_alu instid0(VALU_DEP_1)
	s_and_saveexec_b32 s12, s16
	s_cbranch_execz .LBB53_254
; %bb.9:                                ;   in Loop: Header=BB53_4 Depth=1
	v_lshrrev_b32_e32 v1, 16, v1
	s_mov_b32 s16, 0
	s_delay_alu instid0(VALU_DEP_1) | instskip(NEXT) | instid1(VALU_DEP_1)
	v_cmp_class_f16_e64 s17, v1, 0x204
	s_and_saveexec_b32 s13, s17
	s_cbranch_execz .LBB53_253
; %bb.10:                               ;   in Loop: Header=BB53_4 Depth=1
	v_add_nc_u32_e32 v3, s9, v3
	s_mov_b32 s17, 0
	s_delay_alu instid0(VALU_DEP_1) | instskip(NEXT) | instid1(VALU_DEP_1)
	v_ashrrev_i32_e32 v4, 31, v3
	v_lshlrev_b64 v[7:8], 2, v[3:4]
	s_delay_alu instid0(VALU_DEP_1) | instskip(NEXT) | instid1(VALU_DEP_2)
	v_add_co_u32 v7, vcc_lo, s3, v7
	v_add_co_ci_u32_e32 v8, vcc_lo, s4, v8, vcc_lo
	global_load_b32 v1, v[7:8], off
	s_waitcnt vmcnt(0)
	v_cmp_class_f16_e64 s18, v1, 0x204
	s_delay_alu instid0(VALU_DEP_1)
	s_and_saveexec_b32 s16, s18
	s_cbranch_execz .LBB53_252
; %bb.11:                               ;   in Loop: Header=BB53_4 Depth=1
	v_lshrrev_b32_e32 v1, 16, v1
	s_mov_b32 s18, 0
	s_delay_alu instid0(VALU_DEP_1) | instskip(NEXT) | instid1(VALU_DEP_1)
	v_cmp_class_f16_e64 s19, v1, 0x204
	s_and_saveexec_b32 s17, s19
	s_cbranch_execz .LBB53_251
; %bb.12:                               ;   in Loop: Header=BB53_4 Depth=1
	v_add_nc_u32_e32 v3, s9, v3
	s_mov_b32 s19, 0
	s_delay_alu instid0(VALU_DEP_1) | instskip(NEXT) | instid1(VALU_DEP_1)
	v_ashrrev_i32_e32 v4, 31, v3
	v_lshlrev_b64 v[7:8], 2, v[3:4]
	s_delay_alu instid0(VALU_DEP_1) | instskip(NEXT) | instid1(VALU_DEP_2)
	v_add_co_u32 v7, vcc_lo, s3, v7
	v_add_co_ci_u32_e32 v8, vcc_lo, s4, v8, vcc_lo
	global_load_b32 v1, v[7:8], off
	s_waitcnt vmcnt(0)
	v_cmp_class_f16_e64 s20, v1, 0x204
	s_delay_alu instid0(VALU_DEP_1)
	s_and_saveexec_b32 s18, s20
	s_cbranch_execz .LBB53_250
; %bb.13:                               ;   in Loop: Header=BB53_4 Depth=1
	;; [unrolled: 22-line block ×24, first 2 shown]
	v_lshrrev_b32_e32 v1, 16, v1
	s_mov_b32 s65, 0
	s_delay_alu instid0(VALU_DEP_1) | instskip(NEXT) | instid1(VALU_DEP_1)
	v_cmp_class_f16_e64 s66, v1, 0x204
	s_and_saveexec_b32 s64, s66
	s_cbranch_execz .LBB53_205
; %bb.58:                               ;   in Loop: Header=BB53_4 Depth=1
	v_add_nc_u32_e32 v3, s9, v3
	s_delay_alu instid0(VALU_DEP_1) | instskip(NEXT) | instid1(VALU_DEP_1)
	v_ashrrev_i32_e32 v4, 31, v3
	v_lshlrev_b64 v[7:8], 2, v[3:4]
	s_delay_alu instid0(VALU_DEP_1) | instskip(NEXT) | instid1(VALU_DEP_2)
	v_add_co_u32 v7, vcc_lo, s3, v7
	v_add_co_ci_u32_e32 v8, vcc_lo, s4, v8, vcc_lo
	global_load_b32 v1, v[7:8], off
	s_waitcnt vmcnt(0)
	v_cmp_class_f16_e64 s66, v1, 0x204
	s_mov_b32 s67, exec_lo
	s_delay_alu instid0(VALU_DEP_1) | instid1(SALU_CYCLE_1)
	s_and_b32 s66, s67, s66
                                        ; implicit-def: $vgpr10 : SGPR spill to VGPR lane
	v_writelane_b32 v10, s67, 0
	s_mov_b32 exec_lo, s66
	s_cbranch_execz .LBB53_204
; %bb.59:                               ;   in Loop: Header=BB53_4 Depth=1
	v_lshrrev_b32_e32 v1, 16, v1
	s_delay_alu instid0(VALU_DEP_1)
	v_cmp_class_f16_e64 s66, v1, 0x204
	s_mov_b32 s67, exec_lo
	s_delay_alu instid0(VALU_DEP_1) | instid1(SALU_CYCLE_1)
	s_and_b32 s66, s67, s66
	v_writelane_b32 v10, s67, 1
	s_mov_b32 exec_lo, s66
	s_cbranch_execz .LBB53_203
; %bb.60:                               ;   in Loop: Header=BB53_4 Depth=1
	v_add_nc_u32_e32 v3, s9, v3
	s_delay_alu instid0(VALU_DEP_1) | instskip(NEXT) | instid1(VALU_DEP_1)
	v_ashrrev_i32_e32 v4, 31, v3
	v_lshlrev_b64 v[7:8], 2, v[3:4]
	s_delay_alu instid0(VALU_DEP_1) | instskip(NEXT) | instid1(VALU_DEP_2)
	v_add_co_u32 v7, vcc_lo, s3, v7
	v_add_co_ci_u32_e32 v8, vcc_lo, s4, v8, vcc_lo
	global_load_b32 v1, v[7:8], off
	s_waitcnt vmcnt(0)
	v_cmp_class_f16_e64 s66, v1, 0x204
	s_mov_b32 s67, exec_lo
	s_delay_alu instid0(VALU_DEP_1) | instid1(SALU_CYCLE_1)
	s_and_b32 s66, s67, s66
	v_writelane_b32 v10, s67, 2
	s_mov_b32 exec_lo, s66
	s_cbranch_execz .LBB53_202
; %bb.61:                               ;   in Loop: Header=BB53_4 Depth=1
	v_lshrrev_b32_e32 v1, 16, v1
	s_delay_alu instid0(VALU_DEP_1)
	v_cmp_class_f16_e64 s66, v1, 0x204
	s_mov_b32 s67, exec_lo
	s_delay_alu instid0(VALU_DEP_1) | instid1(SALU_CYCLE_1)
	s_and_b32 s66, s67, s66
	v_writelane_b32 v10, s67, 3
	s_mov_b32 exec_lo, s66
	s_cbranch_execz .LBB53_201
; %bb.62:                               ;   in Loop: Header=BB53_4 Depth=1
	v_add_nc_u32_e32 v3, s9, v3
	s_delay_alu instid0(VALU_DEP_1) | instskip(NEXT) | instid1(VALU_DEP_1)
	v_ashrrev_i32_e32 v4, 31, v3
	v_lshlrev_b64 v[7:8], 2, v[3:4]
	s_delay_alu instid0(VALU_DEP_1) | instskip(NEXT) | instid1(VALU_DEP_2)
	v_add_co_u32 v7, vcc_lo, s3, v7
	v_add_co_ci_u32_e32 v8, vcc_lo, s4, v8, vcc_lo
	global_load_b32 v1, v[7:8], off
	s_waitcnt vmcnt(0)
	v_cmp_class_f16_e64 s66, v1, 0x204
	s_mov_b32 s67, exec_lo
	s_delay_alu instid0(VALU_DEP_1) | instid1(SALU_CYCLE_1)
	s_and_b32 s66, s67, s66
	;; [unrolled: 27-line block ×16, first 2 shown]
                                        ; implicit-def: $vgpr9 : SGPR spill to VGPR lane
	v_writelane_b32 v9, s67, 0
	s_mov_b32 exec_lo, s66
	s_cbranch_execz .LBB53_172
; %bb.91:                               ;   in Loop: Header=BB53_4 Depth=1
	v_lshrrev_b32_e32 v1, 16, v1
	s_delay_alu instid0(VALU_DEP_1) | instskip(NEXT) | instid1(VALU_DEP_1)
	v_cmp_class_f16_e64 s66, v1, 0x204
	s_and_saveexec_b32 s98, s66
	s_cbranch_execz .LBB53_171
; %bb.92:                               ;   in Loop: Header=BB53_4 Depth=1
	v_add_nc_u32_e32 v3, s9, v3
	s_delay_alu instid0(VALU_DEP_1) | instskip(NEXT) | instid1(VALU_DEP_1)
	v_ashrrev_i32_e32 v4, 31, v3
	v_lshlrev_b64 v[7:8], 2, v[3:4]
	s_delay_alu instid0(VALU_DEP_1) | instskip(NEXT) | instid1(VALU_DEP_2)
	v_add_co_u32 v7, vcc_lo, s3, v7
	v_add_co_ci_u32_e32 v8, vcc_lo, s4, v8, vcc_lo
	global_load_b32 v1, v[7:8], off
	s_waitcnt vmcnt(0)
	v_cmp_class_f16_e64 s66, v1, 0x204
	s_delay_alu instid0(VALU_DEP_1)
	s_and_saveexec_b32 s99, s66
	s_cbranch_execz .LBB53_170
; %bb.93:                               ;   in Loop: Header=BB53_4 Depth=1
	v_lshrrev_b32_e32 v1, 16, v1
	s_delay_alu instid0(VALU_DEP_1) | instskip(NEXT) | instid1(VALU_DEP_1)
	v_cmp_class_f16_e64 s66, v1, 0x204
	s_and_saveexec_b32 s100, s66
	s_cbranch_execz .LBB53_169
; %bb.94:                               ;   in Loop: Header=BB53_4 Depth=1
	v_add_nc_u32_e32 v3, s9, v3
	s_delay_alu instid0(VALU_DEP_1) | instskip(NEXT) | instid1(VALU_DEP_1)
	v_ashrrev_i32_e32 v4, 31, v3
	v_lshlrev_b64 v[7:8], 2, v[3:4]
	s_delay_alu instid0(VALU_DEP_1) | instskip(NEXT) | instid1(VALU_DEP_2)
	v_add_co_u32 v7, vcc_lo, s3, v7
	v_add_co_ci_u32_e32 v8, vcc_lo, s4, v8, vcc_lo
	global_load_b32 v1, v[7:8], off
	s_waitcnt vmcnt(0)
	v_cmp_class_f16_e64 s66, v1, 0x204
	s_delay_alu instid0(VALU_DEP_1)
	s_and_saveexec_b32 s101, s66
	;; [unrolled: 20-line block ×3, first 2 shown]
	s_cbranch_execz .LBB53_166
; %bb.97:                               ;   in Loop: Header=BB53_4 Depth=1
	v_lshrrev_b32_e32 v1, 16, v1
	s_delay_alu instid0(VALU_DEP_1) | instskip(NEXT) | instid1(VALU_DEP_1)
	v_cmp_class_f16_e64 s66, v1, 0x204
	s_and_saveexec_b32 s104, s66
	s_cbranch_execz .LBB53_165
; %bb.98:                               ;   in Loop: Header=BB53_4 Depth=1
	v_add_nc_u32_e32 v3, s9, v3
	s_delay_alu instid0(VALU_DEP_1) | instskip(NEXT) | instid1(VALU_DEP_1)
	v_ashrrev_i32_e32 v4, 31, v3
	v_lshlrev_b64 v[7:8], 2, v[3:4]
	s_delay_alu instid0(VALU_DEP_1) | instskip(NEXT) | instid1(VALU_DEP_2)
	v_add_co_u32 v7, vcc_lo, s3, v7
	v_add_co_ci_u32_e32 v8, vcc_lo, s4, v8, vcc_lo
	global_load_b32 v1, v[7:8], off
	s_waitcnt vmcnt(0)
	v_cmp_class_f16_e64 s66, v1, 0x204
	s_delay_alu instid0(VALU_DEP_1)
	s_and_saveexec_b32 vcc_hi, s66
	s_cbranch_execz .LBB53_164
; %bb.99:                               ;   in Loop: Header=BB53_4 Depth=1
	v_lshrrev_b32_e32 v1, 16, v1
	s_mov_b32 s66, 0
	s_delay_alu instid0(VALU_DEP_1) | instskip(NEXT) | instid1(VALU_DEP_1)
	v_cmp_class_f16_e64 s67, v1, 0x204
	s_and_saveexec_b32 s65, s67
	s_cbranch_execz .LBB53_163
; %bb.100:                              ;   in Loop: Header=BB53_4 Depth=1
	v_add_nc_u32_e32 v3, s9, v3
	s_mov_b32 s67, 0
	s_delay_alu instid0(VALU_DEP_1) | instskip(NEXT) | instid1(VALU_DEP_1)
	v_ashrrev_i32_e32 v4, 31, v3
	v_lshlrev_b64 v[7:8], 2, v[3:4]
	s_delay_alu instid0(VALU_DEP_1) | instskip(NEXT) | instid1(VALU_DEP_2)
	v_add_co_u32 v7, vcc_lo, s3, v7
	v_add_co_ci_u32_e32 v8, vcc_lo, s4, v8, vcc_lo
	global_load_b32 v1, v[7:8], off
	s_waitcnt vmcnt(0)
	v_cmp_class_f16_e64 s68, v1, 0x204
	s_delay_alu instid0(VALU_DEP_1)
	s_and_saveexec_b32 s66, s68
	s_cbranch_execz .LBB53_162
; %bb.101:                              ;   in Loop: Header=BB53_4 Depth=1
	v_lshrrev_b32_e32 v1, 16, v1
	s_mov_b32 s68, 0
	s_delay_alu instid0(VALU_DEP_1) | instskip(NEXT) | instid1(VALU_DEP_1)
	v_cmp_class_f16_e64 s69, v1, 0x204
	s_and_saveexec_b32 s67, s69
	s_cbranch_execz .LBB53_161
; %bb.102:                              ;   in Loop: Header=BB53_4 Depth=1
	v_add_nc_u32_e32 v3, s9, v3
	s_mov_b32 s69, 0
	s_delay_alu instid0(VALU_DEP_1) | instskip(NEXT) | instid1(VALU_DEP_1)
	v_ashrrev_i32_e32 v4, 31, v3
	v_lshlrev_b64 v[7:8], 2, v[3:4]
	s_delay_alu instid0(VALU_DEP_1) | instskip(NEXT) | instid1(VALU_DEP_2)
	v_add_co_u32 v7, vcc_lo, s3, v7
	v_add_co_ci_u32_e32 v8, vcc_lo, s4, v8, vcc_lo
	global_load_b32 v1, v[7:8], off
	s_waitcnt vmcnt(0)
	v_cmp_class_f16_e64 s70, v1, 0x204
	s_delay_alu instid0(VALU_DEP_1)
	s_and_saveexec_b32 s68, s70
	s_cbranch_execz .LBB53_160
; %bb.103:                              ;   in Loop: Header=BB53_4 Depth=1
	;; [unrolled: 22-line block ×15, first 2 shown]
	v_lshrrev_b32_e32 v1, 16, v1
	s_mov_b32 vcc_lo, 0
	s_delay_alu instid0(VALU_DEP_1) | instskip(NEXT) | instid1(VALU_DEP_1)
	v_cmp_class_f16_e64 s96, v1, 0x204
	s_and_saveexec_b32 s95, s96
	s_cbranch_execz .LBB53_133
; %bb.130:                              ;   in Loop: Header=BB53_4 Depth=1
	v_add_nc_u32_e32 v3, s9, v3
	s_delay_alu instid0(VALU_DEP_1) | instskip(NEXT) | instid1(VALU_DEP_1)
	v_ashrrev_i32_e32 v4, 31, v3
	v_lshlrev_b64 v[3:4], 2, v[3:4]
	s_delay_alu instid0(VALU_DEP_1) | instskip(NEXT) | instid1(VALU_DEP_2)
	v_add_co_u32 v3, vcc_lo, s3, v3
	v_add_co_ci_u32_e32 v4, vcc_lo, s4, v4, vcc_lo
	s_mov_b32 vcc_lo, 0
	global_load_b32 v1, v[3:4], off
	s_waitcnt vmcnt(0)
	v_cmp_class_f16_e64 s97, v1, 0x204
	s_delay_alu instid0(VALU_DEP_1)
	s_and_saveexec_b32 s96, s97
; %bb.131:                              ;   in Loop: Header=BB53_4 Depth=1
	v_lshrrev_b32_e32 v1, 16, v1
	s_delay_alu instid0(VALU_DEP_1) | instskip(NEXT) | instid1(VALU_DEP_1)
	v_cmp_class_f16_e64 s97, v1, 0x204
	s_and_b32 vcc_lo, s97, exec_lo
; %bb.132:                              ;   in Loop: Header=BB53_4 Depth=1
	s_or_b32 exec_lo, exec_lo, s96
	s_delay_alu instid0(SALU_CYCLE_1)
	s_and_b32 vcc_lo, vcc_lo, exec_lo
.LBB53_133:                             ;   in Loop: Header=BB53_4 Depth=1
	s_or_b32 exec_lo, exec_lo, s95
	s_delay_alu instid0(SALU_CYCLE_1)
	s_and_b32 s95, vcc_lo, exec_lo
.LBB53_134:                             ;   in Loop: Header=BB53_4 Depth=1
	s_or_b32 exec_lo, exec_lo, s94
	s_delay_alu instid0(SALU_CYCLE_1)
	s_and_b32 s94, s95, exec_lo
.LBB53_135:                             ;   in Loop: Header=BB53_4 Depth=1
	s_or_b32 exec_lo, exec_lo, s93
	s_delay_alu instid0(SALU_CYCLE_1)
	s_and_b32 s93, s94, exec_lo
.LBB53_136:                             ;   in Loop: Header=BB53_4 Depth=1
	s_or_b32 exec_lo, exec_lo, s92
	s_delay_alu instid0(SALU_CYCLE_1)
	s_and_b32 s92, s93, exec_lo
.LBB53_137:                             ;   in Loop: Header=BB53_4 Depth=1
	s_or_b32 exec_lo, exec_lo, s91
	s_delay_alu instid0(SALU_CYCLE_1)
	s_and_b32 s91, s92, exec_lo
.LBB53_138:                             ;   in Loop: Header=BB53_4 Depth=1
	s_or_b32 exec_lo, exec_lo, s90
	s_delay_alu instid0(SALU_CYCLE_1)
	s_and_b32 s90, s91, exec_lo
.LBB53_139:                             ;   in Loop: Header=BB53_4 Depth=1
	s_or_b32 exec_lo, exec_lo, s89
	s_delay_alu instid0(SALU_CYCLE_1)
	s_and_b32 s89, s90, exec_lo
.LBB53_140:                             ;   in Loop: Header=BB53_4 Depth=1
	s_or_b32 exec_lo, exec_lo, s88
	s_delay_alu instid0(SALU_CYCLE_1)
	s_and_b32 s88, s89, exec_lo
.LBB53_141:                             ;   in Loop: Header=BB53_4 Depth=1
	s_or_b32 exec_lo, exec_lo, s87
	s_delay_alu instid0(SALU_CYCLE_1)
	s_and_b32 s87, s88, exec_lo
.LBB53_142:                             ;   in Loop: Header=BB53_4 Depth=1
	s_or_b32 exec_lo, exec_lo, s86
	s_delay_alu instid0(SALU_CYCLE_1)
	s_and_b32 s86, s87, exec_lo
.LBB53_143:                             ;   in Loop: Header=BB53_4 Depth=1
	s_or_b32 exec_lo, exec_lo, s85
	s_delay_alu instid0(SALU_CYCLE_1)
	s_and_b32 s85, s86, exec_lo
.LBB53_144:                             ;   in Loop: Header=BB53_4 Depth=1
	s_or_b32 exec_lo, exec_lo, s84
	s_delay_alu instid0(SALU_CYCLE_1)
	s_and_b32 s84, s85, exec_lo
.LBB53_145:                             ;   in Loop: Header=BB53_4 Depth=1
	s_or_b32 exec_lo, exec_lo, s83
	s_delay_alu instid0(SALU_CYCLE_1)
	s_and_b32 s83, s84, exec_lo
.LBB53_146:                             ;   in Loop: Header=BB53_4 Depth=1
	s_or_b32 exec_lo, exec_lo, s82
	s_delay_alu instid0(SALU_CYCLE_1)
	s_and_b32 s82, s83, exec_lo
.LBB53_147:                             ;   in Loop: Header=BB53_4 Depth=1
	s_or_b32 exec_lo, exec_lo, s81
	s_delay_alu instid0(SALU_CYCLE_1)
	s_and_b32 s81, s82, exec_lo
.LBB53_148:                             ;   in Loop: Header=BB53_4 Depth=1
	s_or_b32 exec_lo, exec_lo, s80
	s_delay_alu instid0(SALU_CYCLE_1)
	s_and_b32 s80, s81, exec_lo
.LBB53_149:                             ;   in Loop: Header=BB53_4 Depth=1
	s_or_b32 exec_lo, exec_lo, s79
	s_delay_alu instid0(SALU_CYCLE_1)
	s_and_b32 s79, s80, exec_lo
.LBB53_150:                             ;   in Loop: Header=BB53_4 Depth=1
	s_or_b32 exec_lo, exec_lo, s78
	s_delay_alu instid0(SALU_CYCLE_1)
	s_and_b32 s78, s79, exec_lo
.LBB53_151:                             ;   in Loop: Header=BB53_4 Depth=1
	s_or_b32 exec_lo, exec_lo, s77
	s_delay_alu instid0(SALU_CYCLE_1)
	s_and_b32 s77, s78, exec_lo
.LBB53_152:                             ;   in Loop: Header=BB53_4 Depth=1
	s_or_b32 exec_lo, exec_lo, s76
	s_delay_alu instid0(SALU_CYCLE_1)
	s_and_b32 s76, s77, exec_lo
.LBB53_153:                             ;   in Loop: Header=BB53_4 Depth=1
	s_or_b32 exec_lo, exec_lo, s75
	s_delay_alu instid0(SALU_CYCLE_1)
	s_and_b32 s75, s76, exec_lo
.LBB53_154:                             ;   in Loop: Header=BB53_4 Depth=1
	s_or_b32 exec_lo, exec_lo, s74
	s_delay_alu instid0(SALU_CYCLE_1)
	s_and_b32 s74, s75, exec_lo
.LBB53_155:                             ;   in Loop: Header=BB53_4 Depth=1
	s_or_b32 exec_lo, exec_lo, s73
	s_delay_alu instid0(SALU_CYCLE_1)
	s_and_b32 s73, s74, exec_lo
.LBB53_156:                             ;   in Loop: Header=BB53_4 Depth=1
	s_or_b32 exec_lo, exec_lo, s72
	s_delay_alu instid0(SALU_CYCLE_1)
	s_and_b32 s72, s73, exec_lo
.LBB53_157:                             ;   in Loop: Header=BB53_4 Depth=1
	s_or_b32 exec_lo, exec_lo, s71
	s_delay_alu instid0(SALU_CYCLE_1)
	s_and_b32 s71, s72, exec_lo
.LBB53_158:                             ;   in Loop: Header=BB53_4 Depth=1
	s_or_b32 exec_lo, exec_lo, s70
	s_delay_alu instid0(SALU_CYCLE_1)
	s_and_b32 s70, s71, exec_lo
.LBB53_159:                             ;   in Loop: Header=BB53_4 Depth=1
	s_or_b32 exec_lo, exec_lo, s69
	s_delay_alu instid0(SALU_CYCLE_1)
	s_and_b32 s69, s70, exec_lo
.LBB53_160:                             ;   in Loop: Header=BB53_4 Depth=1
	s_or_b32 exec_lo, exec_lo, s68
	s_delay_alu instid0(SALU_CYCLE_1)
	s_and_b32 s68, s69, exec_lo
.LBB53_161:                             ;   in Loop: Header=BB53_4 Depth=1
	s_or_b32 exec_lo, exec_lo, s67
	s_delay_alu instid0(SALU_CYCLE_1)
	s_and_b32 s67, s68, exec_lo
.LBB53_162:                             ;   in Loop: Header=BB53_4 Depth=1
	s_or_b32 exec_lo, exec_lo, s66
	s_delay_alu instid0(SALU_CYCLE_1)
	s_and_b32 s66, s67, exec_lo
.LBB53_163:                             ;   in Loop: Header=BB53_4 Depth=1
	s_or_b32 exec_lo, exec_lo, s65
	s_delay_alu instid0(SALU_CYCLE_1)
	s_and_b32 s65, s66, exec_lo
.LBB53_164:                             ;   in Loop: Header=BB53_4 Depth=1
	s_or_b32 exec_lo, exec_lo, vcc_hi
	s_delay_alu instid0(SALU_CYCLE_1)
	s_and_b32 s65, s65, exec_lo
.LBB53_165:                             ;   in Loop: Header=BB53_4 Depth=1
	s_or_b32 exec_lo, exec_lo, s104
	s_delay_alu instid0(SALU_CYCLE_1)
	s_and_b32 s65, s65, exec_lo
.LBB53_166:                             ;   in Loop: Header=BB53_4 Depth=1
	s_or_b32 exec_lo, exec_lo, s103
	s_delay_alu instid0(SALU_CYCLE_1)
	s_and_b32 s65, s65, exec_lo
.LBB53_167:                             ;   in Loop: Header=BB53_4 Depth=1
	s_or_b32 exec_lo, exec_lo, s102
	s_delay_alu instid0(SALU_CYCLE_1)
	s_and_b32 s65, s65, exec_lo
.LBB53_168:                             ;   in Loop: Header=BB53_4 Depth=1
	s_or_b32 exec_lo, exec_lo, s101
	s_delay_alu instid0(SALU_CYCLE_1)
	s_and_b32 s65, s65, exec_lo
.LBB53_169:                             ;   in Loop: Header=BB53_4 Depth=1
	s_or_b32 exec_lo, exec_lo, s100
	s_delay_alu instid0(SALU_CYCLE_1)
	s_and_b32 s65, s65, exec_lo
.LBB53_170:                             ;   in Loop: Header=BB53_4 Depth=1
	s_or_b32 exec_lo, exec_lo, s99
	s_delay_alu instid0(SALU_CYCLE_1)
	s_and_b32 s65, s65, exec_lo
.LBB53_171:                             ;   in Loop: Header=BB53_4 Depth=1
	s_or_b32 exec_lo, exec_lo, s98
	s_delay_alu instid0(SALU_CYCLE_1)
	s_and_b32 s65, s65, exec_lo
.LBB53_172:                             ;   in Loop: Header=BB53_4 Depth=1
	s_delay_alu instid0(VALU_DEP_1) | instskip(NEXT) | instid1(VALU_DEP_1)
	v_readlane_b32 s66, v9, 0
	s_or_b32 exec_lo, exec_lo, s66
	s_delay_alu instid0(SALU_CYCLE_1)
	s_and_b32 s65, s65, exec_lo
.LBB53_173:                             ;   in Loop: Header=BB53_4 Depth=1
	s_delay_alu instid0(VALU_DEP_1) | instskip(NEXT) | instid1(VALU_DEP_1)
	v_readlane_b32 s66, v10, 31
	s_or_b32 exec_lo, exec_lo, s66
	s_delay_alu instid0(SALU_CYCLE_1)
	s_and_b32 s65, s65, exec_lo
.LBB53_174:                             ;   in Loop: Header=BB53_4 Depth=1
	s_delay_alu instid0(VALU_DEP_1) | instskip(NEXT) | instid1(VALU_DEP_1)
	v_readlane_b32 s66, v10, 30
	s_or_b32 exec_lo, exec_lo, s66
	s_delay_alu instid0(SALU_CYCLE_1)
	s_and_b32 s65, s65, exec_lo
.LBB53_175:                             ;   in Loop: Header=BB53_4 Depth=1
	s_delay_alu instid0(VALU_DEP_1) | instskip(NEXT) | instid1(VALU_DEP_1)
	v_readlane_b32 s66, v10, 29
	s_or_b32 exec_lo, exec_lo, s66
	s_delay_alu instid0(SALU_CYCLE_1)
	s_and_b32 s65, s65, exec_lo
.LBB53_176:                             ;   in Loop: Header=BB53_4 Depth=1
	s_delay_alu instid0(VALU_DEP_1) | instskip(NEXT) | instid1(VALU_DEP_1)
	v_readlane_b32 s66, v10, 28
	s_or_b32 exec_lo, exec_lo, s66
	s_delay_alu instid0(SALU_CYCLE_1)
	s_and_b32 s65, s65, exec_lo
.LBB53_177:                             ;   in Loop: Header=BB53_4 Depth=1
	s_delay_alu instid0(VALU_DEP_1) | instskip(NEXT) | instid1(VALU_DEP_1)
	v_readlane_b32 s66, v10, 27
	s_or_b32 exec_lo, exec_lo, s66
	s_delay_alu instid0(SALU_CYCLE_1)
	s_and_b32 s65, s65, exec_lo
.LBB53_178:                             ;   in Loop: Header=BB53_4 Depth=1
	s_delay_alu instid0(VALU_DEP_1) | instskip(NEXT) | instid1(VALU_DEP_1)
	v_readlane_b32 s66, v10, 26
	s_or_b32 exec_lo, exec_lo, s66
	s_delay_alu instid0(SALU_CYCLE_1)
	s_and_b32 s65, s65, exec_lo
.LBB53_179:                             ;   in Loop: Header=BB53_4 Depth=1
	s_delay_alu instid0(VALU_DEP_1) | instskip(NEXT) | instid1(VALU_DEP_1)
	v_readlane_b32 s66, v10, 25
	s_or_b32 exec_lo, exec_lo, s66
	s_delay_alu instid0(SALU_CYCLE_1)
	s_and_b32 s65, s65, exec_lo
.LBB53_180:                             ;   in Loop: Header=BB53_4 Depth=1
	s_delay_alu instid0(VALU_DEP_1) | instskip(NEXT) | instid1(VALU_DEP_1)
	v_readlane_b32 s66, v10, 24
	s_or_b32 exec_lo, exec_lo, s66
	s_delay_alu instid0(SALU_CYCLE_1)
	s_and_b32 s65, s65, exec_lo
.LBB53_181:                             ;   in Loop: Header=BB53_4 Depth=1
	s_delay_alu instid0(VALU_DEP_1) | instskip(NEXT) | instid1(VALU_DEP_1)
	v_readlane_b32 s66, v10, 23
	s_or_b32 exec_lo, exec_lo, s66
	s_delay_alu instid0(SALU_CYCLE_1)
	s_and_b32 s65, s65, exec_lo
.LBB53_182:                             ;   in Loop: Header=BB53_4 Depth=1
	s_delay_alu instid0(VALU_DEP_1) | instskip(NEXT) | instid1(VALU_DEP_1)
	v_readlane_b32 s66, v10, 22
	s_or_b32 exec_lo, exec_lo, s66
	s_delay_alu instid0(SALU_CYCLE_1)
	s_and_b32 s65, s65, exec_lo
.LBB53_183:                             ;   in Loop: Header=BB53_4 Depth=1
	s_delay_alu instid0(VALU_DEP_1) | instskip(NEXT) | instid1(VALU_DEP_1)
	v_readlane_b32 s66, v10, 21
	s_or_b32 exec_lo, exec_lo, s66
	s_delay_alu instid0(SALU_CYCLE_1)
	s_and_b32 s65, s65, exec_lo
.LBB53_184:                             ;   in Loop: Header=BB53_4 Depth=1
	s_delay_alu instid0(VALU_DEP_1) | instskip(NEXT) | instid1(VALU_DEP_1)
	v_readlane_b32 s66, v10, 20
	s_or_b32 exec_lo, exec_lo, s66
	s_delay_alu instid0(SALU_CYCLE_1)
	s_and_b32 s65, s65, exec_lo
.LBB53_185:                             ;   in Loop: Header=BB53_4 Depth=1
	s_delay_alu instid0(VALU_DEP_1) | instskip(NEXT) | instid1(VALU_DEP_1)
	v_readlane_b32 s66, v10, 19
	s_or_b32 exec_lo, exec_lo, s66
	s_delay_alu instid0(SALU_CYCLE_1)
	s_and_b32 s65, s65, exec_lo
.LBB53_186:                             ;   in Loop: Header=BB53_4 Depth=1
	s_delay_alu instid0(VALU_DEP_1) | instskip(NEXT) | instid1(VALU_DEP_1)
	v_readlane_b32 s66, v10, 18
	s_or_b32 exec_lo, exec_lo, s66
	s_delay_alu instid0(SALU_CYCLE_1)
	s_and_b32 s65, s65, exec_lo
.LBB53_187:                             ;   in Loop: Header=BB53_4 Depth=1
	s_delay_alu instid0(VALU_DEP_1) | instskip(NEXT) | instid1(VALU_DEP_1)
	v_readlane_b32 s66, v10, 17
	s_or_b32 exec_lo, exec_lo, s66
	s_delay_alu instid0(SALU_CYCLE_1)
	s_and_b32 s65, s65, exec_lo
.LBB53_188:                             ;   in Loop: Header=BB53_4 Depth=1
	s_delay_alu instid0(VALU_DEP_1) | instskip(NEXT) | instid1(VALU_DEP_1)
	v_readlane_b32 s66, v10, 16
	s_or_b32 exec_lo, exec_lo, s66
	s_delay_alu instid0(SALU_CYCLE_1)
	s_and_b32 s65, s65, exec_lo
.LBB53_189:                             ;   in Loop: Header=BB53_4 Depth=1
	s_delay_alu instid0(VALU_DEP_1) | instskip(NEXT) | instid1(VALU_DEP_1)
	v_readlane_b32 s66, v10, 15
	s_or_b32 exec_lo, exec_lo, s66
	s_delay_alu instid0(SALU_CYCLE_1)
	s_and_b32 s65, s65, exec_lo
.LBB53_190:                             ;   in Loop: Header=BB53_4 Depth=1
	s_delay_alu instid0(VALU_DEP_1) | instskip(NEXT) | instid1(VALU_DEP_1)
	v_readlane_b32 s66, v10, 14
	s_or_b32 exec_lo, exec_lo, s66
	s_delay_alu instid0(SALU_CYCLE_1)
	s_and_b32 s65, s65, exec_lo
.LBB53_191:                             ;   in Loop: Header=BB53_4 Depth=1
	s_delay_alu instid0(VALU_DEP_1) | instskip(NEXT) | instid1(VALU_DEP_1)
	v_readlane_b32 s66, v10, 13
	s_or_b32 exec_lo, exec_lo, s66
	s_delay_alu instid0(SALU_CYCLE_1)
	s_and_b32 s65, s65, exec_lo
.LBB53_192:                             ;   in Loop: Header=BB53_4 Depth=1
	s_delay_alu instid0(VALU_DEP_1) | instskip(NEXT) | instid1(VALU_DEP_1)
	v_readlane_b32 s66, v10, 12
	s_or_b32 exec_lo, exec_lo, s66
	s_delay_alu instid0(SALU_CYCLE_1)
	s_and_b32 s65, s65, exec_lo
.LBB53_193:                             ;   in Loop: Header=BB53_4 Depth=1
	s_delay_alu instid0(VALU_DEP_1) | instskip(NEXT) | instid1(VALU_DEP_1)
	v_readlane_b32 s66, v10, 11
	s_or_b32 exec_lo, exec_lo, s66
	s_delay_alu instid0(SALU_CYCLE_1)
	s_and_b32 s65, s65, exec_lo
.LBB53_194:                             ;   in Loop: Header=BB53_4 Depth=1
	s_delay_alu instid0(VALU_DEP_1) | instskip(NEXT) | instid1(VALU_DEP_1)
	v_readlane_b32 s66, v10, 10
	s_or_b32 exec_lo, exec_lo, s66
	s_delay_alu instid0(SALU_CYCLE_1)
	s_and_b32 s65, s65, exec_lo
.LBB53_195:                             ;   in Loop: Header=BB53_4 Depth=1
	s_delay_alu instid0(VALU_DEP_1) | instskip(NEXT) | instid1(VALU_DEP_1)
	v_readlane_b32 s66, v10, 9
	s_or_b32 exec_lo, exec_lo, s66
	s_delay_alu instid0(SALU_CYCLE_1)
	s_and_b32 s65, s65, exec_lo
.LBB53_196:                             ;   in Loop: Header=BB53_4 Depth=1
	s_delay_alu instid0(VALU_DEP_1) | instskip(NEXT) | instid1(VALU_DEP_1)
	v_readlane_b32 s66, v10, 8
	s_or_b32 exec_lo, exec_lo, s66
	s_delay_alu instid0(SALU_CYCLE_1)
	s_and_b32 s65, s65, exec_lo
.LBB53_197:                             ;   in Loop: Header=BB53_4 Depth=1
	s_delay_alu instid0(VALU_DEP_1) | instskip(NEXT) | instid1(VALU_DEP_1)
	v_readlane_b32 s66, v10, 7
	s_or_b32 exec_lo, exec_lo, s66
	s_delay_alu instid0(SALU_CYCLE_1)
	s_and_b32 s65, s65, exec_lo
.LBB53_198:                             ;   in Loop: Header=BB53_4 Depth=1
	s_delay_alu instid0(VALU_DEP_1) | instskip(NEXT) | instid1(VALU_DEP_1)
	v_readlane_b32 s66, v10, 6
	s_or_b32 exec_lo, exec_lo, s66
	s_delay_alu instid0(SALU_CYCLE_1)
	s_and_b32 s65, s65, exec_lo
.LBB53_199:                             ;   in Loop: Header=BB53_4 Depth=1
	s_delay_alu instid0(VALU_DEP_1) | instskip(NEXT) | instid1(VALU_DEP_1)
	v_readlane_b32 s66, v10, 5
	s_or_b32 exec_lo, exec_lo, s66
	s_delay_alu instid0(SALU_CYCLE_1)
	s_and_b32 s65, s65, exec_lo
.LBB53_200:                             ;   in Loop: Header=BB53_4 Depth=1
	s_delay_alu instid0(VALU_DEP_1) | instskip(NEXT) | instid1(VALU_DEP_1)
	v_readlane_b32 s66, v10, 4
	s_or_b32 exec_lo, exec_lo, s66
	s_delay_alu instid0(SALU_CYCLE_1)
	s_and_b32 s65, s65, exec_lo
.LBB53_201:                             ;   in Loop: Header=BB53_4 Depth=1
	s_delay_alu instid0(VALU_DEP_1) | instskip(NEXT) | instid1(VALU_DEP_1)
	v_readlane_b32 s66, v10, 3
	s_or_b32 exec_lo, exec_lo, s66
	s_delay_alu instid0(SALU_CYCLE_1)
	s_and_b32 s65, s65, exec_lo
.LBB53_202:                             ;   in Loop: Header=BB53_4 Depth=1
	s_delay_alu instid0(VALU_DEP_1) | instskip(NEXT) | instid1(VALU_DEP_1)
	v_readlane_b32 s66, v10, 2
	s_or_b32 exec_lo, exec_lo, s66
	s_delay_alu instid0(SALU_CYCLE_1)
	s_and_b32 s65, s65, exec_lo
.LBB53_203:                             ;   in Loop: Header=BB53_4 Depth=1
	s_delay_alu instid0(VALU_DEP_1) | instskip(NEXT) | instid1(VALU_DEP_1)
	v_readlane_b32 s66, v10, 1
	s_or_b32 exec_lo, exec_lo, s66
	s_delay_alu instid0(SALU_CYCLE_1)
	s_and_b32 s65, s65, exec_lo
.LBB53_204:                             ;   in Loop: Header=BB53_4 Depth=1
	s_delay_alu instid0(VALU_DEP_1) | instskip(NEXT) | instid1(VALU_DEP_1)
	v_readlane_b32 s66, v10, 0
	s_or_b32 exec_lo, exec_lo, s66
	s_delay_alu instid0(SALU_CYCLE_1)
	s_and_b32 s65, s65, exec_lo
.LBB53_205:                             ;   in Loop: Header=BB53_4 Depth=1
	s_or_b32 exec_lo, exec_lo, s64
	s_delay_alu instid0(SALU_CYCLE_1)
	s_and_b32 s64, s65, exec_lo
.LBB53_206:                             ;   in Loop: Header=BB53_4 Depth=1
	s_or_b32 exec_lo, exec_lo, s63
	s_delay_alu instid0(SALU_CYCLE_1)
	s_and_b32 s63, s64, exec_lo
.LBB53_207:                             ;   in Loop: Header=BB53_4 Depth=1
	s_or_b32 exec_lo, exec_lo, s62
	s_delay_alu instid0(SALU_CYCLE_1)
	s_and_b32 s62, s63, exec_lo
.LBB53_208:                             ;   in Loop: Header=BB53_4 Depth=1
	s_or_b32 exec_lo, exec_lo, s61
	s_delay_alu instid0(SALU_CYCLE_1)
	s_and_b32 s61, s62, exec_lo
.LBB53_209:                             ;   in Loop: Header=BB53_4 Depth=1
	s_or_b32 exec_lo, exec_lo, s60
	s_delay_alu instid0(SALU_CYCLE_1)
	s_and_b32 s60, s61, exec_lo
.LBB53_210:                             ;   in Loop: Header=BB53_4 Depth=1
	s_or_b32 exec_lo, exec_lo, s59
	s_delay_alu instid0(SALU_CYCLE_1)
	s_and_b32 s59, s60, exec_lo
.LBB53_211:                             ;   in Loop: Header=BB53_4 Depth=1
	s_or_b32 exec_lo, exec_lo, s58
	s_delay_alu instid0(SALU_CYCLE_1)
	s_and_b32 s58, s59, exec_lo
.LBB53_212:                             ;   in Loop: Header=BB53_4 Depth=1
	s_or_b32 exec_lo, exec_lo, s57
	s_delay_alu instid0(SALU_CYCLE_1)
	s_and_b32 s57, s58, exec_lo
.LBB53_213:                             ;   in Loop: Header=BB53_4 Depth=1
	s_or_b32 exec_lo, exec_lo, s56
	s_delay_alu instid0(SALU_CYCLE_1)
	s_and_b32 s56, s57, exec_lo
.LBB53_214:                             ;   in Loop: Header=BB53_4 Depth=1
	s_or_b32 exec_lo, exec_lo, s55
	s_delay_alu instid0(SALU_CYCLE_1)
	s_and_b32 s55, s56, exec_lo
.LBB53_215:                             ;   in Loop: Header=BB53_4 Depth=1
	s_or_b32 exec_lo, exec_lo, s54
	s_delay_alu instid0(SALU_CYCLE_1)
	s_and_b32 s54, s55, exec_lo
.LBB53_216:                             ;   in Loop: Header=BB53_4 Depth=1
	s_or_b32 exec_lo, exec_lo, s53
	s_delay_alu instid0(SALU_CYCLE_1)
	s_and_b32 s53, s54, exec_lo
.LBB53_217:                             ;   in Loop: Header=BB53_4 Depth=1
	s_or_b32 exec_lo, exec_lo, s52
	s_delay_alu instid0(SALU_CYCLE_1)
	s_and_b32 s52, s53, exec_lo
.LBB53_218:                             ;   in Loop: Header=BB53_4 Depth=1
	s_or_b32 exec_lo, exec_lo, s51
	s_delay_alu instid0(SALU_CYCLE_1)
	s_and_b32 s51, s52, exec_lo
.LBB53_219:                             ;   in Loop: Header=BB53_4 Depth=1
	s_or_b32 exec_lo, exec_lo, s50
	s_delay_alu instid0(SALU_CYCLE_1)
	s_and_b32 s50, s51, exec_lo
.LBB53_220:                             ;   in Loop: Header=BB53_4 Depth=1
	s_or_b32 exec_lo, exec_lo, s49
	s_delay_alu instid0(SALU_CYCLE_1)
	s_and_b32 s49, s50, exec_lo
.LBB53_221:                             ;   in Loop: Header=BB53_4 Depth=1
	s_or_b32 exec_lo, exec_lo, s48
	s_delay_alu instid0(SALU_CYCLE_1)
	s_and_b32 s48, s49, exec_lo
.LBB53_222:                             ;   in Loop: Header=BB53_4 Depth=1
	s_or_b32 exec_lo, exec_lo, s47
	s_delay_alu instid0(SALU_CYCLE_1)
	s_and_b32 s47, s48, exec_lo
.LBB53_223:                             ;   in Loop: Header=BB53_4 Depth=1
	s_or_b32 exec_lo, exec_lo, s46
	s_delay_alu instid0(SALU_CYCLE_1)
	s_and_b32 s46, s47, exec_lo
.LBB53_224:                             ;   in Loop: Header=BB53_4 Depth=1
	s_or_b32 exec_lo, exec_lo, s45
	s_delay_alu instid0(SALU_CYCLE_1)
	s_and_b32 s45, s46, exec_lo
.LBB53_225:                             ;   in Loop: Header=BB53_4 Depth=1
	s_or_b32 exec_lo, exec_lo, s44
	s_delay_alu instid0(SALU_CYCLE_1)
	s_and_b32 s44, s45, exec_lo
.LBB53_226:                             ;   in Loop: Header=BB53_4 Depth=1
	s_or_b32 exec_lo, exec_lo, s43
	s_delay_alu instid0(SALU_CYCLE_1)
	s_and_b32 s43, s44, exec_lo
.LBB53_227:                             ;   in Loop: Header=BB53_4 Depth=1
	s_or_b32 exec_lo, exec_lo, s42
	s_delay_alu instid0(SALU_CYCLE_1)
	s_and_b32 s42, s43, exec_lo
.LBB53_228:                             ;   in Loop: Header=BB53_4 Depth=1
	s_or_b32 exec_lo, exec_lo, s41
	s_delay_alu instid0(SALU_CYCLE_1)
	s_and_b32 s41, s42, exec_lo
.LBB53_229:                             ;   in Loop: Header=BB53_4 Depth=1
	s_or_b32 exec_lo, exec_lo, s40
	s_delay_alu instid0(SALU_CYCLE_1)
	s_and_b32 s40, s41, exec_lo
.LBB53_230:                             ;   in Loop: Header=BB53_4 Depth=1
	s_or_b32 exec_lo, exec_lo, s39
	s_delay_alu instid0(SALU_CYCLE_1)
	s_and_b32 s39, s40, exec_lo
.LBB53_231:                             ;   in Loop: Header=BB53_4 Depth=1
	s_or_b32 exec_lo, exec_lo, s38
	s_delay_alu instid0(SALU_CYCLE_1)
	s_and_b32 s38, s39, exec_lo
.LBB53_232:                             ;   in Loop: Header=BB53_4 Depth=1
	s_or_b32 exec_lo, exec_lo, s37
	s_delay_alu instid0(SALU_CYCLE_1)
	s_and_b32 s37, s38, exec_lo
.LBB53_233:                             ;   in Loop: Header=BB53_4 Depth=1
	s_or_b32 exec_lo, exec_lo, s36
	s_delay_alu instid0(SALU_CYCLE_1)
	s_and_b32 s36, s37, exec_lo
.LBB53_234:                             ;   in Loop: Header=BB53_4 Depth=1
	s_or_b32 exec_lo, exec_lo, s35
	s_delay_alu instid0(SALU_CYCLE_1)
	s_and_b32 s35, s36, exec_lo
.LBB53_235:                             ;   in Loop: Header=BB53_4 Depth=1
	s_or_b32 exec_lo, exec_lo, s34
	s_delay_alu instid0(SALU_CYCLE_1)
	s_and_b32 s34, s35, exec_lo
.LBB53_236:                             ;   in Loop: Header=BB53_4 Depth=1
	s_or_b32 exec_lo, exec_lo, s33
	s_delay_alu instid0(SALU_CYCLE_1)
	s_and_b32 s33, s34, exec_lo
.LBB53_237:                             ;   in Loop: Header=BB53_4 Depth=1
	s_or_b32 exec_lo, exec_lo, s31
	s_delay_alu instid0(SALU_CYCLE_1)
	s_and_b32 s31, s33, exec_lo
.LBB53_238:                             ;   in Loop: Header=BB53_4 Depth=1
	s_or_b32 exec_lo, exec_lo, s30
	s_delay_alu instid0(SALU_CYCLE_1)
	s_and_b32 s30, s31, exec_lo
.LBB53_239:                             ;   in Loop: Header=BB53_4 Depth=1
	s_or_b32 exec_lo, exec_lo, s29
	s_delay_alu instid0(SALU_CYCLE_1)
	s_and_b32 s29, s30, exec_lo
.LBB53_240:                             ;   in Loop: Header=BB53_4 Depth=1
	s_or_b32 exec_lo, exec_lo, s28
	s_delay_alu instid0(SALU_CYCLE_1)
	s_and_b32 s28, s29, exec_lo
.LBB53_241:                             ;   in Loop: Header=BB53_4 Depth=1
	s_or_b32 exec_lo, exec_lo, s27
	s_delay_alu instid0(SALU_CYCLE_1)
	s_and_b32 s27, s28, exec_lo
.LBB53_242:                             ;   in Loop: Header=BB53_4 Depth=1
	s_or_b32 exec_lo, exec_lo, s26
	s_delay_alu instid0(SALU_CYCLE_1)
	s_and_b32 s26, s27, exec_lo
.LBB53_243:                             ;   in Loop: Header=BB53_4 Depth=1
	s_or_b32 exec_lo, exec_lo, s25
	s_delay_alu instid0(SALU_CYCLE_1)
	s_and_b32 s25, s26, exec_lo
.LBB53_244:                             ;   in Loop: Header=BB53_4 Depth=1
	s_or_b32 exec_lo, exec_lo, s24
	s_delay_alu instid0(SALU_CYCLE_1)
	s_and_b32 s24, s25, exec_lo
.LBB53_245:                             ;   in Loop: Header=BB53_4 Depth=1
	s_or_b32 exec_lo, exec_lo, s23
	s_delay_alu instid0(SALU_CYCLE_1)
	s_and_b32 s23, s24, exec_lo
.LBB53_246:                             ;   in Loop: Header=BB53_4 Depth=1
	s_or_b32 exec_lo, exec_lo, s22
	s_delay_alu instid0(SALU_CYCLE_1)
	s_and_b32 s22, s23, exec_lo
.LBB53_247:                             ;   in Loop: Header=BB53_4 Depth=1
	s_or_b32 exec_lo, exec_lo, s21
	s_delay_alu instid0(SALU_CYCLE_1)
	s_and_b32 s21, s22, exec_lo
.LBB53_248:                             ;   in Loop: Header=BB53_4 Depth=1
	s_or_b32 exec_lo, exec_lo, s20
	s_delay_alu instid0(SALU_CYCLE_1)
	s_and_b32 s20, s21, exec_lo
.LBB53_249:                             ;   in Loop: Header=BB53_4 Depth=1
	s_or_b32 exec_lo, exec_lo, s19
	s_delay_alu instid0(SALU_CYCLE_1)
	s_and_b32 s19, s20, exec_lo
.LBB53_250:                             ;   in Loop: Header=BB53_4 Depth=1
	s_or_b32 exec_lo, exec_lo, s18
	s_delay_alu instid0(SALU_CYCLE_1)
	s_and_b32 s18, s19, exec_lo
.LBB53_251:                             ;   in Loop: Header=BB53_4 Depth=1
	s_or_b32 exec_lo, exec_lo, s17
	s_delay_alu instid0(SALU_CYCLE_1)
	s_and_b32 s17, s18, exec_lo
.LBB53_252:                             ;   in Loop: Header=BB53_4 Depth=1
	s_or_b32 exec_lo, exec_lo, s16
	s_delay_alu instid0(SALU_CYCLE_1)
	s_and_b32 s16, s17, exec_lo
.LBB53_253:                             ;   in Loop: Header=BB53_4 Depth=1
	s_or_b32 exec_lo, exec_lo, s13
	s_delay_alu instid0(SALU_CYCLE_1)
	s_and_b32 s13, s16, exec_lo
.LBB53_254:                             ;   in Loop: Header=BB53_4 Depth=1
	s_or_b32 exec_lo, exec_lo, s12
	s_delay_alu instid0(SALU_CYCLE_1)
	s_and_b32 s12, s13, exec_lo
.LBB53_255:                             ;   in Loop: Header=BB53_4 Depth=1
	s_or_b32 exec_lo, exec_lo, s11
	s_delay_alu instid0(SALU_CYCLE_1)
	s_and_b32 s11, s12, exec_lo
.LBB53_256:                             ;   in Loop: Header=BB53_4 Depth=1
	s_or_b32 exec_lo, exec_lo, s10
	s_delay_alu instid0(SALU_CYCLE_1)
	s_and_b32 s10, s11, exec_lo
.LBB53_257:                             ;   in Loop: Header=BB53_4 Depth=1
	s_or_b32 exec_lo, exec_lo, s8
	v_cndmask_b32_e64 v1, 0, 1, s10
	;;#ASMSTART
	;;#ASMEND
	s_delay_alu instid0(VALU_DEP_1)
	v_cmp_ne_u32_e32 vcc_lo, 0, v1
	s_mov_b32 s8, exec_lo
	s_and_saveexec_b32 s10, s0
	s_cbranch_execz .LBB53_3
; %bb.258:                              ;   in Loop: Header=BB53_4 Depth=1
	s_cmp_eq_u32 vcc_lo, s8
	s_cselect_b32 s8, -1, 0
	s_delay_alu instid0(SALU_CYCLE_1)
	v_cndmask_b32_e64 v1, 0, 1, s8
	ds_store_b32 v5, v1
	s_branch .LBB53_3
.LBB53_259:                             ;   in Loop: Header=BB53_4 Depth=1
                                        ; implicit-def: $sgpr5
	s_cbranch_execz .LBB53_4
.LBB53_260:
	s_mov_b32 s0, exec_lo
	v_cmpx_eq_u32_e32 0, v0
	s_cbranch_execz .LBB53_262
; %bb.261:
	s_mul_i32 s0, s1, s15
	v_dual_mov_b32 v0, 0 :: v_dual_mov_b32 v1, s2
	s_add_i32 s0, s0, s14
	s_delay_alu instid0(SALU_CYCLE_1) | instskip(NEXT) | instid1(SALU_CYCLE_1)
	s_ashr_i32 s1, s0, 31
	s_lshl_b64 s[0:1], s[0:1], 2
	s_delay_alu instid0(SALU_CYCLE_1)
	s_add_u32 s0, s6, s0
	s_addc_u32 s1, s7, s1
	global_store_b32 v0, v1, s[0:1]
.LBB53_262:
	s_nop 0
	s_sendmsg sendmsg(MSG_DEALLOC_VGPRS)
	s_endpgm
	.section	.rodata,"a",@progbits
	.p2align	6, 0x0
	.amdhsa_kernel _ZL25flash_attn_mask_to_KV_maxILi64EEvPK7__half2Piiii
		.amdhsa_group_segment_fixed_size 128
		.amdhsa_private_segment_fixed_size 0
		.amdhsa_kernarg_size 288
		.amdhsa_user_sgpr_count 14
		.amdhsa_user_sgpr_dispatch_ptr 0
		.amdhsa_user_sgpr_queue_ptr 0
		.amdhsa_user_sgpr_kernarg_segment_ptr 1
		.amdhsa_user_sgpr_dispatch_id 0
		.amdhsa_user_sgpr_private_segment_size 0
		.amdhsa_wavefront_size32 1
		.amdhsa_uses_dynamic_stack 0
		.amdhsa_enable_private_segment 0
		.amdhsa_system_sgpr_workgroup_id_x 1
		.amdhsa_system_sgpr_workgroup_id_y 1
		.amdhsa_system_sgpr_workgroup_id_z 0
		.amdhsa_system_sgpr_workgroup_info 0
		.amdhsa_system_vgpr_workitem_id 0
		.amdhsa_next_free_vgpr 11
		.amdhsa_next_free_sgpr 105
		.amdhsa_reserve_vcc 1
		.amdhsa_float_round_mode_32 0
		.amdhsa_float_round_mode_16_64 0
		.amdhsa_float_denorm_mode_32 3
		.amdhsa_float_denorm_mode_16_64 3
		.amdhsa_dx10_clamp 1
		.amdhsa_ieee_mode 1
		.amdhsa_fp16_overflow 0
		.amdhsa_workgroup_processor_mode 1
		.amdhsa_memory_ordered 1
		.amdhsa_forward_progress 0
		.amdhsa_shared_vgpr_count 0
		.amdhsa_exception_fp_ieee_invalid_op 0
		.amdhsa_exception_fp_denorm_src 0
		.amdhsa_exception_fp_ieee_div_zero 0
		.amdhsa_exception_fp_ieee_overflow 0
		.amdhsa_exception_fp_ieee_underflow 0
		.amdhsa_exception_fp_ieee_inexact 0
		.amdhsa_exception_int_div_zero 0
	.end_amdhsa_kernel
	.section	.text._ZL25flash_attn_mask_to_KV_maxILi64EEvPK7__half2Piiii,"axG",@progbits,_ZL25flash_attn_mask_to_KV_maxILi64EEvPK7__half2Piiii,comdat
.Lfunc_end53:
	.size	_ZL25flash_attn_mask_to_KV_maxILi64EEvPK7__half2Piiii, .Lfunc_end53-_ZL25flash_attn_mask_to_KV_maxILi64EEvPK7__half2Piiii
                                        ; -- End function
	.section	.AMDGPU.csdata,"",@progbits
; Kernel info:
; codeLenInByte = 9596
; NumSgprs: 107
; NumVgprs: 11
; ScratchSize: 0
; MemoryBound: 0
; FloatMode: 240
; IeeeMode: 1
; LDSByteSize: 128 bytes/workgroup (compile time only)
; SGPRBlocks: 13
; VGPRBlocks: 1
; NumSGPRsForWavesPerEU: 107
; NumVGPRsForWavesPerEU: 11
; Occupancy: 16
; WaveLimiterHint : 0
; COMPUTE_PGM_RSRC2:SCRATCH_EN: 0
; COMPUTE_PGM_RSRC2:USER_SGPR: 14
; COMPUTE_PGM_RSRC2:TRAP_HANDLER: 0
; COMPUTE_PGM_RSRC2:TGID_X_EN: 1
; COMPUTE_PGM_RSRC2:TGID_Y_EN: 1
; COMPUTE_PGM_RSRC2:TGID_Z_EN: 0
; COMPUTE_PGM_RSRC2:TIDIG_COMP_CNT: 0
	.section	.text._ZL33flash_attn_stream_k_fixup_uniformILi80ELi64ELi1EEvPfPK15HIP_vector_typeIfLj2EEiiiiiiS1_IjLj3EES5_S5_,"axG",@progbits,_ZL33flash_attn_stream_k_fixup_uniformILi80ELi64ELi1EEvPfPK15HIP_vector_typeIfLj2EEiiiiiiS1_IjLj3EES5_S5_,comdat
	.globl	_ZL33flash_attn_stream_k_fixup_uniformILi80ELi64ELi1EEvPfPK15HIP_vector_typeIfLj2EEiiiiiiS1_IjLj3EES5_S5_ ; -- Begin function _ZL33flash_attn_stream_k_fixup_uniformILi80ELi64ELi1EEvPfPK15HIP_vector_typeIfLj2EEiiiiiiS1_IjLj3EES5_S5_
	.p2align	8
	.type	_ZL33flash_attn_stream_k_fixup_uniformILi80ELi64ELi1EEvPfPK15HIP_vector_typeIfLj2EEiiiiiiS1_IjLj3EES5_S5_,@function
_ZL33flash_attn_stream_k_fixup_uniformILi80ELi64ELi1EEvPfPK15HIP_vector_typeIfLj2EEiiiiiiS1_IjLj3EES5_S5_: ; @_ZL33flash_attn_stream_k_fixup_uniformILi80ELi64ELi1EEvPfPK15HIP_vector_typeIfLj2EEiiiiiiS1_IjLj3EES5_S5_
; %bb.0:
	s_clause 0x1
	s_load_b256 s[4:11], s[0:1], 0x1c
	s_load_b128 s[16:19], s[0:1], 0x3c
	s_waitcnt lgkmcnt(0)
	s_mul_hi_u32 s2, s7, s13
	s_delay_alu instid0(SALU_CYCLE_1) | instskip(NEXT) | instid1(SALU_CYCLE_1)
	s_add_i32 s2, s13, s2
	s_lshr_b32 s7, s2, s8
	s_delay_alu instid0(SALU_CYCLE_1) | instskip(NEXT) | instid1(SALU_CYCLE_1)
	s_mul_i32 s2, s7, s9
	s_sub_i32 s9, s13, s2
	s_delay_alu instid0(SALU_CYCLE_1) | instskip(NEXT) | instid1(SALU_CYCLE_1)
	s_mul_hi_u32 s2, s9, s10
	s_add_i32 s8, s9, s2
	s_load_b64 s[2:3], s[0:1], 0x10
	s_lshr_b32 s8, s8, s11
	s_delay_alu instid0(SALU_CYCLE_1) | instskip(NEXT) | instid1(SALU_CYCLE_1)
	s_mul_i32 s10, s8, s16
	s_sub_i32 s9, s9, s10
	s_delay_alu instid0(SALU_CYCLE_1) | instskip(NEXT) | instid1(SALU_CYCLE_1)
	s_mul_hi_u32 s10, s9, s17
	s_add_i32 s10, s9, s10
	s_delay_alu instid0(SALU_CYCLE_1) | instskip(NEXT) | instid1(SALU_CYCLE_1)
	s_lshr_b32 s11, s10, s18
	s_mul_i32 s10, s11, s19
	s_delay_alu instid0(SALU_CYCLE_1) | instskip(NEXT) | instid1(SALU_CYCLE_1)
	s_sub_i32 s10, s9, s10
	s_lshl_b32 s9, s10, 6
	s_delay_alu instid0(SALU_CYCLE_1) | instskip(SKIP_4) | instid1(SALU_CYCLE_1)
	s_add_i32 s9, s9, s14
	s_waitcnt lgkmcnt(0)
	s_cmp_lt_i32 s9, s2
	s_cselect_b32 s12, -1, 0
	s_add_i32 s9, s11, s15
	s_cmp_lt_i32 s9, s5
	s_cselect_b32 s11, -1, 0
	s_delay_alu instid0(SALU_CYCLE_1) | instskip(NEXT) | instid1(SALU_CYCLE_1)
	s_and_b32 s11, s12, s11
	s_and_not1_b32 vcc_lo, exec_lo, s11
	s_cbranch_vccnz .LBB54_6
; %bb.1:
	s_mul_i32 s8, s8, s5
	s_mul_i32 s5, s3, s10
	s_mul_i32 s2, s7, s2
	s_mulk_i32 s5, 0x1400
	s_add_i32 s2, s2, s14
	v_or_b32_e32 v1, s5, v0
	s_mul_i32 s7, s2, s3
	s_add_i32 s5, s9, s8
	s_load_b128 s[0:3], s[0:1], 0x0
	s_add_i32 s5, s5, s7
	s_add_i32 s10, s14, s15
	v_mad_u64_u32 v[2:3], null, 0x50, s5, v[1:2]
	s_mul_i32 s5, s13, s6
	s_delay_alu instid0(SALU_CYCLE_1) | instskip(NEXT) | instid1(VALU_DEP_1)
	s_add_i32 s9, s5, s6
	v_ashrrev_i32_e32 v3, 31, v2
	s_delay_alu instid0(VALU_DEP_1) | instskip(SKIP_1) | instid1(VALU_DEP_1)
	v_lshlrev_b64 v[1:2], 2, v[2:3]
	s_waitcnt lgkmcnt(0)
	v_add_co_u32 v1, vcc_lo, s0, v1
	s_delay_alu instid0(VALU_DEP_2) | instskip(SKIP_1) | instid1(SALU_CYCLE_1)
	v_add_co_ci_u32_e32 v2, vcc_lo, s1, v2, vcc_lo
	s_lshl_b32 s0, s9, 6
	s_add_i32 s0, s10, s0
	global_load_b32 v5, v[1:2], off
	s_sub_i32 s0, s0, 64
	s_delay_alu instid0(SALU_CYCLE_1) | instskip(NEXT) | instid1(SALU_CYCLE_1)
	s_ashr_i32 s1, s0, 31
	s_lshl_b64 s[0:1], s[0:1], 3
	s_delay_alu instid0(SALU_CYCLE_1)
	s_add_u32 s0, s2, s0
	s_addc_u32 s1, s3, s1
	s_add_i32 s7, s9, -2
	s_load_b32 s11, s[0:1], 0x4
	s_cmp_lt_i32 s7, s5
	s_cbranch_scc1 .LBB54_4
; %bb.2:
	s_load_b32 s12, s[0:1], 0x0
	s_lshl_b32 s0, s4, 8
	s_waitcnt lgkmcnt(0)
	v_mov_b32_e32 v6, s11
	s_ashr_i32 s1, s0, 31
	s_delay_alu instid0(SALU_CYCLE_1) | instskip(NEXT) | instid1(SALU_CYCLE_1)
	s_lshl_b64 s[0:1], s[0:1], 2
	s_add_u32 s7, s2, s0
	s_addc_u32 s8, s3, s1
	s_add_i32 s13, s13, 1
	s_mul_i32 s1, s10, 0x50
	s_mul_i32 s0, s6, s13
	s_delay_alu instid0(SALU_CYCLE_1)
	s_lshl_b32 s6, s0, 6
	s_mulk_i32 s0, 0x1400
	s_add_i32 s6, s10, s6
	s_add_i32 s1, s1, s0
	s_lshl_b32 s0, s4, 6
	v_add3_u32 v3, s1, v0, 0xffffd800
	s_add_i32 s0, s6, s0
	v_mov_b32_e32 v0, s12
	s_add_i32 s4, s9, -1
	s_addk_i32 s0, 0xff80
.LBB54_3:                               ; =>This Inner Loop Header: Depth=1
	s_delay_alu instid0(VALU_DEP_2) | instskip(SKIP_1) | instid1(SALU_CYCLE_1)
	v_ashrrev_i32_e32 v4, 31, v3
	s_ashr_i32 s1, s0, 31
	s_lshl_b64 s[10:11], s[0:1], 3
	s_delay_alu instid0(SALU_CYCLE_1) | instskip(NEXT) | instid1(VALU_DEP_1)
	s_add_u32 s10, s2, s10
	v_lshlrev_b64 v[7:8], 2, v[3:4]
	s_addc_u32 s11, s3, s11
	s_add_i32 s4, s4, -1
	s_sub_i32 s0, s0, 64
	s_cmp_le_i32 s4, s5
	s_load_b64 s[10:11], s[10:11], 0x0
	v_add_co_u32 v7, vcc_lo, s7, v7
	v_add_co_ci_u32_e32 v8, vcc_lo, s8, v8, vcc_lo
	global_load_b32 v4, v[7:8], off
	v_max_f32_e32 v7, v0, v0
	s_waitcnt lgkmcnt(0)
	v_max_f32_e64 v8, s10, s10
	s_delay_alu instid0(VALU_DEP_1) | instskip(NEXT) | instid1(VALU_DEP_1)
	v_max_f32_e32 v7, v7, v8
	v_sub_f32_e32 v8, s10, v7
	s_delay_alu instid0(VALU_DEP_1) | instskip(NEXT) | instid1(VALU_DEP_1)
	v_dual_sub_f32 v0, v0, v7 :: v_dual_mul_f32 v9, 0x3fb8aa3b, v8
	v_fma_f32 v10, 0x3fb8aa3b, v8, -v9
	v_rndne_f32_e32 v11, v9
	s_delay_alu instid0(VALU_DEP_3) | instskip(NEXT) | instid1(VALU_DEP_2)
	v_mul_f32_e32 v12, 0x3fb8aa3b, v0
	v_dual_fmac_f32 v10, 0x32a5705f, v8 :: v_dual_sub_f32 v9, v9, v11
	v_cvt_i32_f32_e32 v11, v11
	s_delay_alu instid0(VALU_DEP_3) | instskip(SKIP_1) | instid1(VALU_DEP_4)
	v_fma_f32 v13, 0x3fb8aa3b, v0, -v12
	v_rndne_f32_e32 v14, v12
	v_add_f32_e32 v9, v9, v10
	v_cmp_ngt_f32_e32 vcc_lo, 0xc2ce8ed0, v8
	s_delay_alu instid0(VALU_DEP_3) | instskip(NEXT) | instid1(VALU_DEP_3)
	v_sub_f32_e32 v10, v12, v14
	v_exp_f32_e32 v9, v9
	s_waitcnt_depctr 0xfff
	v_ldexp_f32 v9, v9, v11
	v_cvt_i32_f32_e32 v11, v14
	s_delay_alu instid0(VALU_DEP_2) | instskip(SKIP_1) | instid1(VALU_DEP_2)
	v_cndmask_b32_e32 v9, 0, v9, vcc_lo
	v_cmp_nlt_f32_e32 vcc_lo, 0x42b17218, v8
	v_cndmask_b32_e32 v9, 0x7f800000, v9, vcc_lo
	v_cmp_ngt_f32_e32 vcc_lo, 0xc2ce8ed0, v0
	v_fmac_f32_e32 v13, 0x32a5705f, v0
	s_delay_alu instid0(VALU_DEP_1) | instskip(NEXT) | instid1(VALU_DEP_1)
	v_add_f32_e32 v10, v10, v13
	v_exp_f32_e32 v10, v10
	s_waitcnt_depctr 0xfff
	v_ldexp_f32 v10, v10, v11
	s_delay_alu instid0(VALU_DEP_1)
	v_dual_mov_b32 v11, v6 :: v_dual_cndmask_b32 v10, 0, v10
	v_cmp_le_f32_e32 vcc_lo, 0xc1a00000, v8
	s_waitcnt vmcnt(1)
	v_dual_cndmask_b32 v8, 0, v9 :: v_dual_mov_b32 v9, v5
	v_cmp_nlt_f32_e32 vcc_lo, 0x42b17218, v0
	v_cndmask_b32_e32 v5, 0x7f800000, v10, vcc_lo
	s_delay_alu instid0(VALU_DEP_3) | instskip(SKIP_2) | instid1(VALU_DEP_3)
	v_mul_f32_e32 v10, s11, v8
	v_cmp_le_f32_e32 vcc_lo, 0xc1a00000, v0
	v_mov_b32_e32 v0, v7
	v_mov_b32_e32 v6, v10
	s_waitcnt vmcnt(0)
	v_dual_cndmask_b32 v12, 0, v5 :: v_dual_mul_f32 v5, v4, v8
	s_delay_alu instid0(VALU_DEP_1) | instskip(NEXT) | instid1(VALU_DEP_2)
	v_dual_fmac_f32 v6, v11, v12 :: v_dual_add_nc_u32 v3, 0xffffec00, v3
	v_fmac_f32_e32 v5, v9, v12
	s_cbranch_scc0 .LBB54_3
	s_branch .LBB54_5
.LBB54_4:
	s_waitcnt lgkmcnt(0)
	v_mov_b32_e32 v6, s11
.LBB54_5:
	s_waitcnt vmcnt(0)
	s_delay_alu instid0(VALU_DEP_1) | instskip(NEXT) | instid1(VALU_DEP_1)
	v_div_scale_f32 v0, null, v6, v6, v5
	v_rcp_f32_e32 v3, v0
	s_waitcnt_depctr 0xfff
	v_fma_f32 v4, -v0, v3, 1.0
	s_delay_alu instid0(VALU_DEP_1) | instskip(SKIP_1) | instid1(VALU_DEP_1)
	v_fmac_f32_e32 v3, v4, v3
	v_div_scale_f32 v4, vcc_lo, v5, v6, v5
	v_mul_f32_e32 v7, v4, v3
	s_delay_alu instid0(VALU_DEP_1) | instskip(NEXT) | instid1(VALU_DEP_1)
	v_fma_f32 v8, -v0, v7, v4
	v_fmac_f32_e32 v7, v8, v3
	s_delay_alu instid0(VALU_DEP_1) | instskip(NEXT) | instid1(VALU_DEP_1)
	v_fma_f32 v0, -v0, v7, v4
	v_div_fmas_f32 v0, v0, v3, v7
	s_delay_alu instid0(VALU_DEP_1)
	v_div_fixup_f32 v0, v0, v6, v5
	global_store_b32 v[1:2], v0, off
.LBB54_6:
	s_nop 0
	s_sendmsg sendmsg(MSG_DEALLOC_VGPRS)
	s_endpgm
	.section	.rodata,"a",@progbits
	.p2align	6, 0x0
	.amdhsa_kernel _ZL33flash_attn_stream_k_fixup_uniformILi80ELi64ELi1EEvPfPK15HIP_vector_typeIfLj2EEiiiiiiS1_IjLj3EES5_S5_
		.amdhsa_group_segment_fixed_size 0
		.amdhsa_private_segment_fixed_size 0
		.amdhsa_kernarg_size 76
		.amdhsa_user_sgpr_count 13
		.amdhsa_user_sgpr_dispatch_ptr 0
		.amdhsa_user_sgpr_queue_ptr 0
		.amdhsa_user_sgpr_kernarg_segment_ptr 1
		.amdhsa_user_sgpr_dispatch_id 0
		.amdhsa_user_sgpr_private_segment_size 0
		.amdhsa_wavefront_size32 1
		.amdhsa_uses_dynamic_stack 0
		.amdhsa_enable_private_segment 0
		.amdhsa_system_sgpr_workgroup_id_x 1
		.amdhsa_system_sgpr_workgroup_id_y 1
		.amdhsa_system_sgpr_workgroup_id_z 1
		.amdhsa_system_sgpr_workgroup_info 0
		.amdhsa_system_vgpr_workitem_id 0
		.amdhsa_next_free_vgpr 15
		.amdhsa_next_free_sgpr 20
		.amdhsa_reserve_vcc 1
		.amdhsa_float_round_mode_32 0
		.amdhsa_float_round_mode_16_64 0
		.amdhsa_float_denorm_mode_32 3
		.amdhsa_float_denorm_mode_16_64 3
		.amdhsa_dx10_clamp 1
		.amdhsa_ieee_mode 1
		.amdhsa_fp16_overflow 0
		.amdhsa_workgroup_processor_mode 1
		.amdhsa_memory_ordered 1
		.amdhsa_forward_progress 0
		.amdhsa_shared_vgpr_count 0
		.amdhsa_exception_fp_ieee_invalid_op 0
		.amdhsa_exception_fp_denorm_src 0
		.amdhsa_exception_fp_ieee_div_zero 0
		.amdhsa_exception_fp_ieee_overflow 0
		.amdhsa_exception_fp_ieee_underflow 0
		.amdhsa_exception_fp_ieee_inexact 0
		.amdhsa_exception_int_div_zero 0
	.end_amdhsa_kernel
	.section	.text._ZL33flash_attn_stream_k_fixup_uniformILi80ELi64ELi1EEvPfPK15HIP_vector_typeIfLj2EEiiiiiiS1_IjLj3EES5_S5_,"axG",@progbits,_ZL33flash_attn_stream_k_fixup_uniformILi80ELi64ELi1EEvPfPK15HIP_vector_typeIfLj2EEiiiiiiS1_IjLj3EES5_S5_,comdat
.Lfunc_end54:
	.size	_ZL33flash_attn_stream_k_fixup_uniformILi80ELi64ELi1EEvPfPK15HIP_vector_typeIfLj2EEiiiiiiS1_IjLj3EES5_S5_, .Lfunc_end54-_ZL33flash_attn_stream_k_fixup_uniformILi80ELi64ELi1EEvPfPK15HIP_vector_typeIfLj2EEiiiiiiS1_IjLj3EES5_S5_
                                        ; -- End function
	.section	.AMDGPU.csdata,"",@progbits
; Kernel info:
; codeLenInByte = 980
; NumSgprs: 22
; NumVgprs: 15
; ScratchSize: 0
; MemoryBound: 0
; FloatMode: 240
; IeeeMode: 1
; LDSByteSize: 0 bytes/workgroup (compile time only)
; SGPRBlocks: 2
; VGPRBlocks: 1
; NumSGPRsForWavesPerEU: 22
; NumVGPRsForWavesPerEU: 15
; Occupancy: 16
; WaveLimiterHint : 0
; COMPUTE_PGM_RSRC2:SCRATCH_EN: 0
; COMPUTE_PGM_RSRC2:USER_SGPR: 13
; COMPUTE_PGM_RSRC2:TRAP_HANDLER: 0
; COMPUTE_PGM_RSRC2:TGID_X_EN: 1
; COMPUTE_PGM_RSRC2:TGID_Y_EN: 1
; COMPUTE_PGM_RSRC2:TGID_Z_EN: 1
; COMPUTE_PGM_RSRC2:TIDIG_COMP_CNT: 0
	.section	.text._ZL33flash_attn_stream_k_fixup_generalILi80ELi64ELi1EEvPfPK15HIP_vector_typeIfLj2EEiiiiS1_IjLj3EES5_S5_S5_,"axG",@progbits,_ZL33flash_attn_stream_k_fixup_generalILi80ELi64ELi1EEvPfPK15HIP_vector_typeIfLj2EEiiiiS1_IjLj3EES5_S5_S5_,comdat
	.globl	_ZL33flash_attn_stream_k_fixup_generalILi80ELi64ELi1EEvPfPK15HIP_vector_typeIfLj2EEiiiiS1_IjLj3EES5_S5_S5_ ; -- Begin function _ZL33flash_attn_stream_k_fixup_generalILi80ELi64ELi1EEvPfPK15HIP_vector_typeIfLj2EEiiiiS1_IjLj3EES5_S5_S5_
	.p2align	8
	.type	_ZL33flash_attn_stream_k_fixup_generalILi80ELi64ELi1EEvPfPK15HIP_vector_typeIfLj2EEiiiiS1_IjLj3EES5_S5_S5_,@function
_ZL33flash_attn_stream_k_fixup_generalILi80ELi64ELi1EEvPfPK15HIP_vector_typeIfLj2EEiiiiS1_IjLj3EES5_S5_S5_: ; @_ZL33flash_attn_stream_k_fixup_generalILi80ELi64ELi1EEvPfPK15HIP_vector_typeIfLj2EEiiiiS1_IjLj3EES5_S5_S5_
; %bb.0:
	s_clause 0x1
	s_load_b128 s[4:7], s[0:1], 0x10
	s_load_b32 s20, s[0:1], 0x50
	s_mov_b32 s2, 0
	s_waitcnt lgkmcnt(0)
	s_mul_hi_i32 s3, s7, s13
	s_mul_i32 s12, s7, s13
	s_cmp_lg_u64 s[2:3], 0
	s_cbranch_scc0 .LBB55_21
; %bb.1:
	v_cvt_f32_ubyte0_e32 v1, 0
	v_cvt_f32_u32_e32 v2, s20
	s_sub_u32 s10, 0, s20
	s_subb_u32 s11, 0, 0
	s_delay_alu instid0(VALU_DEP_1) | instskip(NEXT) | instid1(VALU_DEP_1)
	v_fmamk_f32 v1, v1, 0x4f800000, v2
	v_rcp_f32_e32 v1, v1
	s_waitcnt_depctr 0xfff
	v_mul_f32_e32 v1, 0x5f7ffffc, v1
	s_delay_alu instid0(VALU_DEP_1) | instskip(NEXT) | instid1(VALU_DEP_1)
	v_mul_f32_e32 v2, 0x2f800000, v1
	v_trunc_f32_e32 v2, v2
	s_delay_alu instid0(VALU_DEP_1) | instskip(SKIP_1) | instid1(VALU_DEP_2)
	v_fmamk_f32 v1, v2, 0xcf800000, v1
	v_cvt_u32_f32_e32 v2, v2
	v_cvt_u32_f32_e32 v1, v1
	s_delay_alu instid0(VALU_DEP_2) | instskip(NEXT) | instid1(VALU_DEP_2)
	v_readfirstlane_b32 s8, v2
	v_readfirstlane_b32 s9, v1
	s_delay_alu instid0(VALU_DEP_2) | instskip(NEXT) | instid1(VALU_DEP_1)
	s_mul_i32 s16, s10, s8
	s_mul_hi_u32 s18, s10, s9
	s_mul_i32 s17, s11, s9
	s_add_i32 s16, s18, s16
	s_mul_i32 s19, s10, s9
	s_add_i32 s16, s16, s17
	s_mul_hi_u32 s18, s9, s19
	s_mul_hi_u32 s21, s8, s19
	s_mul_i32 s17, s8, s19
	s_mul_hi_u32 s19, s9, s16
	s_mul_i32 s9, s9, s16
	s_mul_hi_u32 s22, s8, s16
	s_add_u32 s9, s18, s9
	s_addc_u32 s18, 0, s19
	s_add_u32 s9, s9, s17
	s_mul_i32 s16, s8, s16
	s_addc_u32 s9, s18, s21
	s_addc_u32 s17, s22, 0
	s_add_u32 s9, s9, s16
	s_addc_u32 s16, 0, s17
	v_add_co_u32 v1, s9, v1, s9
	s_delay_alu instid0(VALU_DEP_1) | instskip(SKIP_1) | instid1(VALU_DEP_1)
	s_cmp_lg_u32 s9, 0
	s_addc_u32 s8, s8, s16
	v_readfirstlane_b32 s9, v1
	s_mul_i32 s16, s10, s8
	s_delay_alu instid0(VALU_DEP_1)
	s_mul_hi_u32 s17, s10, s9
	s_mul_i32 s11, s11, s9
	s_add_i32 s16, s17, s16
	s_mul_i32 s10, s10, s9
	s_add_i32 s16, s16, s11
	s_mul_hi_u32 s17, s8, s10
	s_mul_i32 s18, s8, s10
	s_mul_hi_u32 s10, s9, s10
	s_mul_hi_u32 s19, s9, s16
	s_mul_i32 s9, s9, s16
	s_mul_hi_u32 s11, s8, s16
	s_add_u32 s9, s10, s9
	s_addc_u32 s10, 0, s19
	s_add_u32 s9, s9, s18
	s_mul_i32 s16, s8, s16
	s_addc_u32 s9, s10, s17
	s_addc_u32 s10, s11, 0
	s_add_u32 s9, s9, s16
	s_addc_u32 s10, 0, s10
	v_add_co_u32 v1, s9, v1, s9
	s_delay_alu instid0(VALU_DEP_1) | instskip(SKIP_2) | instid1(SALU_CYCLE_1)
	s_cmp_lg_u32 s9, 0
	s_addc_u32 s16, s8, s10
	s_ashr_i32 s8, s3, 31
	s_add_u32 s10, s12, s8
	s_addc_u32 s11, s3, s8
	v_readfirstlane_b32 s3, v1
	s_mov_b32 s9, s8
	s_delay_alu instid0(SALU_CYCLE_1) | instskip(NEXT) | instid1(SALU_CYCLE_1)
	s_xor_b64 s[10:11], s[10:11], s[8:9]
	s_mul_i32 s18, s10, s16
	s_delay_alu instid0(VALU_DEP_1)
	s_mul_hi_u32 s19, s10, s3
	s_mul_hi_u32 s17, s10, s16
	;; [unrolled: 1-line block ×3, first 2 shown]
	s_mul_i32 s3, s11, s3
	s_add_u32 s18, s19, s18
	s_addc_u32 s17, 0, s17
	s_mul_hi_u32 s21, s11, s16
	s_add_u32 s3, s18, s3
	s_mul_i32 s16, s11, s16
	s_addc_u32 s3, s17, s22
	s_addc_u32 s17, s21, 0
	s_add_u32 s3, s3, s16
	s_addc_u32 s16, 0, s17
	s_mul_i32 s18, s20, s3
	s_add_u32 s17, s3, 1
	v_sub_co_u32 v1, s10, s10, s18
	s_mul_hi_u32 s18, s20, s3
	s_addc_u32 s19, s16, 0
	s_mul_i32 s21, s20, s16
	s_delay_alu instid0(VALU_DEP_1)
	v_sub_co_u32 v2, s22, v1, s20
	s_add_u32 s23, s3, 2
	s_addc_u32 s24, s16, 0
	s_add_i32 s18, s18, s21
	s_cmp_lg_u32 s10, 0
	v_readfirstlane_b32 s10, v2
	s_subb_u32 s11, s11, s18
	s_cmp_lg_u32 s22, 0
	s_subb_u32 s18, s11, 0
	s_delay_alu instid0(VALU_DEP_1) | instskip(SKIP_4) | instid1(SALU_CYCLE_1)
	s_cmp_ge_u32 s10, s20
	s_cselect_b32 s10, -1, 0
	s_cmp_eq_u32 s18, 0
	v_readfirstlane_b32 s18, v1
	s_cselect_b32 s10, s10, -1
	s_cmp_lg_u32 s10, 0
	s_cselect_b32 s10, s23, s17
	s_cselect_b32 s17, s24, s19
	s_cmp_ge_u32 s18, s20
	s_cselect_b32 s18, -1, 0
	s_cmp_eq_u32 s11, 0
	s_cselect_b32 s11, s18, -1
	s_delay_alu instid0(SALU_CYCLE_1) | instskip(SKIP_2) | instid1(SALU_CYCLE_1)
	s_cmp_lg_u32 s11, 0
	s_cselect_b32 s11, s17, s16
	s_cselect_b32 s10, s10, s3
	s_xor_b64 s[10:11], s[10:11], s[8:9]
	s_delay_alu instid0(SALU_CYCLE_1)
	s_sub_u32 s16, s10, s8
	s_load_b128 s[8:11], s[0:1], 0x44
	s_and_not1_b32 vcc_lo, exec_lo, s2
	s_cbranch_vccnz .LBB55_3
.LBB55_2:
	v_cvt_f32_u32_e32 v1, s20
	s_sub_i32 s3, 0, s20
	s_delay_alu instid0(VALU_DEP_1) | instskip(SKIP_2) | instid1(VALU_DEP_1)
	v_rcp_iflag_f32_e32 v1, v1
	s_waitcnt_depctr 0xfff
	v_mul_f32_e32 v1, 0x4f7ffffe, v1
	v_cvt_u32_f32_e32 v1, v1
	s_delay_alu instid0(VALU_DEP_1) | instskip(NEXT) | instid1(VALU_DEP_1)
	v_readfirstlane_b32 s2, v1
	s_mul_i32 s3, s3, s2
	s_delay_alu instid0(SALU_CYCLE_1) | instskip(NEXT) | instid1(SALU_CYCLE_1)
	s_mul_hi_u32 s3, s2, s3
	s_add_i32 s2, s2, s3
	s_delay_alu instid0(SALU_CYCLE_1) | instskip(NEXT) | instid1(SALU_CYCLE_1)
	s_mul_hi_u32 s2, s12, s2
	s_mul_i32 s3, s2, s20
	s_waitcnt lgkmcnt(0)
	s_add_i32 s11, s2, 1
	s_sub_i32 s3, s12, s3
	s_delay_alu instid0(SALU_CYCLE_1)
	s_sub_i32 s12, s3, s20
	s_cmp_ge_u32 s3, s20
	s_cselect_b32 s2, s11, s2
	s_cselect_b32 s3, s12, s3
	s_add_i32 s11, s2, 1
	s_cmp_ge_u32 s3, s20
	s_cselect_b32 s16, s11, s2
.LBB55_3:
	s_waitcnt lgkmcnt(0)
	s_add_i32 s11, s13, 1
	s_mov_b32 s2, 0
	s_mul_hi_i32 s3, s7, s11
	s_mul_i32 s11, s7, s11
	s_cmp_lg_u64 s[2:3], 0
	s_cbranch_scc0 .LBB55_22
; %bb.4:
	v_cvt_f32_ubyte0_e32 v1, 0
	v_cvt_f32_u32_e32 v2, s20
	s_sub_u32 s18, 0, s20
	s_subb_u32 s19, 0, 0
	s_delay_alu instid0(VALU_DEP_1) | instskip(NEXT) | instid1(VALU_DEP_1)
	v_fmamk_f32 v1, v1, 0x4f800000, v2
	v_rcp_f32_e32 v1, v1
	s_waitcnt_depctr 0xfff
	v_mul_f32_e32 v1, 0x5f7ffffc, v1
	s_delay_alu instid0(VALU_DEP_1) | instskip(NEXT) | instid1(VALU_DEP_1)
	v_mul_f32_e32 v2, 0x2f800000, v1
	v_trunc_f32_e32 v2, v2
	s_delay_alu instid0(VALU_DEP_1) | instskip(SKIP_1) | instid1(VALU_DEP_2)
	v_fmamk_f32 v1, v2, 0xcf800000, v1
	v_cvt_u32_f32_e32 v2, v2
	v_cvt_u32_f32_e32 v1, v1
	s_delay_alu instid0(VALU_DEP_2) | instskip(NEXT) | instid1(VALU_DEP_2)
	v_readfirstlane_b32 s12, v2
	v_readfirstlane_b32 s17, v1
	s_delay_alu instid0(VALU_DEP_2) | instskip(NEXT) | instid1(VALU_DEP_1)
	s_mul_i32 s21, s18, s12
	s_mul_hi_u32 s23, s18, s17
	s_mul_i32 s22, s19, s17
	s_add_i32 s21, s23, s21
	s_mul_i32 s24, s18, s17
	s_add_i32 s21, s21, s22
	s_mul_hi_u32 s23, s17, s24
	s_mul_hi_u32 s25, s12, s24
	s_mul_i32 s22, s12, s24
	s_mul_hi_u32 s24, s17, s21
	s_mul_i32 s17, s17, s21
	s_mul_hi_u32 s26, s12, s21
	s_add_u32 s17, s23, s17
	s_addc_u32 s23, 0, s24
	s_add_u32 s17, s17, s22
	s_mul_i32 s21, s12, s21
	s_addc_u32 s17, s23, s25
	s_addc_u32 s22, s26, 0
	s_add_u32 s17, s17, s21
	s_addc_u32 s21, 0, s22
	v_add_co_u32 v1, s17, v1, s17
	s_delay_alu instid0(VALU_DEP_1) | instskip(SKIP_1) | instid1(VALU_DEP_1)
	s_cmp_lg_u32 s17, 0
	s_addc_u32 s12, s12, s21
	v_readfirstlane_b32 s17, v1
	s_mul_i32 s21, s18, s12
	s_delay_alu instid0(VALU_DEP_1)
	s_mul_hi_u32 s22, s18, s17
	s_mul_i32 s19, s19, s17
	s_add_i32 s21, s22, s21
	s_mul_i32 s18, s18, s17
	s_add_i32 s21, s21, s19
	s_mul_hi_u32 s22, s12, s18
	s_mul_i32 s23, s12, s18
	s_mul_hi_u32 s18, s17, s18
	s_mul_hi_u32 s24, s17, s21
	s_mul_i32 s17, s17, s21
	s_mul_hi_u32 s19, s12, s21
	s_add_u32 s17, s18, s17
	s_addc_u32 s18, 0, s24
	s_add_u32 s17, s17, s23
	s_mul_i32 s21, s12, s21
	s_addc_u32 s17, s18, s22
	s_addc_u32 s18, s19, 0
	s_add_u32 s17, s17, s21
	s_addc_u32 s18, 0, s18
	v_add_co_u32 v1, s17, v1, s17
	s_delay_alu instid0(VALU_DEP_1) | instskip(SKIP_2) | instid1(SALU_CYCLE_1)
	s_cmp_lg_u32 s17, 0
	s_addc_u32 s12, s12, s18
	s_ashr_i32 s18, s3, 31
	s_add_u32 s22, s11, s18
	s_addc_u32 s23, s3, s18
	v_readfirstlane_b32 s3, v1
	s_mov_b32 s19, s18
	s_delay_alu instid0(SALU_CYCLE_1) | instskip(NEXT) | instid1(SALU_CYCLE_1)
	s_xor_b64 s[22:23], s[22:23], s[18:19]
	s_mul_i32 s21, s22, s12
	s_delay_alu instid0(VALU_DEP_1)
	s_mul_hi_u32 s24, s22, s3
	s_mul_hi_u32 s17, s22, s12
	s_mul_hi_u32 s26, s23, s3
	s_mul_i32 s3, s23, s3
	s_add_u32 s21, s24, s21
	s_addc_u32 s17, 0, s17
	s_mul_hi_u32 s25, s23, s12
	s_add_u32 s3, s21, s3
	s_mul_i32 s12, s23, s12
	s_addc_u32 s3, s17, s26
	s_addc_u32 s17, s25, 0
	s_add_u32 s3, s3, s12
	s_addc_u32 s12, 0, s17
	s_mul_i32 s21, s20, s3
	s_add_u32 s17, s3, 1
	v_sub_co_u32 v1, s21, s22, s21
	s_mul_hi_u32 s22, s20, s3
	s_addc_u32 s24, s12, 0
	s_mul_i32 s25, s20, s12
	s_delay_alu instid0(VALU_DEP_1)
	v_sub_co_u32 v2, s26, v1, s20
	s_add_u32 s27, s3, 2
	s_addc_u32 s28, s12, 0
	s_add_i32 s22, s22, s25
	s_cmp_lg_u32 s21, 0
	v_readfirstlane_b32 s21, v2
	s_subb_u32 s22, s23, s22
	s_cmp_lg_u32 s26, 0
	s_subb_u32 s23, s22, 0
	s_delay_alu instid0(VALU_DEP_1) | instskip(SKIP_4) | instid1(SALU_CYCLE_1)
	s_cmp_ge_u32 s21, s20
	s_cselect_b32 s21, -1, 0
	s_cmp_eq_u32 s23, 0
	v_readfirstlane_b32 s23, v1
	s_cselect_b32 s21, s21, -1
	s_cmp_lg_u32 s21, 0
	s_cselect_b32 s17, s27, s17
	s_cselect_b32 s21, s28, s24
	s_cmp_ge_u32 s23, s20
	s_cselect_b32 s23, -1, 0
	s_cmp_eq_u32 s22, 0
	s_cselect_b32 s22, s23, -1
	s_delay_alu instid0(SALU_CYCLE_1) | instskip(SKIP_2) | instid1(SALU_CYCLE_1)
	s_cmp_lg_u32 s22, 0
	s_cselect_b32 s23, s21, s12
	s_cselect_b32 s22, s17, s3
	s_xor_b64 s[22:23], s[22:23], s[18:19]
	s_delay_alu instid0(SALU_CYCLE_1)
	s_sub_u32 s18, s22, s18
	s_and_not1_b32 vcc_lo, exec_lo, s2
	s_cbranch_vccnz .LBB55_6
.LBB55_5:
	v_cvt_f32_u32_e32 v1, s20
	s_sub_i32 s3, 0, s20
	s_delay_alu instid0(VALU_DEP_1) | instskip(SKIP_2) | instid1(VALU_DEP_1)
	v_rcp_iflag_f32_e32 v1, v1
	s_waitcnt_depctr 0xfff
	v_mul_f32_e32 v1, 0x4f7ffffe, v1
	v_cvt_u32_f32_e32 v1, v1
	s_delay_alu instid0(VALU_DEP_1) | instskip(NEXT) | instid1(VALU_DEP_1)
	v_readfirstlane_b32 s2, v1
	s_mul_i32 s3, s3, s2
	s_delay_alu instid0(SALU_CYCLE_1) | instskip(NEXT) | instid1(SALU_CYCLE_1)
	s_mul_hi_u32 s3, s2, s3
	s_add_i32 s2, s2, s3
	s_delay_alu instid0(SALU_CYCLE_1) | instskip(NEXT) | instid1(SALU_CYCLE_1)
	s_mul_hi_u32 s2, s11, s2
	s_mul_i32 s3, s2, s20
	s_delay_alu instid0(SALU_CYCLE_1)
	s_sub_i32 s3, s11, s3
	s_add_i32 s11, s2, 1
	s_sub_i32 s12, s3, s20
	s_cmp_ge_u32 s3, s20
	s_cselect_b32 s2, s11, s2
	s_cselect_b32 s3, s12, s3
	s_add_i32 s11, s2, 1
	s_cmp_ge_u32 s3, s20
	s_cselect_b32 s18, s11, s2
.LBB55_6:
	s_delay_alu instid0(SALU_CYCLE_1) | instskip(SKIP_3) | instid1(SALU_CYCLE_1)
	s_cmp_eq_u32 s16, s18
	s_mul_hi_u32 s2, s16, s8
	s_cselect_b32 s3, -1, 0
	s_add_i32 s2, s2, s16
	s_lshr_b32 s11, s2, s9
	s_delay_alu instid0(SALU_CYCLE_1) | instskip(NEXT) | instid1(SALU_CYCLE_1)
	s_mul_i32 s2, s11, s10
	s_cmp_eq_u32 s2, s16
	s_mul_hi_u32 s2, s18, s8
	s_cselect_b32 s12, -1, 0
	s_add_i32 s2, s2, s18
	s_delay_alu instid0(SALU_CYCLE_1) | instskip(NEXT) | instid1(SALU_CYCLE_1)
	s_lshr_b32 s2, s2, s9
	s_cmp_eq_u32 s11, s2
	s_mul_i32 s2, s2, s10
	s_cselect_b32 s17, -1, 0
	s_cmp_lg_u32 s2, s18
	s_cselect_b32 s2, -1, 0
	s_or_b32 s3, s3, s12
	s_and_b32 s2, s17, s2
	s_delay_alu instid0(SALU_CYCLE_1) | instskip(NEXT) | instid1(SALU_CYCLE_1)
	s_or_b32 s2, s3, s2
	s_and_b32 vcc_lo, exec_lo, s2
	s_cbranch_vccnz .LBB55_24
; %bb.7:
	s_load_b256 s[24:31], s[0:1], 0x20
	s_waitcnt lgkmcnt(0)
	s_mul_hi_u32 s2, s16, s24
	s_delay_alu instid0(SALU_CYCLE_1) | instskip(NEXT) | instid1(SALU_CYCLE_1)
	s_add_i32 s2, s2, s16
	s_lshr_b32 s17, s2, s25
	s_load_b32 s2, s[0:1], 0x40
	s_mul_i32 s3, s17, s26
	s_delay_alu instid0(SALU_CYCLE_1) | instskip(NEXT) | instid1(SALU_CYCLE_1)
	s_sub_i32 s3, s16, s3
	s_mul_hi_u32 s12, s3, s27
	s_delay_alu instid0(SALU_CYCLE_1) | instskip(NEXT) | instid1(SALU_CYCLE_1)
	s_add_i32 s12, s3, s12
	s_lshr_b32 s19, s12, s28
	s_delay_alu instid0(SALU_CYCLE_1) | instskip(NEXT) | instid1(SALU_CYCLE_1)
	s_mul_i32 s12, s19, s29
	s_sub_i32 s3, s3, s12
	s_delay_alu instid0(SALU_CYCLE_1) | instskip(NEXT) | instid1(SALU_CYCLE_1)
	s_mul_hi_u32 s12, s3, s30
	s_add_i32 s12, s3, s12
	s_delay_alu instid0(SALU_CYCLE_1) | instskip(SKIP_3) | instid1(SALU_CYCLE_1)
	s_lshr_b32 s21, s12, s31
	s_mov_b32 s12, 0
	s_waitcnt lgkmcnt(0)
	s_mul_i32 s2, s21, s2
	s_sub_i32 s2, s3, s2
	s_delay_alu instid0(SALU_CYCLE_1) | instskip(NEXT) | instid1(SALU_CYCLE_1)
	s_mul_hi_u32 s3, s2, s8
	s_add_i32 s2, s2, s3
	s_delay_alu instid0(SALU_CYCLE_1) | instskip(NEXT) | instid1(SALU_CYCLE_1)
	s_lshr_b32 s18, s2, s9
	s_lshl_b32 s2, s18, 6
	s_delay_alu instid0(SALU_CYCLE_1) | instskip(NEXT) | instid1(SALU_CYCLE_1)
	s_add_i32 s2, s2, s14
	s_cmp_lt_i32 s2, s4
	s_cselect_b32 s2, -1, 0
	s_add_i32 s21, s21, s15
	s_delay_alu instid0(SALU_CYCLE_1) | instskip(SKIP_1) | instid1(SALU_CYCLE_1)
	s_cmp_lt_i32 s21, s6
	s_cselect_b32 s3, -1, 0
	s_and_b32 s2, s2, s3
	s_delay_alu instid0(SALU_CYCLE_1)
	s_and_not1_b32 vcc_lo, exec_lo, s2
	s_cbranch_vccnz .LBB55_24
; %bb.8:
	s_load_b128 s[0:3], s[0:1], 0x0
	s_lshl_b32 s22, s20, 8
	s_mov_b32 s23, s12
	s_add_i32 s15, s14, s15
	s_lshl_b64 s[22:23], s[22:23], 2
	s_mul_i32 s4, s17, s4
	s_mul_i32 s19, s19, s6
	v_cvt_f32_ubyte0_e32 v3, 0
	v_cvt_f32_u32_e32 v4, s20
	s_waitcnt lgkmcnt(0)
	s_add_u32 s6, s2, s22
	s_addc_u32 s17, s3, s23
	s_add_i32 s4, s4, s14
	s_add_i32 s14, s21, s19
	s_mul_i32 s4, s4, s5
	s_mul_i32 s5, s5, s18
	s_add_i32 s4, s14, s4
	s_mulk_i32 s5, 0x1400
	s_mulk_i32 s4, 0x50
	s_delay_alu instid0(SALU_CYCLE_1) | instskip(NEXT) | instid1(VALU_DEP_1)
	v_add3_u32 v1, s5, s4, v0
	v_ashrrev_i32_e32 v2, 31, v1
	s_delay_alu instid0(VALU_DEP_1) | instskip(NEXT) | instid1(VALU_DEP_1)
	v_lshlrev_b64 v[1:2], 2, v[1:2]
	v_add_co_u32 v1, vcc_lo, s0, v1
	s_delay_alu instid0(VALU_DEP_2) | instskip(SKIP_1) | instid1(SALU_CYCLE_1)
	v_add_co_ci_u32_e32 v2, vcc_lo, s1, v2, vcc_lo
	s_lshl_b32 s0, s13, 6
	s_add_i32 s0, s0, s15
	global_load_b32 v5, v[1:2], off
	s_ashr_i32 s1, s0, 31
	s_delay_alu instid0(SALU_CYCLE_1) | instskip(NEXT) | instid1(SALU_CYCLE_1)
	s_lshl_b64 s[0:1], s[0:1], 3
	s_add_u32 s0, s2, s0
	s_addc_u32 s1, s3, s1
	s_add_i32 s18, s13, -1
	s_load_b64 s[0:1], s[0:1], 0x0
	v_fmac_f32_e32 v4, 0x4f800000, v3
	s_sub_i32 s14, 0, s20
	s_delay_alu instid0(VALU_DEP_1)
	v_rcp_f32_e32 v3, v4
	s_waitcnt_depctr 0xfff
	v_mul_f32_e32 v6, 0x5f7ffffc, v3
	v_cvt_f32_u32_e32 v3, s20
	s_waitcnt lgkmcnt(0)
	v_mov_b32_e32 v8, s0
	s_delay_alu instid0(VALU_DEP_3) | instskip(NEXT) | instid1(VALU_DEP_3)
	v_mul_f32_e32 v4, 0x2f800000, v6
	v_rcp_iflag_f32_e32 v7, v3
	s_delay_alu instid0(VALU_DEP_1) | instskip(SKIP_1) | instid1(VALU_DEP_2)
	v_trunc_f32_e32 v9, v4
	v_mad_u64_u32 v[3:4], null, 0x50, s15, v[0:1]
	v_fmac_f32_e32 v6, 0xcf800000, v9
	s_waitcnt_depctr 0xfff
	v_dual_mul_f32 v10, 0x4f7ffffe, v7 :: v_dual_mov_b32 v7, s1
	v_cvt_u32_f32_e32 v4, v9
	v_cvt_u32_f32_e32 v0, v6
	s_delay_alu instid0(VALU_DEP_3)
	v_cvt_u32_f32_e32 v6, v10
.LBB55_9:                               ; =>This Inner Loop Header: Depth=1
	s_mul_hi_i32 s13, s18, s7
	s_mul_i32 s4, s18, s7
	s_cmp_lg_u64 s[12:13], 0
	s_mov_b32 s5, -1
                                        ; implicit-def: $sgpr0_sgpr1
	s_cbranch_scc0 .LBB55_11
; %bb.10:                               ;   in Loop: Header=BB55_9 Depth=1
	v_readfirstlane_b32 s0, v0
	v_readfirstlane_b32 s1, v4
	s_sub_u32 s5, 0, s20
	s_subb_u32 s19, 0, 0
	s_delay_alu instid0(VALU_DEP_2) | instskip(NEXT) | instid1(VALU_DEP_1)
	s_mul_hi_u32 s21, s5, s0
	s_mul_i32 s22, s5, s1
	s_mul_i32 s23, s19, s0
	s_add_i32 s21, s21, s22
	s_mul_i32 s22, s5, s0
	s_add_i32 s21, s21, s23
	s_mul_hi_u32 s23, s0, s22
	s_mul_i32 s24, s0, s21
	s_mul_hi_u32 s0, s0, s21
	s_add_u32 s23, s23, s24
	s_mul_i32 s25, s1, s22
	s_addc_u32 s0, 0, s0
	s_mul_hi_u32 s22, s1, s22
	s_mul_hi_u32 s24, s1, s21
	s_add_u32 s23, s23, s25
	s_addc_u32 s0, s0, s22
	s_mul_i32 s21, s1, s21
	s_addc_u32 s22, s24, 0
	s_add_u32 s0, s0, s21
	s_addc_u32 s21, 0, s22
	v_add_co_u32 v9, s0, v0, s0
	s_delay_alu instid0(VALU_DEP_1) | instskip(SKIP_1) | instid1(VALU_DEP_1)
	s_cmp_lg_u32 s0, 0
	s_addc_u32 s1, s1, s21
	v_readfirstlane_b32 s0, v9
	s_mul_i32 s21, s5, s1
	s_delay_alu instid0(VALU_DEP_1)
	s_mul_hi_u32 s22, s5, s0
	s_mul_i32 s19, s19, s0
	s_add_i32 s21, s22, s21
	s_mul_i32 s5, s5, s0
	s_add_i32 s21, s21, s19
	s_mul_hi_u32 s19, s1, s5
	s_mul_i32 s23, s1, s5
	s_mul_i32 s24, s0, s21
	s_mul_hi_u32 s5, s0, s5
	s_mul_hi_u32 s0, s0, s21
	s_add_u32 s5, s5, s24
	s_addc_u32 s0, 0, s0
	s_mul_hi_u32 s22, s1, s21
	s_add_u32 s5, s5, s23
	s_addc_u32 s0, s0, s19
	s_mul_i32 s5, s1, s21
	s_addc_u32 s19, s22, 0
	s_add_u32 s0, s0, s5
	s_addc_u32 s5, 0, s19
	v_add_co_u32 v9, s0, v9, s0
	s_delay_alu instid0(VALU_DEP_1) | instskip(SKIP_2) | instid1(SALU_CYCLE_1)
	s_cmp_lg_u32 s0, 0
	s_addc_u32 s5, s1, s5
	s_ashr_i32 s0, s13, 31
	s_add_u32 s22, s4, s0
	s_addc_u32 s23, s13, s0
	v_readfirstlane_b32 s13, v9
	s_mov_b32 s1, s0
	s_delay_alu instid0(SALU_CYCLE_1) | instskip(NEXT) | instid1(SALU_CYCLE_1)
	s_xor_b64 s[22:23], s[22:23], s[0:1]
	s_mul_i32 s19, s22, s5
	s_delay_alu instid0(VALU_DEP_1)
	s_mul_hi_u32 s21, s22, s13
	s_mul_hi_u32 s24, s22, s5
	s_add_u32 s19, s21, s19
	s_mul_i32 s25, s23, s13
	s_addc_u32 s21, 0, s24
	s_mul_hi_u32 s13, s23, s13
	s_mul_hi_u32 s24, s23, s5
	s_add_u32 s19, s19, s25
	s_addc_u32 s13, s21, s13
	s_mul_i32 s5, s23, s5
	s_addc_u32 s19, s24, 0
	s_add_u32 s5, s13, s5
	s_addc_u32 s13, 0, s19
	s_mul_i32 s21, s20, s5
	s_add_u32 s19, s5, 1
	v_sub_co_u32 v9, s21, s22, s21
	s_addc_u32 s22, s13, 0
	s_mul_i32 s25, s20, s13
	s_mul_hi_u32 s27, s20, s5
	s_delay_alu instid0(VALU_DEP_1)
	v_sub_co_u32 v10, s26, v9, s20
	s_add_u32 s24, s5, 2
	s_addc_u32 s28, s13, 0
	s_add_i32 s27, s27, s25
	s_cmp_lg_u32 s21, 0
	v_readfirstlane_b32 s21, v10
	s_subb_u32 s23, s23, s27
	s_cmp_lg_u32 s26, 0
	s_subb_u32 s25, s23, 0
	s_delay_alu instid0(VALU_DEP_1) | instskip(SKIP_4) | instid1(SALU_CYCLE_1)
	s_cmp_ge_u32 s21, s20
	s_cselect_b32 s21, -1, 0
	s_cmp_eq_u32 s25, 0
	v_readfirstlane_b32 s25, v9
	s_cselect_b32 s21, s21, -1
	s_cmp_lg_u32 s21, 0
	s_cselect_b32 s19, s24, s19
	s_cselect_b32 s21, s28, s22
	s_cmp_ge_u32 s25, s20
	s_cselect_b32 s22, -1, 0
	s_cmp_eq_u32 s23, 0
	s_cselect_b32 s22, s22, -1
	s_delay_alu instid0(SALU_CYCLE_1) | instskip(SKIP_4) | instid1(SALU_CYCLE_1)
	s_cmp_lg_u32 s22, 0
	s_cselect_b32 s23, s21, s13
	s_cselect_b32 s22, s19, s5
	s_mov_b32 s5, 0
	s_xor_b64 s[22:23], s[22:23], s[0:1]
	s_sub_u32 s0, s22, s0
.LBB55_11:                              ;   in Loop: Header=BB55_9 Depth=1
	s_and_not1_b32 vcc_lo, exec_lo, s5
	s_cbranch_vccnz .LBB55_13
; %bb.12:                               ;   in Loop: Header=BB55_9 Depth=1
	v_readfirstlane_b32 s0, v6
	s_delay_alu instid0(VALU_DEP_1) | instskip(NEXT) | instid1(SALU_CYCLE_1)
	s_mul_i32 s1, s14, s0
	s_mul_hi_u32 s1, s0, s1
	s_delay_alu instid0(SALU_CYCLE_1) | instskip(NEXT) | instid1(SALU_CYCLE_1)
	s_add_i32 s0, s0, s1
	s_mul_hi_u32 s0, s4, s0
	s_delay_alu instid0(SALU_CYCLE_1) | instskip(NEXT) | instid1(SALU_CYCLE_1)
	s_mul_i32 s1, s0, s20
	s_sub_i32 s1, s4, s1
	s_add_i32 s4, s0, 1
	s_sub_i32 s5, s1, s20
	s_cmp_ge_u32 s1, s20
	s_cselect_b32 s0, s4, s0
	s_cselect_b32 s1, s5, s1
	s_add_i32 s4, s0, 1
	s_cmp_ge_u32 s1, s20
	s_cselect_b32 s0, s4, s0
.LBB55_13:                              ;   in Loop: Header=BB55_9 Depth=1
	s_delay_alu instid0(SALU_CYCLE_1)
	s_cmp_lg_u32 s16, s0
	s_cbranch_scc0 .LBB55_17
; %bb.14:                               ;   in Loop: Header=BB55_9 Depth=1
	s_add_i32 s1, s18, s20
	s_mov_b32 s5, s12
	s_lshl_b32 s1, s1, 6
	s_mov_b32 s19, s16
	s_add_i32 s4, s1, s15
	s_mul_hi_u32 s1, s0, s8
	s_lshl_b64 s[4:5], s[4:5], 3
	s_delay_alu instid0(SALU_CYCLE_1) | instskip(SKIP_2) | instid1(SALU_CYCLE_1)
	s_add_u32 s4, s2, s4
	s_addc_u32 s5, s3, s5
	s_add_i32 s1, s1, s0
	s_lshr_b32 s1, s1, s9
	s_delay_alu instid0(SALU_CYCLE_1) | instskip(NEXT) | instid1(SALU_CYCLE_1)
	s_mul_i32 s13, s1, s10
	s_cmp_eq_u32 s13, s0
	s_cselect_b32 s13, -1, 0
	s_cmp_lt_u32 s1, s11
	s_cselect_b32 s1, -1, 0
	s_delay_alu instid0(SALU_CYCLE_1)
	s_or_b32 s1, s1, s13
	s_mov_b32 s13, -1
	s_and_b32 vcc_lo, exec_lo, s1
	s_mov_b32 s1, s18
	s_cbranch_vccnz .LBB55_16
; %bb.15:                               ;   in Loop: Header=BB55_9 Depth=1
	s_add_i32 s1, s18, -1
	s_mov_b32 s13, 0
	s_mov_b32 s19, s0
.LBB55_16:                              ;   in Loop: Header=BB55_9 Depth=1
	v_mad_u64_u32 v[9:10], null, 0x1400, s18, v[3:4]
	s_load_b64 s[4:5], s[4:5], 0x0
	s_delay_alu instid0(VALU_DEP_1) | instskip(NEXT) | instid1(VALU_DEP_1)
	v_ashrrev_i32_e32 v10, 31, v9
	v_lshlrev_b64 v[9:10], 2, v[9:10]
	s_delay_alu instid0(VALU_DEP_1) | instskip(NEXT) | instid1(VALU_DEP_2)
	v_add_co_u32 v9, vcc_lo, s6, v9
	v_add_co_ci_u32_e32 v10, vcc_lo, s17, v10, vcc_lo
	s_waitcnt lgkmcnt(0)
	v_max_f32_e64 v11, s4, s4
	global_load_b32 v10, v[9:10], off
	v_max_f32_e32 v9, v8, v8
	s_delay_alu instid0(VALU_DEP_1) | instskip(NEXT) | instid1(VALU_DEP_1)
	v_max_f32_e32 v9, v9, v11
	v_sub_f32_e32 v12, v8, v9
	s_delay_alu instid0(VALU_DEP_1) | instskip(NEXT) | instid1(VALU_DEP_1)
	v_dual_mul_f32 v14, 0x3fb8aa3b, v12 :: v_dual_sub_f32 v11, s4, v9
	v_rndne_f32_e32 v18, v14
	s_delay_alu instid0(VALU_DEP_2) | instskip(SKIP_2) | instid1(VALU_DEP_4)
	v_mul_f32_e32 v13, 0x3fb8aa3b, v11
	v_fma_f32 v17, 0x3fb8aa3b, v12, -v14
	v_cmp_ngt_f32_e32 vcc_lo, 0xc2ce8ed0, v11
	v_sub_f32_e32 v14, v14, v18
	s_delay_alu instid0(VALU_DEP_4) | instskip(SKIP_2) | instid1(VALU_DEP_3)
	v_fma_f32 v15, 0x3fb8aa3b, v11, -v13
	v_rndne_f32_e32 v16, v13
	v_fmac_f32_e32 v17, 0x32a5705f, v12
	v_fmac_f32_e32 v15, 0x32a5705f, v11
	s_delay_alu instid0(VALU_DEP_2) | instskip(NEXT) | instid1(VALU_DEP_1)
	v_dual_sub_f32 v13, v13, v16 :: v_dual_add_f32 v14, v14, v17
	v_add_f32_e32 v13, v13, v15
	s_delay_alu instid0(VALU_DEP_2) | instskip(SKIP_2) | instid1(VALU_DEP_3)
	v_exp_f32_e32 v14, v14
	v_cvt_i32_f32_e32 v15, v16
	v_cvt_i32_f32_e32 v16, v18
	v_exp_f32_e32 v13, v13
	s_waitcnt_depctr 0xfff
	v_ldexp_f32 v14, v14, v16
	v_ldexp_f32 v13, v13, v15
	s_delay_alu instid0(VALU_DEP_1) | instskip(SKIP_1) | instid1(VALU_DEP_4)
	v_cndmask_b32_e32 v13, 0, v13, vcc_lo
	v_cmp_ngt_f32_e32 vcc_lo, 0xc2ce8ed0, v12
	v_cndmask_b32_e32 v14, 0, v14, vcc_lo
	v_cmp_nlt_f32_e32 vcc_lo, 0x42b17218, v11
	s_delay_alu instid0(VALU_DEP_4) | instskip(SKIP_1) | instid1(VALU_DEP_4)
	v_cndmask_b32_e32 v13, 0x7f800000, v13, vcc_lo
	v_cmp_nlt_f32_e32 vcc_lo, 0x42b17218, v12
	v_cndmask_b32_e32 v14, 0x7f800000, v14, vcc_lo
	v_cmp_le_f32_e32 vcc_lo, 0xc1a00000, v11
	s_delay_alu instid0(VALU_DEP_4) | instskip(SKIP_1) | instid1(VALU_DEP_4)
	v_cndmask_b32_e32 v11, 0, v13, vcc_lo
	v_cmp_le_f32_e32 vcc_lo, 0xc1a00000, v12
	v_cndmask_b32_e32 v12, 0, v14, vcc_lo
	s_waitcnt vmcnt(0)
	s_delay_alu instid0(VALU_DEP_3) | instskip(NEXT) | instid1(VALU_DEP_1)
	v_mul_f32_e32 v10, v10, v11
	v_dual_mul_f32 v11, s5, v11 :: v_dual_fmac_f32 v10, v5, v12
	s_delay_alu instid0(VALU_DEP_1)
	v_fmac_f32_e32 v11, v7, v12
	s_cbranch_execz .LBB55_18
	s_branch .LBB55_19
.LBB55_17:                              ;   in Loop: Header=BB55_9 Depth=1
                                        ; implicit-def: $sgpr13
                                        ; implicit-def: $vgpr10
                                        ; implicit-def: $vgpr9
                                        ; implicit-def: $vgpr11
                                        ; implicit-def: $sgpr1
                                        ; implicit-def: $sgpr19
.LBB55_18:                              ;   in Loop: Header=BB55_9 Depth=1
	s_waitcnt vmcnt(0)
	v_dual_mov_b32 v11, v7 :: v_dual_mov_b32 v10, v5
	v_mov_b32_e32 v9, v8
	s_add_i32 s1, s18, -1
	s_mov_b32 s13, 0
	s_mov_b32 s19, s16
.LBB55_19:                              ;   in Loop: Header=BB55_9 Depth=1
	s_and_not1_b32 vcc_lo, exec_lo, s13
	s_cbranch_vccz .LBB55_23
; %bb.20:                               ;   in Loop: Header=BB55_9 Depth=1
	v_dual_mov_b32 v7, v11 :: v_dual_mov_b32 v8, v9
	s_waitcnt vmcnt(0)
	v_mov_b32_e32 v5, v10
	s_mov_b32 s16, s19
	s_mov_b32 s18, s1
	s_branch .LBB55_9
.LBB55_21:
                                        ; implicit-def: $sgpr16_sgpr17
	s_load_b128 s[8:11], s[0:1], 0x44
	s_branch .LBB55_2
.LBB55_22:
                                        ; implicit-def: $sgpr18_sgpr19
	s_branch .LBB55_5
.LBB55_23:
	v_div_scale_f32 v0, null, v11, v11, v10
	s_delay_alu instid0(VALU_DEP_1) | instskip(SKIP_2) | instid1(VALU_DEP_1)
	v_rcp_f32_e32 v3, v0
	s_waitcnt_depctr 0xfff
	v_fma_f32 v4, -v0, v3, 1.0
	v_fmac_f32_e32 v3, v4, v3
	v_div_scale_f32 v4, vcc_lo, v10, v11, v10
	s_waitcnt vmcnt(0)
	s_delay_alu instid0(VALU_DEP_1) | instskip(NEXT) | instid1(VALU_DEP_1)
	v_mul_f32_e32 v5, v4, v3
	v_fma_f32 v6, -v0, v5, v4
	s_delay_alu instid0(VALU_DEP_1) | instskip(NEXT) | instid1(VALU_DEP_1)
	v_fmac_f32_e32 v5, v6, v3
	v_fma_f32 v0, -v0, v5, v4
	s_delay_alu instid0(VALU_DEP_1) | instskip(NEXT) | instid1(VALU_DEP_1)
	v_div_fmas_f32 v0, v0, v3, v5
	v_div_fixup_f32 v0, v0, v11, v10
	global_store_b32 v[1:2], v0, off
.LBB55_24:
	s_nop 0
	s_sendmsg sendmsg(MSG_DEALLOC_VGPRS)
	s_endpgm
	.section	.rodata,"a",@progbits
	.p2align	6, 0x0
	.amdhsa_kernel _ZL33flash_attn_stream_k_fixup_generalILi80ELi64ELi1EEvPfPK15HIP_vector_typeIfLj2EEiiiiS1_IjLj3EES5_S5_S5_
		.amdhsa_group_segment_fixed_size 0
		.amdhsa_private_segment_fixed_size 0
		.amdhsa_kernarg_size 336
		.amdhsa_user_sgpr_count 13
		.amdhsa_user_sgpr_dispatch_ptr 0
		.amdhsa_user_sgpr_queue_ptr 0
		.amdhsa_user_sgpr_kernarg_segment_ptr 1
		.amdhsa_user_sgpr_dispatch_id 0
		.amdhsa_user_sgpr_private_segment_size 0
		.amdhsa_wavefront_size32 1
		.amdhsa_uses_dynamic_stack 0
		.amdhsa_enable_private_segment 0
		.amdhsa_system_sgpr_workgroup_id_x 1
		.amdhsa_system_sgpr_workgroup_id_y 1
		.amdhsa_system_sgpr_workgroup_id_z 1
		.amdhsa_system_sgpr_workgroup_info 0
		.amdhsa_system_vgpr_workitem_id 0
		.amdhsa_next_free_vgpr 19
		.amdhsa_next_free_sgpr 32
		.amdhsa_reserve_vcc 1
		.amdhsa_float_round_mode_32 0
		.amdhsa_float_round_mode_16_64 0
		.amdhsa_float_denorm_mode_32 3
		.amdhsa_float_denorm_mode_16_64 3
		.amdhsa_dx10_clamp 1
		.amdhsa_ieee_mode 1
		.amdhsa_fp16_overflow 0
		.amdhsa_workgroup_processor_mode 1
		.amdhsa_memory_ordered 1
		.amdhsa_forward_progress 0
		.amdhsa_shared_vgpr_count 0
		.amdhsa_exception_fp_ieee_invalid_op 0
		.amdhsa_exception_fp_denorm_src 0
		.amdhsa_exception_fp_ieee_div_zero 0
		.amdhsa_exception_fp_ieee_overflow 0
		.amdhsa_exception_fp_ieee_underflow 0
		.amdhsa_exception_fp_ieee_inexact 0
		.amdhsa_exception_int_div_zero 0
	.end_amdhsa_kernel
	.section	.text._ZL33flash_attn_stream_k_fixup_generalILi80ELi64ELi1EEvPfPK15HIP_vector_typeIfLj2EEiiiiS1_IjLj3EES5_S5_S5_,"axG",@progbits,_ZL33flash_attn_stream_k_fixup_generalILi80ELi64ELi1EEvPfPK15HIP_vector_typeIfLj2EEiiiiS1_IjLj3EES5_S5_S5_,comdat
.Lfunc_end55:
	.size	_ZL33flash_attn_stream_k_fixup_generalILi80ELi64ELi1EEvPfPK15HIP_vector_typeIfLj2EEiiiiS1_IjLj3EES5_S5_S5_, .Lfunc_end55-_ZL33flash_attn_stream_k_fixup_generalILi80ELi64ELi1EEvPfPK15HIP_vector_typeIfLj2EEiiiiS1_IjLj3EES5_S5_S5_
                                        ; -- End function
	.section	.AMDGPU.csdata,"",@progbits
; Kernel info:
; codeLenInByte = 3220
; NumSgprs: 34
; NumVgprs: 19
; ScratchSize: 0
; MemoryBound: 0
; FloatMode: 240
; IeeeMode: 1
; LDSByteSize: 0 bytes/workgroup (compile time only)
; SGPRBlocks: 4
; VGPRBlocks: 2
; NumSGPRsForWavesPerEU: 34
; NumVGPRsForWavesPerEU: 19
; Occupancy: 16
; WaveLimiterHint : 0
; COMPUTE_PGM_RSRC2:SCRATCH_EN: 0
; COMPUTE_PGM_RSRC2:USER_SGPR: 13
; COMPUTE_PGM_RSRC2:TRAP_HANDLER: 0
; COMPUTE_PGM_RSRC2:TGID_X_EN: 1
; COMPUTE_PGM_RSRC2:TGID_Y_EN: 1
; COMPUTE_PGM_RSRC2:TGID_Z_EN: 1
; COMPUTE_PGM_RSRC2:TIDIG_COMP_CNT: 0
	.section	.text._ZL15flash_attn_tileILi80ELi80ELi32ELi1ELb0EEvPKcS1_S1_S1_S1_PKiPfP15HIP_vector_typeIfLj2EEffffjfiS5_IjLj3EEiiiiiiiiiiiliiliiiiil,"axG",@progbits,_ZL15flash_attn_tileILi80ELi80ELi32ELi1ELb0EEvPKcS1_S1_S1_S1_PKiPfP15HIP_vector_typeIfLj2EEffffjfiS5_IjLj3EEiiiiiiiiiiiliiliiiiil,comdat
	.globl	_ZL15flash_attn_tileILi80ELi80ELi32ELi1ELb0EEvPKcS1_S1_S1_S1_PKiPfP15HIP_vector_typeIfLj2EEffffjfiS5_IjLj3EEiiiiiiiiiiiliiliiiiil ; -- Begin function _ZL15flash_attn_tileILi80ELi80ELi32ELi1ELb0EEvPKcS1_S1_S1_S1_PKiPfP15HIP_vector_typeIfLj2EEffffjfiS5_IjLj3EEiiiiiiiiiiiliiliiiiil
	.p2align	8
	.type	_ZL15flash_attn_tileILi80ELi80ELi32ELi1ELb0EEvPKcS1_S1_S1_S1_PKiPfP15HIP_vector_typeIfLj2EEffffjfiS5_IjLj3EEiiiiiiiiiiiliiliiiiil,@function
_ZL15flash_attn_tileILi80ELi80ELi32ELi1ELb0EEvPKcS1_S1_S1_S1_PKiPfP15HIP_vector_typeIfLj2EEffffjfiS5_IjLj3EEiiiiiiiiiiiliiliiiiil: ; @_ZL15flash_attn_tileILi80ELi80ELi32ELi1ELb0EEvPKcS1_S1_S1_S1_PKiPfP15HIP_vector_typeIfLj2EEffffjfiS5_IjLj3EEiiiiiiiiiiiliiliiiiil
; %bb.0:
	s_clause 0x1
	s_load_b128 s[36:39], s[2:3], 0x5c
	s_load_b64 s[40:41], s[2:3], 0x80
	s_mov_b64 s[34:35], 0
	s_waitcnt lgkmcnt(0)
	v_cvt_f32_u32_e32 v1, s39
	s_sub_i32 s5, 0, s39
	s_delay_alu instid0(VALU_DEP_1) | instskip(SKIP_2) | instid1(VALU_DEP_1)
	v_rcp_iflag_f32_e32 v1, v1
	s_waitcnt_depctr 0xfff
	v_mul_f32_e32 v1, 0x4f7ffffe, v1
	v_cvt_u32_f32_e32 v1, v1
	s_delay_alu instid0(VALU_DEP_1) | instskip(NEXT) | instid1(VALU_DEP_1)
	v_readfirstlane_b32 s4, v1
	s_mul_i32 s5, s5, s4
	s_delay_alu instid0(SALU_CYCLE_1) | instskip(NEXT) | instid1(SALU_CYCLE_1)
	s_mul_hi_u32 s5, s4, s5
	s_add_i32 s4, s4, s5
	s_delay_alu instid0(SALU_CYCLE_1) | instskip(NEXT) | instid1(SALU_CYCLE_1)
	s_mul_hi_u32 s4, s15, s4
	s_mul_i32 s5, s4, s39
	s_add_i32 s6, s4, 1
	s_sub_i32 s5, s15, s5
	s_delay_alu instid0(SALU_CYCLE_1)
	s_sub_i32 s7, s5, s39
	s_cmp_ge_u32 s5, s39
	s_cselect_b32 s4, s6, s4
	s_cselect_b32 s5, s7, s5
	s_add_i32 s6, s4, 1
	s_cmp_ge_u32 s5, s39
	s_cselect_b32 s33, s6, s4
	s_abs_i32 s4, s41
	s_abs_i32 s7, s39
	v_cvt_f32_u32_e32 v1, s4
	s_sub_i32 s6, 0, s4
	s_delay_alu instid0(VALU_DEP_1) | instskip(SKIP_2) | instid1(VALU_DEP_1)
	v_rcp_iflag_f32_e32 v1, v1
	s_waitcnt_depctr 0xfff
	v_mul_f32_e32 v1, 0x4f7ffffe, v1
	v_cvt_u32_f32_e32 v1, v1
	s_delay_alu instid0(VALU_DEP_1) | instskip(NEXT) | instid1(VALU_DEP_1)
	v_readfirstlane_b32 s5, v1
	s_mul_i32 s6, s6, s5
	s_delay_alu instid0(SALU_CYCLE_1) | instskip(NEXT) | instid1(SALU_CYCLE_1)
	s_mul_hi_u32 s6, s5, s6
	s_add_i32 s5, s5, s6
	s_xor_b32 s6, s39, s41
	s_mul_hi_u32 s5, s7, s5
	s_ashr_i32 s6, s6, 31
	s_mul_i32 s8, s5, s4
	s_delay_alu instid0(SALU_CYCLE_1)
	s_sub_i32 s7, s7, s8
	s_add_i32 s8, s5, 1
	s_sub_i32 s9, s7, s4
	s_cmp_ge_u32 s7, s4
	s_cselect_b32 s5, s8, s5
	s_cselect_b32 s7, s9, s7
	s_add_i32 s8, s5, 1
	s_cmp_ge_u32 s7, s4
	s_cselect_b32 s4, s8, s5
	s_delay_alu instid0(SALU_CYCLE_1) | instskip(NEXT) | instid1(SALU_CYCLE_1)
	s_xor_b32 s4, s4, s6
	s_sub_i32 s42, s4, s6
	s_clause 0x1
	s_load_b512 s[16:31], s[2:3], 0x0
	s_load_b64 s[6:7], s[2:3], 0xb8
	s_abs_i32 s12, s42
	s_mul_i32 s4, s33, s39
	v_cvt_f32_u32_e32 v1, s12
	s_delay_alu instid0(VALU_DEP_1) | instskip(SKIP_4) | instid1(VALU_DEP_1)
	v_rcp_iflag_f32_e32 v1, v1
	s_waitcnt_depctr 0xfff
	v_mul_f32_e32 v1, 0x4f7ffffe, v1
	s_waitcnt lgkmcnt(0)
	s_cmp_eq_u64 s[22:23], 0
	v_cvt_u32_f32_e32 v1, v1
	s_delay_alu instid0(VALU_DEP_1)
	v_readfirstlane_b32 s43, v1
	s_cbranch_scc1 .LBB56_2
; %bb.1:
	s_abs_i32 s5, s6
	s_abs_i32 s10, s33
	v_cvt_f32_u32_e32 v1, s5
	s_sub_i32 s8, 0, s5
	s_delay_alu instid0(VALU_DEP_1) | instskip(SKIP_2) | instid1(VALU_DEP_1)
	v_rcp_iflag_f32_e32 v1, v1
	s_waitcnt_depctr 0xfff
	v_mul_f32_e32 v1, 0x4f7ffffe, v1
	v_cvt_u32_f32_e32 v1, v1
	s_delay_alu instid0(VALU_DEP_1) | instskip(NEXT) | instid1(VALU_DEP_1)
	v_readfirstlane_b32 s6, v1
	s_mul_i32 s8, s8, s6
	s_delay_alu instid0(SALU_CYCLE_1) | instskip(NEXT) | instid1(SALU_CYCLE_1)
	s_mul_hi_u32 s8, s6, s8
	s_add_i32 s6, s6, s8
	s_load_b64 s[8:9], s[2:3], 0xc8
	s_mul_hi_u32 s6, s10, s6
	s_delay_alu instid0(SALU_CYCLE_1) | instskip(NEXT) | instid1(SALU_CYCLE_1)
	s_mul_i32 s6, s6, s5
	s_sub_i32 s6, s10, s6
	s_ashr_i32 s10, s33, 31
	s_sub_i32 s11, s6, s5
	s_cmp_ge_u32 s6, s5
	s_cselect_b32 s6, s11, s6
	s_delay_alu instid0(SALU_CYCLE_1) | instskip(SKIP_2) | instid1(SALU_CYCLE_1)
	s_sub_i32 s11, s6, s5
	s_cmp_ge_u32 s6, s5
	s_cselect_b32 s5, s11, s6
	s_xor_b32 s5, s5, s10
	s_delay_alu instid0(SALU_CYCLE_1)
	s_sub_i32 s5, s5, s10
	s_waitcnt lgkmcnt(0)
	s_mul_i32 s6, s5, s9
	s_mul_hi_u32 s9, s5, s8
	s_ashr_i32 s10, s5, 31
	s_add_i32 s6, s9, s6
	s_mul_i32 s10, s10, s8
	s_mul_i32 s5, s5, s8
	s_add_i32 s6, s6, s10
	s_add_u32 s34, s22, s5
	s_addc_u32 s35, s23, s6
.LBB56_2:
	s_clause 0x1
	s_load_b128 s[8:11], s[2:3], 0x40
	s_load_b32 s5, s[2:3], 0x50
	v_mov_b32_e32 v97, 1.0
	s_sub_i32 s22, s15, s4
	s_waitcnt lgkmcnt(0)
	v_cmp_le_f32_e64 s6, s9, 0
	s_sub_i32 s9, 0, s12
	s_delay_alu instid0(VALU_DEP_1)
	s_and_b32 vcc_lo, exec_lo, s6
	s_cbranch_vccnz .LBB56_4
; %bb.3:
	s_sub_i32 s4, s22, s5
	s_add_i32 s6, s22, 1
	s_lshl_b32 s4, s4, 1
	v_mov_b32_e32 v1, s10
	s_or_b32 s4, s4, 1
	s_cmp_lt_u32 s22, s5
	s_cselect_b32 vcc_lo, -1, 0
	s_delay_alu instid0(VALU_DEP_1)
	v_cndmask_b32_e32 v3, s11, v1, vcc_lo
	s_and_b32 s5, vcc_lo, exec_lo
	s_cselect_b32 s4, s6, s4
	s_mov_b32 s5, 0x3e76c4e1
	v_cvt_f32_i32_e32 v1, s4
	v_cmp_neq_f32_e32 vcc_lo, 1.0, v3
	s_delay_alu instid0(VALU_DEP_2) | instskip(NEXT) | instid1(VALU_DEP_1)
	v_cndmask_b32_e32 v4, 1.0, v1, vcc_lo
	v_cmp_eq_f32_e32 vcc_lo, 0, v4
	v_cndmask_b32_e64 v5, |v3|, 1.0, vcc_lo
	s_delay_alu instid0(VALU_DEP_1) | instskip(NEXT) | instid1(VALU_DEP_1)
	v_frexp_mant_f32_e32 v1, v5
	v_cmp_gt_f32_e64 s4, 0x3f2aaaab, v1
	s_delay_alu instid0(VALU_DEP_1) | instskip(NEXT) | instid1(VALU_DEP_1)
	v_cndmask_b32_e64 v2, 1.0, 2.0, s4
	v_mul_f32_e32 v1, v1, v2
	s_delay_alu instid0(VALU_DEP_1) | instskip(SKIP_1) | instid1(VALU_DEP_2)
	v_add_f32_e32 v2, 1.0, v1
	v_add_f32_e32 v7, -1.0, v1
	v_rcp_f32_e32 v6, v2
	s_waitcnt_depctr 0xfff
	v_mul_f32_e32 v8, v7, v6
	s_delay_alu instid0(VALU_DEP_1) | instskip(NEXT) | instid1(VALU_DEP_1)
	v_dual_add_f32 v9, -1.0, v2 :: v_dual_mul_f32 v10, v2, v8
	v_sub_f32_e32 v1, v1, v9
	v_cndmask_b32_e64 v3, v3, 1.0, vcc_lo
	s_delay_alu instid0(VALU_DEP_3) | instskip(NEXT) | instid1(VALU_DEP_2)
	v_fma_f32 v2, v8, v2, -v10
	v_cmp_eq_f32_e64 s6, 0, v3
	s_delay_alu instid0(VALU_DEP_2) | instskip(NEXT) | instid1(VALU_DEP_1)
	v_fmac_f32_e32 v2, v8, v1
	v_add_f32_e32 v1, v10, v2
	s_delay_alu instid0(VALU_DEP_1) | instskip(NEXT) | instid1(VALU_DEP_1)
	v_dual_sub_f32 v10, v1, v10 :: v_dual_sub_f32 v9, v7, v1
	v_dual_sub_f32 v2, v10, v2 :: v_dual_sub_f32 v7, v7, v9
	s_delay_alu instid0(VALU_DEP_1) | instskip(NEXT) | instid1(VALU_DEP_1)
	v_sub_f32_e32 v1, v7, v1
	v_add_f32_e32 v1, v2, v1
	s_delay_alu instid0(VALU_DEP_1) | instskip(NEXT) | instid1(VALU_DEP_1)
	v_add_f32_e32 v1, v9, v1
	v_mul_f32_e32 v1, v6, v1
	s_delay_alu instid0(VALU_DEP_1) | instskip(NEXT) | instid1(VALU_DEP_1)
	v_add_f32_e32 v6, v8, v1
	v_sub_f32_e32 v2, v6, v8
	v_mul_f32_e32 v7, v6, v6
	s_delay_alu instid0(VALU_DEP_2) | instskip(NEXT) | instid1(VALU_DEP_2)
	v_sub_f32_e32 v8, v1, v2
	v_fma_f32 v9, v6, v6, -v7
	s_delay_alu instid0(VALU_DEP_2) | instskip(NEXT) | instid1(VALU_DEP_1)
	v_add_f32_e32 v1, v8, v8
	v_fmac_f32_e32 v9, v6, v1
	v_cvt_f64_f32_e32 v[1:2], v5
	s_delay_alu instid0(VALU_DEP_2) | instskip(NEXT) | instid1(VALU_DEP_1)
	v_add_f32_e32 v10, v7, v9
	v_fmaak_f32 v11, s5, v10, 0x3e91f4c4
	v_sub_f32_e32 v7, v10, v7
	v_mul_f32_e32 v14, v6, v10
	s_delay_alu instid0(VALU_DEP_3) | instskip(NEXT) | instid1(VALU_DEP_3)
	v_fmaak_f32 v11, v10, v11, 0x3ecccdef
	v_sub_f32_e32 v7, v9, v7
	s_delay_alu instid0(VALU_DEP_2) | instskip(NEXT) | instid1(VALU_DEP_1)
	v_mul_f32_e32 v12, v10, v11
	v_fma_f32 v9, v10, v11, -v12
	s_delay_alu instid0(VALU_DEP_1) | instskip(NEXT) | instid1(VALU_DEP_1)
	v_fmac_f32_e32 v9, v7, v11
	v_add_f32_e32 v11, v12, v9
	v_frexp_exp_i32_f64_e32 v1, v[1:2]
	s_delay_alu instid0(VALU_DEP_2) | instskip(NEXT) | instid1(VALU_DEP_1)
	v_sub_f32_e32 v12, v11, v12
	v_sub_f32_e32 v2, v9, v12
	v_fma_f32 v12, v10, v6, -v14
	s_delay_alu instid0(VALU_DEP_2) | instskip(NEXT) | instid1(VALU_DEP_2)
	v_add_f32_e32 v2, 0x31739010, v2
	v_dual_add_f32 v13, 0x3f2aaaaa, v11 :: v_dual_fmac_f32 v12, v10, v8
	v_ldexp_f32 v8, v8, 1
	s_delay_alu instid0(VALU_DEP_2) | instskip(NEXT) | instid1(VALU_DEP_1)
	v_dual_add_f32 v9, 0xbf2aaaaa, v13 :: v_dual_fmac_f32 v12, v7, v6
	v_sub_f32_e32 v9, v11, v9
	s_delay_alu instid0(VALU_DEP_1) | instskip(NEXT) | instid1(VALU_DEP_3)
	v_add_f32_e32 v2, v2, v9
	v_add_f32_e32 v9, v14, v12
	s_delay_alu instid0(VALU_DEP_2) | instskip(NEXT) | instid1(VALU_DEP_1)
	v_add_f32_e32 v7, v13, v2
	v_sub_f32_e32 v10, v13, v7
	s_delay_alu instid0(VALU_DEP_3) | instskip(SKIP_2) | instid1(VALU_DEP_4)
	v_mul_f32_e32 v11, v9, v7
	v_sub_f32_e32 v13, v9, v14
	v_subrev_co_ci_u32_e64 v1, s4, 0, v1, s4
	v_add_f32_e32 v2, v2, v10
	s_delay_alu instid0(VALU_DEP_4) | instskip(NEXT) | instid1(VALU_DEP_4)
	v_fma_f32 v10, v9, v7, -v11
	v_sub_f32_e32 v12, v12, v13
	s_delay_alu instid0(VALU_DEP_4) | instskip(NEXT) | instid1(VALU_DEP_3)
	v_cvt_f32_i32_e32 v1, v1
	v_fmac_f32_e32 v10, v9, v2
	v_ldexp_f32 v2, v6, 1
	s_delay_alu instid0(VALU_DEP_2) | instskip(NEXT) | instid1(VALU_DEP_1)
	v_fmac_f32_e32 v10, v12, v7
	v_add_f32_e32 v6, v11, v10
	s_delay_alu instid0(VALU_DEP_1) | instskip(NEXT) | instid1(VALU_DEP_1)
	v_add_f32_e32 v7, v2, v6
	v_dual_sub_f32 v2, v7, v2 :: v_dual_sub_f32 v9, v6, v11
	s_delay_alu instid0(VALU_DEP_1) | instskip(NEXT) | instid1(VALU_DEP_2)
	v_sub_f32_e32 v2, v6, v2
	v_sub_f32_e32 v9, v10, v9
	s_delay_alu instid0(VALU_DEP_1) | instskip(NEXT) | instid1(VALU_DEP_1)
	v_add_f32_e32 v6, v8, v9
	v_dual_mul_f32 v11, 0x3f317218, v1 :: v_dual_add_f32 v2, v6, v2
	s_delay_alu instid0(VALU_DEP_1) | instskip(NEXT) | instid1(VALU_DEP_2)
	v_fma_f32 v10, 0x3f317218, v1, -v11
	v_add_f32_e32 v8, v7, v2
	s_delay_alu instid0(VALU_DEP_1) | instskip(NEXT) | instid1(VALU_DEP_1)
	v_sub_f32_e32 v7, v8, v7
	v_dual_fmamk_f32 v1, v1, 0xb102e308, v10 :: v_dual_sub_f32 v2, v2, v7
	s_delay_alu instid0(VALU_DEP_1) | instskip(NEXT) | instid1(VALU_DEP_1)
	v_add_f32_e32 v6, v11, v1
	v_add_f32_e32 v9, v6, v8
	s_delay_alu instid0(VALU_DEP_1) | instskip(NEXT) | instid1(VALU_DEP_1)
	v_dual_sub_f32 v11, v6, v11 :: v_dual_sub_f32 v10, v9, v6
	v_sub_f32_e32 v12, v9, v10
	s_delay_alu instid0(VALU_DEP_2) | instskip(NEXT) | instid1(VALU_DEP_2)
	v_sub_f32_e32 v1, v1, v11
	v_dual_sub_f32 v7, v8, v10 :: v_dual_sub_f32 v6, v6, v12
	s_delay_alu instid0(VALU_DEP_2) | instskip(NEXT) | instid1(VALU_DEP_2)
	v_add_f32_e32 v8, v1, v2
	v_add_f32_e32 v6, v7, v6
	s_delay_alu instid0(VALU_DEP_1) | instskip(NEXT) | instid1(VALU_DEP_1)
	v_add_f32_e32 v6, v8, v6
	v_dual_sub_f32 v7, v8, v1 :: v_dual_add_f32 v10, v9, v6
	s_delay_alu instid0(VALU_DEP_1) | instskip(SKIP_1) | instid1(VALU_DEP_3)
	v_sub_f32_e32 v8, v8, v7
	v_sub_f32_e32 v2, v2, v7
	;; [unrolled: 1-line block ×3, first 2 shown]
	s_delay_alu instid0(VALU_DEP_3) | instskip(NEXT) | instid1(VALU_DEP_1)
	v_sub_f32_e32 v1, v1, v8
	v_add_f32_e32 v1, v2, v1
	s_delay_alu instid0(VALU_DEP_3) | instskip(NEXT) | instid1(VALU_DEP_1)
	v_sub_f32_e32 v2, v6, v7
	v_add_f32_e32 v1, v1, v2
	s_delay_alu instid0(VALU_DEP_1) | instskip(NEXT) | instid1(VALU_DEP_1)
	v_add_f32_e32 v2, v10, v1
	v_mul_f32_e32 v7, v4, v2
	v_sub_f32_e32 v6, v2, v10
	s_delay_alu instid0(VALU_DEP_2) | instskip(NEXT) | instid1(VALU_DEP_2)
	v_fma_f32 v2, v4, v2, -v7
	v_sub_f32_e32 v1, v1, v6
	v_cmp_class_f32_e64 s4, v7, 0x204
	s_delay_alu instid0(VALU_DEP_2) | instskip(NEXT) | instid1(VALU_DEP_1)
	v_fmac_f32_e32 v2, v4, v1
	v_add_f32_e32 v1, v7, v2
	s_delay_alu instid0(VALU_DEP_1) | instskip(NEXT) | instid1(VALU_DEP_1)
	v_cndmask_b32_e64 v6, v1, v7, s4
	v_cmp_eq_f32_e64 s4, 0x42b17218, v6
	s_delay_alu instid0(VALU_DEP_1) | instskip(SKIP_1) | instid1(VALU_DEP_2)
	v_cndmask_b32_e64 v8, 0, 0x37000000, s4
	v_cmp_neq_f32_e64 s4, 0x7f800000, |v6|
	v_sub_f32_e32 v9, v6, v8
	v_trunc_f32_e32 v6, v4
	s_delay_alu instid0(VALU_DEP_2) | instskip(NEXT) | instid1(VALU_DEP_1)
	v_mul_f32_e32 v10, 0x3fb8aa3b, v9
	v_fma_f32 v11, 0x3fb8aa3b, v9, -v10
	v_rndne_f32_e32 v12, v10
	s_delay_alu instid0(VALU_DEP_1) | instskip(NEXT) | instid1(VALU_DEP_1)
	v_dual_fmamk_f32 v11, v9, 0x32a5705f, v11 :: v_dual_sub_f32 v10, v10, v12
	v_add_f32_e32 v10, v10, v11
	v_sub_f32_e32 v1, v1, v7
	v_cvt_i32_f32_e32 v7, v12
	s_delay_alu instid0(VALU_DEP_3) | instskip(NEXT) | instid1(VALU_DEP_2)
	v_exp_f32_e32 v10, v10
	v_sub_f32_e32 v1, v2, v1
	s_delay_alu instid0(VALU_DEP_1)
	v_cndmask_b32_e64 v1, 0, v1, s4
	v_cmp_ngt_f32_e64 s4, 0xc2ce8ed0, v9
	s_waitcnt_depctr 0xfff
	v_ldexp_f32 v2, v10, v7
	v_mul_f32_e32 v7, 0.5, v4
	v_add_f32_e32 v1, v8, v1
	s_delay_alu instid0(VALU_DEP_3) | instskip(NEXT) | instid1(VALU_DEP_3)
	v_cndmask_b32_e64 v2, 0, v2, s4
	v_trunc_f32_e32 v10, v7
	v_cmp_nlt_f32_e64 s4, 0x42b17218, v9
	s_delay_alu instid0(VALU_DEP_2) | instskip(NEXT) | instid1(VALU_DEP_2)
	v_cmp_neq_f32_e64 s5, v10, v7
	v_cndmask_b32_e64 v2, 0x7f800000, v2, s4
	v_cmp_eq_f32_e64 s4, v6, v4
	s_delay_alu instid0(VALU_DEP_2) | instskip(NEXT) | instid1(VALU_DEP_2)
	v_fma_f32 v1, v2, v1, v2
	s_and_b32 vcc_lo, s4, s5
	v_cmp_class_f32_e64 s5, v2, 0x204
	v_cndmask_b32_e32 v6, 1.0, v3, vcc_lo
	s_delay_alu instid0(VALU_DEP_2) | instskip(SKIP_1) | instid1(VALU_DEP_2)
	v_cndmask_b32_e64 v1, v1, v2, s5
	v_cmp_gt_f32_e64 s5, 0, v4
	v_bfi_b32 v1, 0x7fffffff, v1, v6
	v_cndmask_b32_e32 v6, 0, v3, vcc_lo
	s_delay_alu instid0(VALU_DEP_3)
	s_xor_b32 s5, s5, s6
	v_cmp_eq_f32_e32 vcc_lo, 0x7f800000, v5
	v_cndmask_b32_e64 v2, 0x7f800000, 0, s5
	v_cndmask_b32_e64 v4, 0x7fc00000, v1, s4
	v_cmp_gt_f32_e64 s4, 0, v3
	s_or_b32 vcc_lo, vcc_lo, s6
	s_delay_alu instid0(VALU_DEP_3) | instskip(NEXT) | instid1(VALU_DEP_2)
	v_bfi_b32 v2, 0x7fffffff, v2, v6
	v_cndmask_b32_e64 v1, v1, v4, s4
	s_delay_alu instid0(VALU_DEP_1) | instskip(SKIP_1) | instid1(VALU_DEP_2)
	v_cndmask_b32_e32 v1, v1, v2, vcc_lo
	v_cmp_o_f32_e32 vcc_lo, v3, v3
	v_cndmask_b32_e32 v97, 0x7fc00000, v1, vcc_lo
.LBB56_4:
	s_load_b128 s[44:47], s[2:3], 0x70
	v_and_b32_e32 v80, 0x3ff, v0
	v_bfe_u32 v95, v0, 10, 10
	s_lshl_b32 s41, s13, 5
	s_mul_i32 s9, s9, s43
	s_delay_alu instid0(VALU_DEP_2) | instskip(NEXT) | instid1(VALU_DEP_2)
	v_lshlrev_b32_e32 v2, 4, v80
	v_lshlrev_b32_e32 v83, 2, v95
	v_cmp_gt_u32_e64 s4, 20, v80
	v_lshlrev_b32_e32 v1, 1, v80
	s_delay_alu instid0(VALU_DEP_3)
	v_add_nc_u32_e32 v84, s41, v83
	s_waitcnt lgkmcnt(0)
	s_mul_i32 s5, s33, s46
	s_mul_i32 s6, s22, s45
	s_ashr_i32 s10, s5, 31
	s_add_u32 s5, s16, s5
	s_addc_u32 s10, s17, s10
	s_ashr_i32 s11, s6, 31
	s_add_u32 s5, s5, s6
	s_addc_u32 s6, s10, s11
	v_add_co_u32 v2, s5, s5, v2
	s_delay_alu instid0(VALU_DEP_1) | instskip(SKIP_1) | instid1(SALU_CYCLE_1)
	v_add_co_ci_u32_e64 v3, null, s6, 0, s5
	s_ashr_i32 s45, s44, 31
	s_lshr_b64 s[10:11], s[44:45], 2
	s_and_saveexec_b32 s5, s4
	s_cbranch_execz .LBB56_6
; %bb.5:
	v_mul_hi_u32 v4, v84, s36
	v_mul_u32_u24_e32 v10, 0xa0, v95
	s_delay_alu instid0(VALU_DEP_2) | instskip(NEXT) | instid1(VALU_DEP_1)
	v_add_nc_u32_e32 v4, v84, v4
	v_lshrrev_b32_e32 v4, s37, v4
	s_delay_alu instid0(VALU_DEP_1) | instskip(NEXT) | instid1(VALU_DEP_1)
	v_mul_lo_u32 v4, v4, s38
	v_sub_nc_u32_e32 v8, v84, v4
	s_delay_alu instid0(VALU_DEP_1) | instskip(NEXT) | instid1(VALU_DEP_1)
	v_mad_u64_u32 v[4:5], null, s10, v8, 0
	v_mad_u64_u32 v[6:7], null, s11, v8, v[5:6]
	s_delay_alu instid0(VALU_DEP_1) | instskip(NEXT) | instid1(VALU_DEP_1)
	v_mov_b32_e32 v5, v6
	v_lshlrev_b64 v[4:5], 2, v[4:5]
	s_delay_alu instid0(VALU_DEP_1) | instskip(NEXT) | instid1(VALU_DEP_2)
	v_add_co_u32 v4, vcc_lo, v2, v4
	v_add_co_ci_u32_e32 v5, vcc_lo, v3, v5, vcc_lo
	global_load_b128 v[4:7], v[4:5], off
	s_waitcnt vmcnt(0)
	v_fma_mixlo_f16 v9, v6, s8, 0
	v_fma_mixlo_f16 v8, v4, s8, 0
	v_add_lshl_u32 v4, v10, v1, 2
	s_delay_alu instid0(VALU_DEP_3) | instskip(NEXT) | instid1(VALU_DEP_3)
	v_fma_mixhi_f16 v9, v7, s8, 0
	v_fma_mixhi_f16 v8, v5, s8, 0
	ds_store_b64 v4, v[8:9]
.LBB56_6:
	s_or_b32 exec_lo, exec_lo, s5
	v_or_b32_e32 v81, 1, v83
	s_mul_hi_u32 s6, s43, s9
	s_delay_alu instid0(VALU_DEP_1)
	v_add_nc_u32_e32 v82, s41, v81
	s_and_saveexec_b32 s5, s4
	s_cbranch_execz .LBB56_8
; %bb.7:
	s_delay_alu instid0(VALU_DEP_1) | instskip(SKIP_1) | instid1(VALU_DEP_2)
	v_mul_hi_u32 v4, v82, s36
	v_mul_u32_u24_e32 v10, 40, v81
	v_add_nc_u32_e32 v4, v82, v4
	s_delay_alu instid0(VALU_DEP_1) | instskip(NEXT) | instid1(VALU_DEP_1)
	v_lshrrev_b32_e32 v4, s37, v4
	v_mul_lo_u32 v4, v4, s38
	s_delay_alu instid0(VALU_DEP_1) | instskip(NEXT) | instid1(VALU_DEP_1)
	v_sub_nc_u32_e32 v8, v82, v4
	v_mad_u64_u32 v[4:5], null, s10, v8, 0
	s_delay_alu instid0(VALU_DEP_1) | instskip(NEXT) | instid1(VALU_DEP_1)
	v_mad_u64_u32 v[6:7], null, s11, v8, v[5:6]
	v_mov_b32_e32 v5, v6
	s_delay_alu instid0(VALU_DEP_1) | instskip(NEXT) | instid1(VALU_DEP_1)
	v_lshlrev_b64 v[4:5], 2, v[4:5]
	v_add_co_u32 v4, vcc_lo, v2, v4
	s_delay_alu instid0(VALU_DEP_2)
	v_add_co_ci_u32_e32 v5, vcc_lo, v3, v5, vcc_lo
	global_load_b128 v[4:7], v[4:5], off
	s_waitcnt vmcnt(0)
	v_fma_mixlo_f16 v9, v6, s8, 0
	v_fma_mixlo_f16 v8, v4, s8, 0
	v_add_lshl_u32 v4, v10, v1, 2
	s_delay_alu instid0(VALU_DEP_3) | instskip(NEXT) | instid1(VALU_DEP_3)
	v_fma_mixhi_f16 v9, v7, s8, 0
	v_fma_mixhi_f16 v8, v5, s8, 0
	ds_store_b64 v4, v[8:9]
.LBB56_8:
	s_or_b32 exec_lo, exec_lo, s5
	v_or_b32_e32 v79, 2, v83
	s_abs_i32 s5, s22
	s_add_i32 s43, s43, s6
	s_and_saveexec_b32 s6, s4
	s_cbranch_execz .LBB56_10
; %bb.9:
	v_add_nc_u32_e32 v4, s41, v79
	v_mul_u32_u24_e32 v10, 40, v79
	s_delay_alu instid0(VALU_DEP_2) | instskip(NEXT) | instid1(VALU_DEP_1)
	v_mul_hi_u32 v5, v4, s36
	v_add_nc_u32_e32 v5, v4, v5
	s_delay_alu instid0(VALU_DEP_1) | instskip(NEXT) | instid1(VALU_DEP_1)
	v_lshrrev_b32_e32 v5, s37, v5
	v_mul_lo_u32 v5, v5, s38
	s_delay_alu instid0(VALU_DEP_1) | instskip(NEXT) | instid1(VALU_DEP_1)
	v_sub_nc_u32_e32 v8, v4, v5
	v_mad_u64_u32 v[4:5], null, s10, v8, 0
	s_delay_alu instid0(VALU_DEP_1) | instskip(NEXT) | instid1(VALU_DEP_1)
	v_mad_u64_u32 v[6:7], null, s11, v8, v[5:6]
	v_mov_b32_e32 v5, v6
	s_delay_alu instid0(VALU_DEP_1) | instskip(NEXT) | instid1(VALU_DEP_1)
	v_lshlrev_b64 v[4:5], 2, v[4:5]
	v_add_co_u32 v4, vcc_lo, v2, v4
	s_delay_alu instid0(VALU_DEP_2)
	v_add_co_ci_u32_e32 v5, vcc_lo, v3, v5, vcc_lo
	global_load_b128 v[4:7], v[4:5], off
	s_waitcnt vmcnt(0)
	v_fma_mixlo_f16 v9, v6, s8, 0
	v_fma_mixlo_f16 v8, v4, s8, 0
	v_add_lshl_u32 v4, v10, v1, 2
	s_delay_alu instid0(VALU_DEP_3) | instskip(NEXT) | instid1(VALU_DEP_3)
	v_fma_mixhi_f16 v9, v7, s8, 0
	v_fma_mixhi_f16 v8, v5, s8, 0
	ds_store_b64 v4, v[8:9]
.LBB56_10:
	s_or_b32 exec_lo, exec_lo, s6
	v_or_b32_e32 v78, 3, v83
	s_mul_hi_u32 s6, s5, s43
	s_and_saveexec_b32 s9, s4
	s_cbranch_execz .LBB56_12
; %bb.11:
	s_delay_alu instid0(VALU_DEP_1) | instskip(NEXT) | instid1(VALU_DEP_1)
	v_add_nc_u32_e32 v4, s41, v78
	v_mul_hi_u32 v5, v4, s36
	s_delay_alu instid0(VALU_DEP_1) | instskip(NEXT) | instid1(VALU_DEP_1)
	v_add_nc_u32_e32 v5, v4, v5
	v_lshrrev_b32_e32 v5, s37, v5
	s_delay_alu instid0(VALU_DEP_1) | instskip(NEXT) | instid1(VALU_DEP_1)
	v_mul_lo_u32 v5, v5, s38
	v_sub_nc_u32_e32 v8, v4, v5
	s_delay_alu instid0(VALU_DEP_1) | instskip(NEXT) | instid1(VALU_DEP_1)
	v_mad_u64_u32 v[4:5], null, s10, v8, 0
	v_mad_u64_u32 v[6:7], null, s11, v8, v[5:6]
	v_mul_u32_u24_e32 v8, 40, v78
	s_delay_alu instid0(VALU_DEP_1) | instskip(NEXT) | instid1(VALU_DEP_3)
	v_add_lshl_u32 v1, v8, v1, 2
	v_mov_b32_e32 v5, v6
	s_delay_alu instid0(VALU_DEP_1) | instskip(NEXT) | instid1(VALU_DEP_1)
	v_lshlrev_b64 v[4:5], 2, v[4:5]
	v_add_co_u32 v2, vcc_lo, v2, v4
	s_delay_alu instid0(VALU_DEP_2) | instskip(SKIP_4) | instid1(VALU_DEP_2)
	v_add_co_ci_u32_e32 v3, vcc_lo, v3, v5, vcc_lo
	global_load_b128 v[2:5], v[2:3], off
	s_waitcnt vmcnt(0)
	v_fma_mixlo_f16 v7, v4, s8, 0
	v_fma_mixlo_f16 v6, v2, s8, 0
	v_fma_mixhi_f16 v7, v5, s8, 0
	s_delay_alu instid0(VALU_DEP_2)
	v_fma_mixhi_f16 v6, v3, s8, 0
	ds_store_b64 v1, v[6:7]
.LBB56_12:
	s_or_b32 exec_lo, exec_lo, s9
	s_ashr_i32 s23, s22, 31
	s_ashr_i32 s15, s42, 31
	s_cmp_eq_u64 s[26:27], 0
	s_waitcnt lgkmcnt(0)
	s_barrier
	buffer_gl0_inv
	s_cbranch_scc1 .LBB56_14
; %bb.13:
	s_load_b32 s8, s[2:3], 0xd0
	s_mov_b32 s9, 0
	s_waitcnt lgkmcnt(0)
	s_mul_i32 s8, s8, s33
	s_delay_alu instid0(SALU_CYCLE_1) | instskip(NEXT) | instid1(SALU_CYCLE_1)
	s_add_i32 s8, s8, s13
	s_lshl_b64 s[8:9], s[8:9], 2
	s_delay_alu instid0(SALU_CYCLE_1)
	s_add_u32 s8, s26, s8
	s_addc_u32 s9, s27, s9
	s_load_b32 s40, s[8:9], 0x0
.LBB56_14:
	s_clause 0x1
	s_load_b64 s[16:17], s[2:3], 0x8c
	s_load_b128 s[8:11], s[2:3], 0x98
	s_ashr_i32 s42, s7, 1
	s_ashr_i32 s7, s33, 31
	s_load_b64 s[48:49], s[2:3], 0xa8
	s_mul_i32 s13, s6, s12
	s_mov_b32 s44, 0xfeffffff
	v_dual_mov_b32 v104, 0 :: v_dual_lshlrev_b32 v69, 2, v80
	s_mov_b32 s45, s44
	s_mov_b32 s46, s44
	;; [unrolled: 1-line block ×3, first 2 shown]
	v_dual_mov_b32 v1, s44 :: v_dual_mov_b32 v2, s45
	v_dual_mov_b32 v3, s46 :: v_dual_mov_b32 v4, s47
	v_dual_mov_b32 v94, 0 :: v_dual_lshlrev_b32 v89, 3, v80
	v_lshl_add_u32 v110, v95, 5, v80
	v_lshrrev_b32_e32 v109, 2, v80
	s_waitcnt lgkmcnt(0)
	s_ashr_i32 s43, s16, 2
	s_ashr_i32 s26, s10, 2
	s_mul_i32 s9, s33, s9
	s_mul_hi_u32 s10, s33, s8
	s_mul_i32 s16, s7, s8
	s_add_i32 s9, s10, s9
	s_mul_i32 s8, s33, s8
	s_add_i32 s9, s9, s16
	s_add_u32 s8, s18, s8
	s_addc_u32 s9, s19, s9
	s_sub_i32 s5, s5, s13
	s_xor_b32 s10, s23, s15
	s_add_i32 s13, s6, 1
	s_sub_i32 s15, s5, s12
	s_cmp_ge_u32 s5, s12
	s_mul_i32 s7, s7, s48
	s_cselect_b32 s6, s13, s6
	s_cselect_b32 s5, s15, s5
	s_add_i32 s13, s6, 1
	s_cmp_ge_u32 s5, s12
	s_mul_hi_u32 s12, s33, s48
	s_cselect_b32 s5, s13, s6
	s_mul_i32 s6, s33, s49
	s_xor_b32 s5, s5, s10
	s_mul_i32 s13, s33, s48
	s_sub_i32 s5, s5, s10
	v_mul_u32_u24_e32 v103, 0x60, v80
	s_mul_i32 s10, s5, s17
	s_mul_i32 s5, s5, s11
	s_ashr_i32 s15, s10, 31
	s_add_u32 s44, s8, s10
	s_addc_u32 s45, s9, s15
	s_add_i32 s6, s12, s6
	v_mul_u32_u24_e32 v102, 0x280, v95
	s_add_i32 s6, s6, s7
	s_add_u32 s7, s20, s13
	s_addc_u32 s6, s21, s6
	s_ashr_i32 s8, s5, 31
	s_add_u32 s20, s7, s5
	v_and_b32_e32 v108, 12, v69
	v_lshl_add_u32 v86, v95, 8, 0x20c0
	v_lshrrev_b32_e32 v101, 1, v80
	v_lshrrev_b32_e32 v99, 3, v80
	v_and_b32_e32 v100, 4, v69
	v_and_b32_e32 v98, 28, v69
	v_mbcnt_lo_u32_b32 v85, -1, 0
	s_addc_u32 s21, s6, s8
	s_lshl_b32 s27, s14, 5
	s_sub_i32 s46, s40, 32
	s_delay_alu instid0(SALU_CYCLE_1)
	s_cmp_ge_i32 s27, s46
	s_cbranch_scc1 .LBB56_42
; %bb.15:
	v_or_b32_e32 v5, 1, v84
	v_or_b32_e32 v6, 2, v84
	v_mul_hi_u32 v2, s36, v84
	v_lshl_add_u32 v3, v95, 3, v109
	v_dual_mov_b32 v93, 0 :: v_dual_lshlrev_b32 v12, 2, v108
	v_mul_hi_u32 v4, s36, v5
	v_mul_hi_u32 v8, s36, v6
	s_delay_alu instid0(VALU_DEP_4)
	v_mul_u32_u24_e32 v11, 0x60, v3
	v_dual_mov_b32 v87, 0 :: v_dual_add_nc_u32 v10, v84, v2
	v_or_b32_e32 v7, 3, v84
	v_mul_lo_u32 v1, s43, v110
	v_dual_mov_b32 v91, 0 :: v_dual_add_nc_u32 v4, v5, v4
	v_add_nc_u32_e32 v8, v6, v8
	v_lshrrev_b32_e32 v10, s37, v10
	v_add3_u32 v112, v11, v12, 0x1400
	v_lshl_add_u32 v11, v95, 4, v101
	v_lshrrev_b32_e32 v4, s37, v4
	v_lshrrev_b32_e32 v8, s37, v8
	v_mul_lo_u32 v10, v10, s38
	v_mul_hi_u32 v9, s36, v7
	v_cmp_gt_u32_e64 s6, 32, v3
	v_mul_lo_u32 v13, v4, s38
	v_mul_lo_u32 v8, v8, s38
	;; [unrolled: 1-line block ×3, first 2 shown]
	v_ashrrev_i32_e32 v2, 31, v1
	s_movk_i32 s7, 0x1440
	v_sub_nc_u32_e32 v10, v84, v10
	v_add_nc_u32_e32 v9, v7, v9
	v_mov_b32_e32 v123, 0
	v_sub_nc_u32_e32 v5, v5, v13
	v_sub_nc_u32_e32 v6, v6, v8
	v_add_nc_u32_e32 v8, v83, v99
	v_mul_lo_u32 v113, v10, s42
	v_lshlrev_b32_e32 v10, 2, v98
	v_mul_lo_u32 v114, v5, s42
	v_mul_u32_u24_e32 v5, 0xa0, v11
	v_mul_lo_u32 v115, v6, s42
	v_ashrrev_i32_e32 v4, 31, v3
	v_lshlrev_b64 v[70:71], 2, v[1:2]
	v_cmp_gt_u32_e64 s5, 32, v110
	v_lshl_or_b32 v5, v100, 2, v5
	v_mad_u32_u24 v111, 0x60, v110, s7
	v_lshlrev_b64 v[72:73], 2, v[3:4]
	s_cmp_lg_u64 s[34:35], 0
	v_cmp_gt_u32_e64 s7, 16, v11
	v_dual_mov_b32 v88, 0 :: v_dual_add_nc_u32 v117, 0x1480, v5
	v_mov_b32_e32 v5, 0xfeffffff
	v_mul_u32_u24_e32 v6, 0xa0, v8
	v_cmp_gt_u32_e64 s8, 16, v8
	v_dual_mov_b32 v90, 0 :: v_dual_lshlrev_b32 v119, 2, v108
	v_mbcnt_lo_u32_b32 v120, -1, 0
	s_delay_alu instid0(VALU_DEP_4)
	v_add3_u32 v118, v6, v10, 0x1400
	v_mov_b32_e32 v6, 0xfeffffff
	v_lshrrev_b32_e32 v9, s37, v9
	v_dual_mov_b32 v92, 0 :: v_dual_mov_b32 v121, 0
	v_mov_b32_e32 v96, 0
	v_mov_b32_e32 v94, 0
	s_delay_alu instid0(VALU_DEP_4)
	v_mul_lo_u32 v9, v9, s38
	v_mov_b32_e32 v124, 0
	v_mov_b32_e32 v122, 0
	s_cselect_b32 s47, -1, 0
	s_add_u32 s18, s2, 0xd0
	s_addc_u32 s19, s3, 0
	s_delay_alu instid0(VALU_DEP_3) | instskip(SKIP_1) | instid1(VALU_DEP_2)
	v_sub_nc_u32_e32 v7, v7, v9
	v_mul_lo_u32 v9, s26, v8
	v_mul_lo_u32 v116, v7, s42
	;; [unrolled: 1-line block ×3, first 2 shown]
	s_delay_alu instid0(VALU_DEP_3) | instskip(NEXT) | instid1(VALU_DEP_2)
	v_ashrrev_i32_e32 v10, 31, v9
	v_ashrrev_i32_e32 v8, 31, v7
	s_delay_alu instid0(VALU_DEP_2) | instskip(NEXT) | instid1(VALU_DEP_2)
	v_lshlrev_b64 v[76:77], 2, v[9:10]
	v_lshlrev_b64 v[74:75], 2, v[7:8]
	v_dual_mov_b32 v7, 0xfeffffff :: v_dual_mov_b32 v8, 0xfeffffff
.LBB56_16:                              ; =>This Inner Loop Header: Depth=1
	s_mul_hi_i32 s11, s27, s43
	s_mul_i32 s10, s27, s43
	s_delay_alu instid0(SALU_CYCLE_1) | instskip(NEXT) | instid1(SALU_CYCLE_1)
	s_lshl_b64 s[10:11], s[10:11], 2
	s_add_u32 s9, s44, s10
	s_addc_u32 s10, s45, s11
	s_and_saveexec_b32 s11, s5
	s_cbranch_execz .LBB56_18
; %bb.17:                               ;   in Loop: Header=BB56_16 Depth=1
	v_add_co_u32 v1, vcc_lo, s9, v70
	v_add_co_ci_u32_e32 v2, vcc_lo, s10, v71, vcc_lo
	global_load_b128 v[1:4], v[1:2], off offset:64
	s_waitcnt vmcnt(0)
	ds_store_b128 v111, v[1:4]
.LBB56_18:                              ;   in Loop: Header=BB56_16 Depth=1
	s_or_b32 exec_lo, exec_lo, s11
	s_and_saveexec_b32 s11, s6
	s_cbranch_execz .LBB56_20
; %bb.19:                               ;   in Loop: Header=BB56_16 Depth=1
	v_add_co_u32 v1, vcc_lo, s9, v72
	v_add_co_ci_u32_e32 v2, vcc_lo, s10, v73, vcc_lo
	s_delay_alu instid0(VALU_DEP_2) | instskip(NEXT) | instid1(VALU_DEP_2)
	v_add_co_u32 v1, vcc_lo, v1, v119
	v_add_co_ci_u32_e32 v2, vcc_lo, 0, v2, vcc_lo
	global_load_b128 v[1:4], v[1:2], off
	s_waitcnt vmcnt(0)
	ds_store_b128 v112, v[1:4]
.LBB56_20:                              ;   in Loop: Header=BB56_16 Depth=1
	s_or_b32 exec_lo, exec_lo, s11
	s_waitcnt lgkmcnt(0)
	s_barrier
	buffer_gl0_inv
	ds_load_b128 v[9:12], v103 offset:5120
	ds_load_b128 v[13:16], v102
	ds_load_b128 v[17:20], v102 offset:160
	ds_load_b128 v[21:24], v102 offset:320
	;; [unrolled: 1-line block ×3, first 2 shown]
	v_dual_mov_b32 v4, 0 :: v_dual_mov_b32 v3, 0
	v_dual_mov_b32 v2, 0 :: v_dual_mov_b32 v1, 0
	s_waitcnt lgkmcnt(3)
	;;#ASMSTART
	v_dot2_f32_f16 v4, v9, v13, v4
	;;#ASMEND
	;;#ASMSTART
	v_dot2_f32_f16 v4, v10, v14, v4
	;;#ASMEND
	;;#ASMSTART
	v_dot2_f32_f16 v4, v11, v15, v4
	;;#ASMEND
	;;#ASMSTART
	v_dot2_f32_f16 v4, v12, v16, v4
	;;#ASMEND
	s_waitcnt lgkmcnt(2)
	;;#ASMSTART
	v_dot2_f32_f16 v3, v9, v17, v3
	;;#ASMEND
	;;#ASMSTART
	v_dot2_f32_f16 v3, v10, v18, v3
	;;#ASMEND
	;;#ASMSTART
	v_dot2_f32_f16 v3, v11, v19, v3
	;;#ASMEND
	;;#ASMSTART
	v_dot2_f32_f16 v3, v12, v20, v3
	;;#ASMEND
	s_waitcnt lgkmcnt(1)
	;;#ASMSTART
	v_dot2_f32_f16 v2, v9, v21, v2
	;;#ASMEND
	;;#ASMSTART
	v_dot2_f32_f16 v2, v10, v22, v2
	;;#ASMEND
	;;#ASMSTART
	v_dot2_f32_f16 v2, v11, v23, v2
	;;#ASMEND
	;;#ASMSTART
	v_dot2_f32_f16 v2, v12, v24, v2
	;;#ASMEND
	s_waitcnt lgkmcnt(0)
	;;#ASMSTART
	v_dot2_f32_f16 v1, v9, v25, v1
	;;#ASMEND
	;;#ASMSTART
	v_dot2_f32_f16 v1, v10, v26, v1
	;;#ASMEND
	;;#ASMSTART
	v_dot2_f32_f16 v1, v11, v27, v1
	;;#ASMEND
	;;#ASMSTART
	v_dot2_f32_f16 v1, v12, v28, v1
	;;#ASMEND
	ds_load_b128 v[9:12], v103 offset:5136
	ds_load_b128 v[13:16], v102 offset:16
	ds_load_b128 v[17:20], v102 offset:176
	ds_load_b128 v[21:24], v102 offset:336
	ds_load_b128 v[25:28], v102 offset:496
	s_waitcnt lgkmcnt(3)
	;;#ASMSTART
	v_dot2_f32_f16 v4, v9, v13, v4
	;;#ASMEND
	;;#ASMSTART
	v_dot2_f32_f16 v4, v10, v14, v4
	;;#ASMEND
	;;#ASMSTART
	v_dot2_f32_f16 v4, v11, v15, v4
	;;#ASMEND
	;;#ASMSTART
	v_dot2_f32_f16 v4, v12, v16, v4
	;;#ASMEND
	s_waitcnt lgkmcnt(2)
	;;#ASMSTART
	v_dot2_f32_f16 v3, v9, v17, v3
	;;#ASMEND
	;;#ASMSTART
	v_dot2_f32_f16 v3, v10, v18, v3
	;;#ASMEND
	;;#ASMSTART
	v_dot2_f32_f16 v3, v11, v19, v3
	;;#ASMEND
	;;#ASMSTART
	v_dot2_f32_f16 v3, v12, v20, v3
	;;#ASMEND
	s_waitcnt lgkmcnt(1)
	;;#ASMSTART
	v_dot2_f32_f16 v2, v9, v21, v2
	;;#ASMEND
	;;#ASMSTART
	v_dot2_f32_f16 v2, v10, v22, v2
	;;#ASMEND
	;;#ASMSTART
	v_dot2_f32_f16 v2, v11, v23, v2
	;;#ASMEND
	;;#ASMSTART
	v_dot2_f32_f16 v2, v12, v24, v2
	;;#ASMEND
	s_waitcnt lgkmcnt(0)
	;;#ASMSTART
	v_dot2_f32_f16 v1, v9, v25, v1
	;;#ASMEND
	;;#ASMSTART
	v_dot2_f32_f16 v1, v10, v26, v1
	;;#ASMEND
	;;#ASMSTART
	v_dot2_f32_f16 v1, v11, v27, v1
	;;#ASMEND
	;;#ASMSTART
	v_dot2_f32_f16 v1, v12, v28, v1
	;;#ASMEND
	ds_load_b128 v[9:12], v103 offset:5152
	ds_load_b128 v[13:16], v102 offset:32
	ds_load_b128 v[17:20], v102 offset:192
	ds_load_b128 v[21:24], v102 offset:352
	ds_load_b128 v[25:28], v102 offset:512
	s_waitcnt lgkmcnt(3)
	;;#ASMSTART
	v_dot2_f32_f16 v4, v9, v13, v4
	;;#ASMEND
	;;#ASMSTART
	v_dot2_f32_f16 v4, v10, v14, v4
	;;#ASMEND
	;;#ASMSTART
	v_dot2_f32_f16 v4, v11, v15, v4
	;;#ASMEND
	;;#ASMSTART
	v_dot2_f32_f16 v4, v12, v16, v4
	;;#ASMEND
	s_waitcnt lgkmcnt(2)
	;;#ASMSTART
	v_dot2_f32_f16 v3, v9, v17, v3
	;;#ASMEND
	;;#ASMSTART
	v_dot2_f32_f16 v3, v10, v18, v3
	;;#ASMEND
	;;#ASMSTART
	v_dot2_f32_f16 v3, v11, v19, v3
	;;#ASMEND
	;;#ASMSTART
	v_dot2_f32_f16 v3, v12, v20, v3
	;;#ASMEND
	s_waitcnt lgkmcnt(1)
	;;#ASMSTART
	v_dot2_f32_f16 v2, v9, v21, v2
	;;#ASMEND
	;;#ASMSTART
	v_dot2_f32_f16 v2, v10, v22, v2
	;;#ASMEND
	;;#ASMSTART
	v_dot2_f32_f16 v2, v11, v23, v2
	;;#ASMEND
	;;#ASMSTART
	v_dot2_f32_f16 v2, v12, v24, v2
	;;#ASMEND
	s_waitcnt lgkmcnt(0)
	;;#ASMSTART
	v_dot2_f32_f16 v1, v9, v25, v1
	;;#ASMEND
	;;#ASMSTART
	v_dot2_f32_f16 v1, v10, v26, v1
	;;#ASMEND
	;;#ASMSTART
	v_dot2_f32_f16 v1, v11, v27, v1
	;;#ASMEND
	;;#ASMSTART
	v_dot2_f32_f16 v1, v12, v28, v1
	;;#ASMEND
	ds_load_b128 v[9:12], v103 offset:5168
	ds_load_b128 v[13:16], v102 offset:48
	ds_load_b128 v[17:20], v102 offset:208
	ds_load_b128 v[21:24], v102 offset:368
	ds_load_b128 v[25:28], v102 offset:528
	s_waitcnt lgkmcnt(3)
	;;#ASMSTART
	v_dot2_f32_f16 v4, v9, v13, v4
	;;#ASMEND
	;;#ASMSTART
	v_dot2_f32_f16 v4, v10, v14, v4
	;;#ASMEND
	;;#ASMSTART
	v_dot2_f32_f16 v4, v11, v15, v4
	;;#ASMEND
	;;#ASMSTART
	v_dot2_f32_f16 v4, v12, v16, v4
	;;#ASMEND
	s_waitcnt lgkmcnt(2)
	;;#ASMSTART
	v_dot2_f32_f16 v3, v9, v17, v3
	;;#ASMEND
	;;#ASMSTART
	v_dot2_f32_f16 v3, v10, v18, v3
	;;#ASMEND
	;;#ASMSTART
	v_dot2_f32_f16 v3, v11, v19, v3
	;;#ASMEND
	;;#ASMSTART
	v_dot2_f32_f16 v3, v12, v20, v3
	;;#ASMEND
	s_waitcnt lgkmcnt(1)
	;;#ASMSTART
	v_dot2_f32_f16 v2, v9, v21, v2
	;;#ASMEND
	;;#ASMSTART
	v_dot2_f32_f16 v2, v10, v22, v2
	;;#ASMEND
	;;#ASMSTART
	v_dot2_f32_f16 v2, v11, v23, v2
	;;#ASMEND
	;;#ASMSTART
	v_dot2_f32_f16 v2, v12, v24, v2
	;;#ASMEND
	s_waitcnt lgkmcnt(0)
	;;#ASMSTART
	v_dot2_f32_f16 v1, v9, v25, v1
	;;#ASMEND
	;;#ASMSTART
	v_dot2_f32_f16 v1, v10, v26, v1
	;;#ASMEND
	;;#ASMSTART
	v_dot2_f32_f16 v1, v11, v27, v1
	;;#ASMEND
	;;#ASMSTART
	v_dot2_f32_f16 v1, v12, v28, v1
	;;#ASMEND
	ds_load_b128 v[9:12], v103 offset:5184
	ds_load_b128 v[13:16], v102 offset:64
	ds_load_b128 v[17:20], v102 offset:224
	ds_load_b128 v[21:24], v102 offset:384
	ds_load_b128 v[25:28], v102 offset:544
	s_waitcnt lgkmcnt(3)
	;;#ASMSTART
	v_dot2_f32_f16 v4, v9, v13, v4
	;;#ASMEND
	;;#ASMSTART
	v_dot2_f32_f16 v4, v10, v14, v4
	;;#ASMEND
	;;#ASMSTART
	v_dot2_f32_f16 v4, v11, v15, v4
	;;#ASMEND
	;;#ASMSTART
	v_dot2_f32_f16 v4, v12, v16, v4
	;;#ASMEND
	s_waitcnt lgkmcnt(2)
	;;#ASMSTART
	v_dot2_f32_f16 v3, v9, v17, v3
	;;#ASMEND
	;;#ASMSTART
	v_dot2_f32_f16 v3, v10, v18, v3
	;;#ASMEND
	;;#ASMSTART
	v_dot2_f32_f16 v3, v11, v19, v3
	;;#ASMEND
	;;#ASMSTART
	v_dot2_f32_f16 v3, v12, v20, v3
	;;#ASMEND
	;; [unrolled: 13-line block ×4, first 2 shown]
	s_barrier
	buffer_gl0_inv
	s_and_saveexec_b32 s11, s5
	s_cbranch_execz .LBB56_22
; %bb.21:                               ;   in Loop: Header=BB56_16 Depth=1
	v_add_co_u32 v9, vcc_lo, s9, v70
	v_add_co_ci_u32_e32 v10, vcc_lo, s10, v71, vcc_lo
	global_load_b128 v[9:12], v[9:10], off offset:144
	s_waitcnt vmcnt(0)
	ds_store_b128 v111, v[9:12]
.LBB56_22:                              ;   in Loop: Header=BB56_16 Depth=1
	s_or_b32 exec_lo, exec_lo, s11
	s_and_saveexec_b32 s11, s6
	s_cbranch_execz .LBB56_24
; %bb.23:                               ;   in Loop: Header=BB56_16 Depth=1
	v_add_co_u32 v9, vcc_lo, s9, v72
	v_add_co_ci_u32_e32 v10, vcc_lo, s10, v73, vcc_lo
	s_delay_alu instid0(VALU_DEP_2) | instskip(NEXT) | instid1(VALU_DEP_2)
	v_add_co_u32 v9, vcc_lo, v9, v119
	v_add_co_ci_u32_e32 v10, vcc_lo, 0, v10, vcc_lo
	global_load_b128 v[9:12], v[9:10], off offset:80
	s_waitcnt vmcnt(0)
	ds_store_b128 v112, v[9:12]
.LBB56_24:                              ;   in Loop: Header=BB56_16 Depth=1
	s_or_b32 exec_lo, exec_lo, s11
	s_waitcnt lgkmcnt(0)
	s_barrier
	buffer_gl0_inv
	ds_load_b128 v[9:12], v103 offset:5120
	ds_load_b128 v[13:16], v102 offset:80
	;; [unrolled: 1-line block ×5, first 2 shown]
	s_and_not1_b32 vcc_lo, exec_lo, s47
	s_waitcnt lgkmcnt(3)
	;;#ASMSTART
	v_dot2_f32_f16 v4, v9, v13, v4
	;;#ASMEND
	;;#ASMSTART
	v_dot2_f32_f16 v4, v10, v14, v4
	;;#ASMEND
	;;#ASMSTART
	v_dot2_f32_f16 v4, v11, v15, v4
	;;#ASMEND
	;;#ASMSTART
	v_dot2_f32_f16 v4, v12, v16, v4
	;;#ASMEND
	s_waitcnt lgkmcnt(2)
	;;#ASMSTART
	v_dot2_f32_f16 v3, v9, v17, v3
	;;#ASMEND
	;;#ASMSTART
	v_dot2_f32_f16 v3, v10, v18, v3
	;;#ASMEND
	;;#ASMSTART
	v_dot2_f32_f16 v3, v11, v19, v3
	;;#ASMEND
	;;#ASMSTART
	v_dot2_f32_f16 v3, v12, v20, v3
	;;#ASMEND
	s_waitcnt lgkmcnt(1)
	;;#ASMSTART
	v_dot2_f32_f16 v2, v9, v21, v2
	;;#ASMEND
	;;#ASMSTART
	v_dot2_f32_f16 v2, v10, v22, v2
	;;#ASMEND
	;;#ASMSTART
	v_dot2_f32_f16 v2, v11, v23, v2
	;;#ASMEND
	;;#ASMSTART
	v_dot2_f32_f16 v2, v12, v24, v2
	;;#ASMEND
	s_waitcnt lgkmcnt(0)
	;;#ASMSTART
	v_dot2_f32_f16 v1, v9, v25, v1
	;;#ASMEND
	;;#ASMSTART
	v_dot2_f32_f16 v1, v10, v26, v1
	;;#ASMEND
	;;#ASMSTART
	v_dot2_f32_f16 v1, v11, v27, v1
	;;#ASMEND
	;;#ASMSTART
	v_dot2_f32_f16 v1, v12, v28, v1
	;;#ASMEND
	ds_load_b128 v[9:12], v103 offset:5136
	ds_load_b128 v[13:16], v102 offset:96
	ds_load_b128 v[17:20], v102 offset:256
	ds_load_b128 v[21:24], v102 offset:416
	ds_load_b128 v[25:28], v102 offset:576
	s_waitcnt lgkmcnt(3)
	;;#ASMSTART
	v_dot2_f32_f16 v4, v9, v13, v4
	;;#ASMEND
	;;#ASMSTART
	v_dot2_f32_f16 v4, v10, v14, v4
	;;#ASMEND
	;;#ASMSTART
	v_dot2_f32_f16 v4, v11, v15, v4
	;;#ASMEND
	;;#ASMSTART
	v_dot2_f32_f16 v4, v12, v16, v4
	;;#ASMEND
	s_waitcnt lgkmcnt(2)
	;;#ASMSTART
	v_dot2_f32_f16 v3, v9, v17, v3
	;;#ASMEND
	;;#ASMSTART
	v_dot2_f32_f16 v3, v10, v18, v3
	;;#ASMEND
	;;#ASMSTART
	v_dot2_f32_f16 v3, v11, v19, v3
	;;#ASMEND
	;;#ASMSTART
	v_dot2_f32_f16 v3, v12, v20, v3
	;;#ASMEND
	s_waitcnt lgkmcnt(1)
	;;#ASMSTART
	v_dot2_f32_f16 v2, v9, v21, v2
	;;#ASMEND
	;;#ASMSTART
	v_dot2_f32_f16 v2, v10, v22, v2
	;;#ASMEND
	;;#ASMSTART
	v_dot2_f32_f16 v2, v11, v23, v2
	;;#ASMEND
	;;#ASMSTART
	v_dot2_f32_f16 v2, v12, v24, v2
	;;#ASMEND
	s_waitcnt lgkmcnt(0)
	;;#ASMSTART
	v_dot2_f32_f16 v1, v9, v25, v1
	;;#ASMEND
	;;#ASMSTART
	v_dot2_f32_f16 v1, v10, v26, v1
	;;#ASMEND
	;;#ASMSTART
	v_dot2_f32_f16 v1, v11, v27, v1
	;;#ASMEND
	;;#ASMSTART
	v_dot2_f32_f16 v1, v12, v28, v1
	;;#ASMEND
	ds_load_b128 v[9:12], v103 offset:5152
	ds_load_b128 v[13:16], v102 offset:112
	ds_load_b128 v[17:20], v102 offset:272
	ds_load_b128 v[21:24], v102 offset:432
	ds_load_b128 v[25:28], v102 offset:592
	;; [unrolled: 57-line block ×4, first 2 shown]
	s_waitcnt lgkmcnt(3)
	;;#ASMSTART
	v_dot2_f32_f16 v4, v12, v16, v4
	;;#ASMEND
	;;#ASMSTART
	v_dot2_f32_f16 v4, v13, v17, v4
	;;#ASMEND
	;; [unrolled: 3-line block ×4, first 2 shown]
	s_waitcnt lgkmcnt(2)
	;;#ASMSTART
	v_dot2_f32_f16 v3, v12, v20, v3
	;;#ASMEND
	;;#ASMSTART
	v_dot2_f32_f16 v3, v13, v21, v3
	;;#ASMEND
	;; [unrolled: 3-line block ×4, first 2 shown]
	s_waitcnt lgkmcnt(1)
	;;#ASMSTART
	v_dot2_f32_f16 v2, v12, v24, v2
	;;#ASMEND
	v_dual_mov_b32 v9, 0 :: v_dual_add_nc_u32 v10, s27, v80
	v_mov_b32_e32 v11, 0
	;;#ASMSTART
	v_dot2_f32_f16 v2, v13, v25, v2
	;;#ASMEND
	;;#ASMSTART
	v_dot2_f32_f16 v2, v14, v26, v2
	;;#ASMEND
	;; [unrolled: 3-line block ×3, first 2 shown]
	s_waitcnt lgkmcnt(0)
	;;#ASMSTART
	v_dot2_f32_f16 v1, v12, v28, v1
	;;#ASMEND
	;;#ASMSTART
	v_dot2_f32_f16 v1, v13, v29, v1
	;;#ASMEND
	;; [unrolled: 3-line block ×4, first 2 shown]
	s_cbranch_vccnz .LBB56_26
; %bb.25:                               ;   in Loop: Header=BB56_16 Depth=1
	v_add_nc_u32_e32 v11, v10, v113
	s_delay_alu instid0(VALU_DEP_1) | instskip(NEXT) | instid1(VALU_DEP_1)
	v_ashrrev_i32_e32 v12, 31, v11
	v_lshlrev_b64 v[11:12], 1, v[11:12]
	s_delay_alu instid0(VALU_DEP_1) | instskip(NEXT) | instid1(VALU_DEP_2)
	v_add_co_u32 v11, vcc_lo, s34, v11
	v_add_co_ci_u32_e32 v12, vcc_lo, s35, v12, vcc_lo
	flat_load_u16 v11, v[11:12]
	s_waitcnt vmcnt(0) lgkmcnt(0)
	v_cvt_f32_f16_e32 v11, v11
	s_delay_alu instid0(VALU_DEP_1)
	v_mul_f32_e32 v11, v97, v11
.LBB56_26:                              ;   in Loop: Header=BB56_16 Depth=1
	v_xor_b32_e32 v12, 16, v120
	s_delay_alu instid0(VALU_DEP_2) | instskip(SKIP_1) | instid1(VALU_DEP_3)
	v_dual_add_f32 v4, v4, v11 :: v_dual_max_f32 v11, v6, v6
	v_xor_b32_e32 v14, 8, v120
	v_cmp_gt_i32_e32 vcc_lo, 32, v12
	s_delay_alu instid0(VALU_DEP_3) | instskip(SKIP_1) | instid1(VALU_DEP_4)
	v_add_f32_e32 v13, 0x40051340, v4
	v_cndmask_b32_e32 v12, v120, v12, vcc_lo
	v_cmp_gt_i32_e32 vcc_lo, 32, v14
	s_delay_alu instid0(VALU_DEP_3) | instskip(NEXT) | instid1(VALU_DEP_3)
	v_dual_cndmask_b32 v14, v120, v14 :: v_dual_max_f32 v11, v11, v13
	v_lshlrev_b32_e32 v12, 2, v12
	ds_bpermute_b32 v13, v12, v11
	s_waitcnt lgkmcnt(0)
	v_max_f32_e32 v15, v13, v13
	v_lshlrev_b32_e32 v13, 2, v14
	s_delay_alu instid0(VALU_DEP_2)
	v_max_f32_e32 v11, v11, v15
	v_xor_b32_e32 v15, 4, v120
	ds_bpermute_b32 v14, v13, v11
	v_cmp_gt_i32_e32 vcc_lo, 32, v15
	s_waitcnt lgkmcnt(0)
	v_dual_cndmask_b32 v15, v120, v15 :: v_dual_max_f32 v16, v14, v14
	s_delay_alu instid0(VALU_DEP_1)
	v_dual_max_f32 v11, v11, v16 :: v_dual_lshlrev_b32 v14, 2, v15
	v_xor_b32_e32 v16, 2, v120
	ds_bpermute_b32 v15, v14, v11
	v_cmp_gt_i32_e32 vcc_lo, 32, v16
	s_waitcnt lgkmcnt(0)
	v_dual_cndmask_b32 v16, v120, v16 :: v_dual_max_f32 v17, v15, v15
	s_delay_alu instid0(VALU_DEP_1) | instskip(NEXT) | instid1(VALU_DEP_2)
	v_lshlrev_b32_e32 v15, 2, v16
	v_max_f32_e32 v11, v11, v17
	v_xor_b32_e32 v17, 1, v120
	ds_bpermute_b32 v16, v15, v11
	v_cmp_gt_i32_e32 vcc_lo, 32, v17
	v_cndmask_b32_e32 v17, v120, v17, vcc_lo
	s_and_not1_b32 vcc_lo, exec_lo, s47
	s_waitcnt lgkmcnt(0)
	s_delay_alu instid0(VALU_DEP_1) | instskip(NEXT) | instid1(VALU_DEP_1)
	v_dual_max_f32 v16, v16, v16 :: v_dual_lshlrev_b32 v17, 2, v17
	v_max_f32_e32 v16, v11, v16
	ds_bpermute_b32 v18, v17, v16
	s_cbranch_vccnz .LBB56_28
; %bb.27:                               ;   in Loop: Header=BB56_16 Depth=1
	v_add_nc_u32_e32 v19, v10, v114
	s_delay_alu instid0(VALU_DEP_1) | instskip(NEXT) | instid1(VALU_DEP_1)
	v_ashrrev_i32_e32 v20, 31, v19
	v_lshlrev_b64 v[19:20], 1, v[19:20]
	s_delay_alu instid0(VALU_DEP_1) | instskip(NEXT) | instid1(VALU_DEP_2)
	v_add_co_u32 v19, vcc_lo, s34, v19
	v_add_co_ci_u32_e32 v20, vcc_lo, s35, v20, vcc_lo
	flat_load_u16 v9, v[19:20]
	s_waitcnt vmcnt(0) lgkmcnt(0)
	v_cvt_f32_f16_e32 v9, v9
	s_delay_alu instid0(VALU_DEP_1)
	v_mul_f32_e32 v9, v97, v9
.LBB56_28:                              ;   in Loop: Header=BB56_16 Depth=1
	s_delay_alu instid0(VALU_DEP_1) | instskip(SKIP_2) | instid1(VALU_DEP_2)
	v_dual_add_f32 v9, v3, v9 :: v_dual_mov_b32 v20, 0
	v_max_f32_e32 v11, v7, v7
	s_and_not1_b32 vcc_lo, exec_lo, s47
	v_add_f32_e32 v3, 0x40051340, v9
	s_delay_alu instid0(VALU_DEP_1) | instskip(SKIP_3) | instid1(VALU_DEP_1)
	v_max_f32_e32 v3, v11, v3
	ds_bpermute_b32 v11, v12, v3
	s_waitcnt lgkmcnt(0)
	v_max_f32_e32 v11, v11, v11
	v_max_f32_e32 v3, v3, v11
	ds_bpermute_b32 v11, v13, v3
	s_waitcnt lgkmcnt(0)
	v_max_f32_e32 v11, v11, v11
	s_delay_alu instid0(VALU_DEP_1) | instskip(SKIP_3) | instid1(VALU_DEP_1)
	v_max_f32_e32 v3, v3, v11
	ds_bpermute_b32 v11, v14, v3
	s_waitcnt lgkmcnt(0)
	v_max_f32_e32 v11, v11, v11
	v_max_f32_e32 v3, v3, v11
	ds_bpermute_b32 v11, v15, v3
	s_waitcnt lgkmcnt(0)
	v_max_f32_e32 v11, v11, v11
	s_delay_alu instid0(VALU_DEP_1)
	v_max_f32_e32 v3, v3, v11
	v_mov_b32_e32 v11, 0
	ds_bpermute_b32 v19, v17, v3
	s_cbranch_vccnz .LBB56_30
; %bb.29:                               ;   in Loop: Header=BB56_16 Depth=1
	v_add_nc_u32_e32 v21, v10, v115
	s_delay_alu instid0(VALU_DEP_1) | instskip(NEXT) | instid1(VALU_DEP_1)
	v_ashrrev_i32_e32 v22, 31, v21
	v_lshlrev_b64 v[21:22], 1, v[21:22]
	s_delay_alu instid0(VALU_DEP_1) | instskip(NEXT) | instid1(VALU_DEP_2)
	v_add_co_u32 v21, vcc_lo, s34, v21
	v_add_co_ci_u32_e32 v22, vcc_lo, s35, v22, vcc_lo
	flat_load_u16 v11, v[21:22]
	s_waitcnt vmcnt(0) lgkmcnt(0)
	v_cvt_f32_f16_e32 v11, v11
	s_delay_alu instid0(VALU_DEP_1)
	v_mul_f32_e32 v11, v97, v11
.LBB56_30:                              ;   in Loop: Header=BB56_16 Depth=1
	v_max_f32_e32 v21, v8, v8
	s_delay_alu instid0(VALU_DEP_2) | instskip(SKIP_1) | instid1(VALU_DEP_1)
	v_add_f32_e32 v11, v2, v11
	s_and_not1_b32 vcc_lo, exec_lo, s47
	v_add_f32_e32 v2, 0x40051340, v11
	s_delay_alu instid0(VALU_DEP_1) | instskip(SKIP_3) | instid1(VALU_DEP_1)
	v_max_f32_e32 v2, v21, v2
	ds_bpermute_b32 v21, v12, v2
	s_waitcnt lgkmcnt(0)
	v_max_f32_e32 v21, v21, v21
	v_max_f32_e32 v2, v2, v21
	ds_bpermute_b32 v21, v13, v2
	s_waitcnt lgkmcnt(0)
	v_max_f32_e32 v21, v21, v21
	s_delay_alu instid0(VALU_DEP_1) | instskip(SKIP_3) | instid1(VALU_DEP_1)
	v_max_f32_e32 v2, v2, v21
	ds_bpermute_b32 v21, v14, v2
	s_waitcnt lgkmcnt(0)
	v_max_f32_e32 v21, v21, v21
	v_max_f32_e32 v2, v2, v21
	ds_bpermute_b32 v21, v15, v2
	s_waitcnt lgkmcnt(0)
	v_max_f32_e32 v21, v21, v21
	s_delay_alu instid0(VALU_DEP_1)
	v_max_f32_e32 v2, v2, v21
	ds_bpermute_b32 v21, v17, v2
	s_cbranch_vccnz .LBB56_32
; %bb.31:                               ;   in Loop: Header=BB56_16 Depth=1
	v_add_nc_u32_e32 v22, v10, v116
	s_delay_alu instid0(VALU_DEP_1) | instskip(NEXT) | instid1(VALU_DEP_1)
	v_ashrrev_i32_e32 v23, 31, v22
	v_lshlrev_b64 v[22:23], 1, v[22:23]
	s_delay_alu instid0(VALU_DEP_1) | instskip(NEXT) | instid1(VALU_DEP_2)
	v_add_co_u32 v22, vcc_lo, s34, v22
	v_add_co_ci_u32_e32 v23, vcc_lo, s35, v23, vcc_lo
	flat_load_u16 v10, v[22:23]
	s_waitcnt vmcnt(0) lgkmcnt(0)
	v_cvt_f32_f16_e32 v10, v10
	s_delay_alu instid0(VALU_DEP_1)
	v_mul_f32_e32 v20, v97, v10
.LBB56_32:                              ;   in Loop: Header=BB56_16 Depth=1
	s_delay_alu instid0(VALU_DEP_1) | instskip(SKIP_3) | instid1(VALU_DEP_2)
	v_add_f32_e32 v10, v1, v20
	v_dual_max_f32 v1, v5, v5 :: v_dual_max_f32 v16, v16, v16
	s_mul_hi_i32 s49, s27, s26
	s_mul_i32 s48, s27, s26
	v_add_f32_e32 v20, 0x40051340, v10
	s_lshl_b64 s[48:49], s[48:49], 2
	s_waitcnt lgkmcnt(0)
	s_add_u32 s48, s20, s48
	s_addc_u32 s49, s21, s49
	v_max_f32_e32 v1, v1, v20
	s_barrier
	buffer_gl0_inv
	v_dual_max_f32 v3, v3, v3 :: v_dual_lshlrev_b32 v132, 2, v100
	ds_bpermute_b32 v12, v12, v1
	s_waitcnt lgkmcnt(0)
	v_max_f32_e32 v12, v12, v12
	s_delay_alu instid0(VALU_DEP_1) | instskip(SKIP_3) | instid1(VALU_DEP_1)
	v_max_f32_e32 v1, v1, v12
	ds_bpermute_b32 v12, v13, v1
	s_waitcnt lgkmcnt(0)
	v_dual_max_f32 v13, v21, v21 :: v_dual_max_f32 v12, v12, v12
	v_max_f32_e32 v1, v1, v12
	ds_bpermute_b32 v12, v14, v1
	v_max_f32_e32 v14, v2, v2
	v_max_f32_e32 v2, v19, v19
	s_delay_alu instid0(VALU_DEP_1) | instskip(NEXT) | instid1(VALU_DEP_1)
	v_dual_max_f32 v2, v3, v2 :: v_dual_max_f32 v3, v14, v13
	v_sub_f32_e32 v130, v7, v2
	v_sub_f32_e32 v7, v9, v2
	s_delay_alu instid0(VALU_DEP_2) | instskip(SKIP_3) | instid1(VALU_DEP_1)
	v_cmp_ngt_f32_e64 s10, 0xc2ce8ed0, v130
	v_cmp_nlt_f32_e64 s11, 0x42b17218, v130
	s_waitcnt lgkmcnt(0)
	v_max_f32_e32 v12, v12, v12
	v_max_f32_e32 v1, v1, v12
	ds_bpermute_b32 v12, v15, v1
	s_waitcnt lgkmcnt(0)
	v_max_f32_e32 v12, v12, v12
	s_delay_alu instid0(VALU_DEP_1) | instskip(NEXT) | instid1(VALU_DEP_1)
	v_dual_max_f32 v12, v1, v12 :: v_dual_max_f32 v1, v18, v18
	v_max_f32_e32 v1, v16, v1
	ds_bpermute_b32 v15, v17, v12
	v_add_nc_u32_e32 v17, v86, v89
	v_sub_f32_e32 v129, v6, v1
	v_sub_f32_e32 v6, v4, v1
	v_sub_f32_e32 v128, v8, v3
	s_delay_alu instid0(VALU_DEP_3) | instskip(NEXT) | instid1(VALU_DEP_3)
	v_cmp_ngt_f32_e64 s9, 0xc2ce8ed0, v129
	v_mul_f32_e32 v9, 0x3fb8aa3b, v6
	v_cmp_ngt_f32_e64 s13, 0xc2ce8ed0, v6
	v_cmp_nlt_f32_e32 vcc_lo, 0x42b17218, v129
	v_cmp_ngt_f32_e64 s12, 0xc2ce8ed0, v128
	s_delay_alu instid0(VALU_DEP_4) | instskip(SKIP_3) | instid1(VALU_DEP_1)
	v_rndne_f32_e32 v14, v9
	v_sub_f32_e32 v8, v11, v3
	s_waitcnt lgkmcnt(0)
	v_max_f32_e32 v4, v15, v15
	v_dual_mul_f32 v11, 0x3fb8aa3b, v7 :: v_dual_max_f32 v4, v12, v4
	v_fma_f32 v12, 0x3fb8aa3b, v6, -v9
	s_delay_alu instid0(VALU_DEP_2)
	v_fma_f32 v15, 0x3fb8aa3b, v7, -v11
	v_rndne_f32_e32 v16, v11
	v_sub_f32_e32 v9, v9, v14
	v_mul_f32_e32 v13, 0x3fb8aa3b, v8
	v_fmac_f32_e32 v12, 0x32a5705f, v6
	v_dual_sub_f32 v10, v10, v4 :: v_dual_fmac_f32 v15, 0x32a5705f, v7
	v_sub_f32_e32 v11, v11, v16
	s_delay_alu instid0(VALU_DEP_4) | instskip(SKIP_1) | instid1(VALU_DEP_4)
	v_fma_f32 v18, 0x3fb8aa3b, v8, -v13
	v_rndne_f32_e32 v19, v13
	v_dual_add_f32 v9, v9, v12 :: v_dual_mul_f32 v20, 0x3fb8aa3b, v10
	s_delay_alu instid0(VALU_DEP_3) | instskip(NEXT) | instid1(VALU_DEP_3)
	v_dual_add_f32 v11, v11, v15 :: v_dual_fmac_f32 v18, 0x32a5705f, v8
	v_sub_f32_e32 v13, v13, v19
	s_delay_alu instid0(VALU_DEP_3) | instskip(NEXT) | instid1(VALU_DEP_3)
	v_exp_f32_e32 v9, v9
	v_fma_f32 v21, 0x3fb8aa3b, v10, -v20
	v_rndne_f32_e32 v22, v20
	v_exp_f32_e32 v11, v11
	v_add_f32_e32 v12, v13, v18
	v_cvt_i32_f32_e32 v14, v14
	v_fmac_f32_e32 v21, 0x32a5705f, v10
	v_sub_f32_e32 v13, v20, v22
	v_cvt_i32_f32_e32 v15, v16
	v_exp_f32_e32 v12, v12
	v_ldexp_f32 v9, v9, v14
	v_cvt_i32_f32_e32 v16, v19
	v_add_f32_e32 v13, v13, v21
	v_ldexp_f32 v11, v11, v15
	v_cvt_i32_f32_e32 v14, v22
	v_cndmask_b32_e64 v9, 0, v9, s13
	v_cmp_ngt_f32_e64 s13, 0xc2ce8ed0, v7
	v_exp_f32_e32 v13, v13
	v_sub_f32_e32 v131, v5, v4
	v_ldexp_f32 v12, v12, v16
	s_delay_alu instid0(VALU_DEP_3) | instskip(SKIP_1) | instid1(VALU_DEP_4)
	v_cndmask_b32_e64 v11, 0, v11, s13
	v_cmp_ngt_f32_e64 s13, 0xc2ce8ed0, v8
	v_cmp_ngt_f32_e64 s16, 0xc2ce8ed0, v131
	v_cmp_nlt_f32_e64 s15, 0x42b17218, v131
	s_delay_alu instid0(VALU_DEP_3) | instskip(SKIP_1) | instid1(TRANS32_DEP_1)
	v_cndmask_b32_e64 v12, 0, v12, s13
	v_cmp_nlt_f32_e64 s13, 0x42b17218, v6
	v_ldexp_f32 v13, v13, v14
	s_delay_alu instid0(VALU_DEP_2) | instskip(SKIP_1) | instid1(VALU_DEP_1)
	v_cndmask_b32_e64 v107, 0x7f800000, v9, s13
	v_cmp_ngt_f32_e64 s13, 0xc2ce8ed0, v10
	v_cndmask_b32_e64 v6, 0, v13, s13
	v_cmp_nlt_f32_e64 s13, 0x42b17218, v7
	s_delay_alu instid0(VALU_DEP_1) | instskip(SKIP_1) | instid1(VALU_DEP_2)
	v_cndmask_b32_e64 v106, 0x7f800000, v11, s13
	v_cmp_nlt_f32_e64 s13, 0x42b17218, v8
	v_cvt_f16_f32_e32 v7, v106
	s_delay_alu instid0(VALU_DEP_2) | instskip(SKIP_1) | instid1(VALU_DEP_2)
	v_cndmask_b32_e64 v105, 0x7f800000, v12, s13
	v_cmp_nlt_f32_e64 s13, 0x42b17218, v10
	v_cvt_f16_f32_e32 v8, v105
	s_delay_alu instid0(VALU_DEP_2) | instskip(SKIP_2) | instid1(VALU_DEP_3)
	v_cndmask_b32_e64 v104, 0x7f800000, v6, s13
	v_cvt_f16_f32_e32 v6, v107
	v_cmp_nlt_f32_e64 s13, 0x42b17218, v128
	v_cvt_f16_f32_e32 v9, v104
	s_delay_alu instid0(VALU_DEP_3) | instskip(NEXT) | instid1(VALU_DEP_2)
	v_pack_b32_f16 v5, v6, v7
	v_pack_b32_f16 v6, v8, v9
	ds_store_b64 v17, v[5:6]
	s_and_saveexec_b32 s50, s7
	s_cbranch_execz .LBB56_34
; %bb.33:                               ;   in Loop: Header=BB56_16 Depth=1
	v_add_co_u32 v5, s17, s48, v74
	s_delay_alu instid0(VALU_DEP_1) | instskip(NEXT) | instid1(VALU_DEP_2)
	v_add_co_ci_u32_e64 v6, s17, s49, v75, s17
	v_add_co_u32 v5, s17, v5, v132
	s_delay_alu instid0(VALU_DEP_1)
	v_add_co_ci_u32_e64 v6, s17, 0, v6, s17
	global_load_b128 v[5:8], v[5:6], off offset:128
	s_waitcnt vmcnt(0)
	ds_store_b128 v117, v[5:8]
.LBB56_34:                              ;   in Loop: Header=BB56_16 Depth=1
	s_or_b32 exec_lo, exec_lo, s50
	v_lshlrev_b32_e32 v133, 2, v98
	s_and_saveexec_b32 s50, s8
	s_cbranch_execz .LBB56_36
; %bb.35:                               ;   in Loop: Header=BB56_16 Depth=1
	v_add_co_u32 v5, s17, s48, v76
	s_delay_alu instid0(VALU_DEP_1) | instskip(NEXT) | instid1(VALU_DEP_2)
	v_add_co_ci_u32_e64 v6, s17, s49, v77, s17
	v_add_co_u32 v5, s17, v5, v133
	s_delay_alu instid0(VALU_DEP_1)
	v_add_co_ci_u32_e64 v6, s17, 0, v6, s17
	global_load_b128 v[5:8], v[5:6], off
	s_waitcnt vmcnt(0)
	ds_store_b128 v118, v[5:8]
.LBB56_36:                              ;   in Loop: Header=BB56_16 Depth=1
	s_or_b32 exec_lo, exec_lo, s50
	v_add_nc_u32_e32 v127, 0x1000, v89
	v_add_nc_u32_e32 v126, 0x1400, v89
	s_waitcnt lgkmcnt(0)
	s_barrier
	buffer_gl0_inv
	ds_load_2addr_b64 v[57:60], v127 offset0:128 offset1:148
	ds_load_b128 v[61:64], v86
	ds_load_b128 v[49:52], v86 offset:16
	v_add_nc_u32_e32 v125, 0x1800, v89
	ds_load_b128 v[45:48], v86 offset:32
	ds_load_b128 v[37:40], v86 offset:48
	ds_load_2addr_b64 v[65:68], v127 offset0:168 offset1:188
	ds_load_2addr_b64 v[53:56], v127 offset0:208 offset1:228
	;; [unrolled: 1-line block ×5, first 2 shown]
	ds_load_b128 v[33:36], v86 offset:64
	ds_load_b128 v[25:28], v86 offset:80
	ds_load_2addr_b64 v[13:16], v125 offset0:112 offset1:132
	ds_load_2addr_b64 v[5:8], v125 offset0:152 offset1:172
	ds_load_b128 v[17:20], v86 offset:96
	ds_load_b128 v[9:12], v86 offset:112
	s_or_b32 s17, s27, 16
	s_waitcnt lgkmcnt(0)
	s_mul_hi_i32 s49, s17, s26
	s_mul_i32 s48, s17, s26
	s_barrier
	s_lshl_b64 s[48:49], s[48:49], 2
	buffer_gl0_inv
	s_add_u32 s48, s20, s48
	s_addc_u32 s49, s21, s49
	s_and_saveexec_b32 s50, s7
	s_cbranch_execz .LBB56_38
; %bb.37:                               ;   in Loop: Header=BB56_16 Depth=1
	v_add_co_u32 v134, s17, s48, v74
	s_delay_alu instid0(VALU_DEP_1) | instskip(NEXT) | instid1(VALU_DEP_2)
	v_add_co_ci_u32_e64 v135, s17, s49, v75, s17
	v_add_co_u32 v134, s17, v134, v132
	s_delay_alu instid0(VALU_DEP_1)
	v_add_co_ci_u32_e64 v135, s17, 0, v135, s17
	global_load_b128 v[134:137], v[134:135], off offset:128
	s_waitcnt vmcnt(0)
	ds_store_b128 v117, v[134:137]
.LBB56_38:                              ;   in Loop: Header=BB56_16 Depth=1
	s_or_b32 exec_lo, exec_lo, s50
	s_and_saveexec_b32 s50, s8
	s_cbranch_execz .LBB56_40
; %bb.39:                               ;   in Loop: Header=BB56_16 Depth=1
	v_add_co_u32 v132, s17, s48, v76
	s_delay_alu instid0(VALU_DEP_1) | instskip(NEXT) | instid1(VALU_DEP_2)
	v_add_co_ci_u32_e64 v134, s17, s49, v77, s17
	v_add_co_u32 v132, s17, v132, v133
	s_delay_alu instid0(VALU_DEP_1)
	v_add_co_ci_u32_e64 v133, s17, 0, v134, s17
	global_load_b128 v[132:135], v[132:133], off
	s_waitcnt vmcnt(0)
	ds_store_b128 v118, v[132:135]
.LBB56_40:                              ;   in Loop: Header=BB56_16 Depth=1
	s_or_b32 exec_lo, exec_lo, s50
	v_dual_mul_f32 v132, 0x3fb8aa3b, v129 :: v_dual_mul_f32 v133, 0x3fb8aa3b, v130
	s_waitcnt lgkmcnt(0)
	s_barrier
	buffer_gl0_inv
	v_fma_f32 v135, 0x3fb8aa3b, v129, -v132
	v_rndne_f32_e32 v136, v132
	v_fma_f32 v137, 0x3fb8aa3b, v130, -v133
	v_mul_f32_e32 v138, 0x3fb8aa3b, v131
	v_rndne_f32_e32 v139, v133
	s_delay_alu instid0(VALU_DEP_1) | instskip(NEXT) | instid1(VALU_DEP_4)
	v_dual_mul_f32 v134, 0x3fb8aa3b, v128 :: v_dual_sub_f32 v133, v133, v139
	v_fmac_f32_e32 v137, 0x32a5705f, v130
	s_delay_alu instid0(VALU_DEP_2)
	v_fma_f32 v130, 0x3fb8aa3b, v128, -v134
	v_fmac_f32_e32 v135, 0x32a5705f, v129
	v_sub_f32_e32 v129, v132, v136
	v_rndne_f32_e32 v132, v134
	v_fma_f32 v140, 0x3fb8aa3b, v131, -v138
	v_fmac_f32_e32 v130, 0x32a5705f, v128
	v_rndne_f32_e32 v141, v138
	s_delay_alu instid0(VALU_DEP_4) | instskip(NEXT) | instid1(VALU_DEP_4)
	v_sub_f32_e32 v128, v134, v132
	v_fmac_f32_e32 v140, 0x32a5705f, v131
	v_add_f32_e32 v129, v129, v135
	s_delay_alu instid0(VALU_DEP_4) | instskip(NEXT) | instid1(VALU_DEP_4)
	v_sub_f32_e32 v131, v138, v141
	v_dual_add_f32 v133, v133, v137 :: v_dual_add_f32 v128, v128, v130
	v_cvt_i32_f32_e32 v134, v139
	s_delay_alu instid0(VALU_DEP_4) | instskip(NEXT) | instid1(VALU_DEP_3)
	v_exp_f32_e32 v129, v129
	v_add_f32_e32 v130, v131, v140
	s_delay_alu instid0(VALU_DEP_3)
	v_exp_f32_e32 v131, v133
	v_exp_f32_e32 v128, v128
	v_cvt_i32_f32_e32 v133, v136
	v_cvt_i32_f32_e32 v132, v132
	v_exp_f32_e32 v130, v130
	v_cvt_i32_f32_e32 v135, v141
	s_delay_alu instid0(VALU_DEP_3) | instskip(NEXT) | instid1(TRANS32_DEP_3)
	v_ldexp_f32 v129, v129, v133
	v_ldexp_f32 v131, v131, v134
	s_delay_alu instid0(TRANS32_DEP_2) | instskip(NEXT) | instid1(VALU_DEP_3)
	v_ldexp_f32 v128, v128, v132
	v_cndmask_b32_e64 v129, 0, v129, s9
	s_waitcnt_depctr 0xfff
	v_ldexp_f32 v130, v130, v135
	v_cndmask_b32_e64 v131, 0, v131, s10
	v_cndmask_b32_e64 v128, 0, v128, s12
	s_delay_alu instid0(VALU_DEP_3) | instskip(NEXT) | instid1(VALU_DEP_3)
	v_cndmask_b32_e64 v130, 0, v130, s16
	v_cndmask_b32_e64 v131, 0x7f800000, v131, s11
	v_cndmask_b32_e32 v129, 0x7f800000, v129, vcc_lo
	s_delay_alu instid0(VALU_DEP_4) | instskip(NEXT) | instid1(VALU_DEP_4)
	v_cndmask_b32_e64 v128, 0x7f800000, v128, s13
	v_cndmask_b32_e64 v130, 0x7f800000, v130, s15
	s_delay_alu instid0(VALU_DEP_3) | instskip(SKIP_2) | instid1(VALU_DEP_4)
	v_dual_fmac_f32 v106, v124, v131 :: v_dual_fmac_f32 v107, v123, v129
	v_cvt_f16_f32_e64 v123, v129
	v_cvt_f16_f32_e64 v124, v131
	v_dual_fmac_f32 v104, v121, v130 :: v_dual_fmac_f32 v105, v122, v128
	v_cvt_f16_f32_e64 v122, v128
	v_cvt_f16_f32_e64 v121, v130
	v_pk_mul_f16 v128, v57, v61 op_sel_hi:[1,0]
	v_pk_mul_f16 v96, v123, v96 op_sel_hi:[0,1]
	;; [unrolled: 1-line block ×4, first 2 shown]
	v_pk_mul_f16 v129, v57, v61 op_sel:[0,1]
	v_pk_mul_f16 v130, v57, v62 op_sel_hi:[1,0]
	v_pk_mul_f16 v88, v121, v88 op_sel_hi:[0,1]
	;; [unrolled: 1-line block ×3, first 2 shown]
	v_pk_fma_f16 v94, v123, v94, v128 op_sel_hi:[0,1,1]
	v_pk_fma_f16 v92, v124, v92, v129 op_sel_hi:[0,1,1]
	;; [unrolled: 1-line block ×3, first 2 shown]
	v_pk_fma_f16 v57, v57, v62, v88 op_sel:[0,1,0]
	v_pk_fma_f16 v88, v58, v61, v96 op_sel_hi:[1,0,1]
	v_pk_fma_f16 v61, v58, v61, v93 op_sel:[0,1,0]
	v_pk_fma_f16 v91, v58, v62, v91 op_sel_hi:[1,0,1]
	;; [unrolled: 2-line block ×55, first 2 shown]
	ds_load_2addr_b64 v[13:16], v127 offset0:128 offset1:148
	ds_load_b128 v[17:20], v86 offset:128
	v_pk_fma_f16 v22, v5, v9, v22 op_sel:[0,1,0]
	v_pk_fma_f16 v24, v5, v10, v24 op_sel_hi:[1,0,1]
	v_pk_fma_f16 v5, v5, v10, v25 op_sel:[0,1,0]
	v_pk_fma_f16 v21, v6, v9, v21 op_sel_hi:[1,0,1]
	;; [unrolled: 2-line block ×7, first 2 shown]
	v_pk_fma_f16 v36, v8, v12, v6 op_sel:[0,1,0]
	ds_load_b128 v[5:8], v86 offset:144
	ds_load_2addr_b64 v[9:12], v127 offset0:168 offset1:188
	ds_load_b128 v[21:24], v86 offset:160
	ds_load_b128 v[25:28], v86 offset:176
	s_waitcnt lgkmcnt(4)
	v_pk_fma_f16 v29, v13, v17, v29 op_sel_hi:[1,0,1]
	v_pk_fma_f16 v30, v13, v17, v30 op_sel:[0,1,0]
	v_pk_fma_f16 v31, v13, v18, v31 op_sel_hi:[1,0,1]
	v_pk_fma_f16 v13, v13, v18, v32 op_sel:[0,1,0]
	;; [unrolled: 2-line block ×7, first 2 shown]
	ds_load_2addr_b64 v[29:32], v127 offset0:208 offset1:228
	v_pk_fma_f16 v19, v16, v20, v33 op_sel_hi:[1,0,1]
	v_pk_fma_f16 v14, v16, v20, v14 op_sel:[0,1,0]
	s_waitcnt lgkmcnt(3)
	v_pk_fma_f16 v16, v9, v5, v18 op_sel_hi:[1,0,1]
	v_pk_fma_f16 v18, v9, v5, v34 op_sel:[0,1,0]
	v_pk_fma_f16 v20, v9, v6, v35 op_sel_hi:[1,0,1]
	v_pk_fma_f16 v9, v9, v6, v13 op_sel:[0,1,0]
	;; [unrolled: 2-line block ×7, first 2 shown]
	v_pk_fma_f16 v7, v12, v8, v15 op_sel_hi:[1,0,1]
	ds_load_2addr_b64 v[13:16], v126 offset0:120 offset1:140
	v_pk_fma_f16 v6, v12, v8, v6 op_sel:[0,1,0]
	s_waitcnt lgkmcnt(1)
	v_pk_fma_f16 v8, v29, v21, v10 op_sel_hi:[1,0,1]
	v_pk_fma_f16 v10, v29, v21, v17 op_sel:[0,1,0]
	v_pk_fma_f16 v12, v29, v22, v18 op_sel_hi:[1,0,1]
	v_pk_fma_f16 v9, v29, v22, v9 op_sel:[0,1,0]
	;; [unrolled: 2-line block ×7, first 2 shown]
	v_pk_fma_f16 v29, v32, v24, v7 op_sel_hi:[1,0,1]
	ds_load_2addr_b64 v[5:8], v125 offset0:32 offset1:52
	ds_load_b128 v[9:12], v86 offset:192
	v_pk_fma_f16 v17, v32, v24, v17 op_sel:[0,1,0]
	s_waitcnt lgkmcnt(2)
	v_pk_fma_f16 v18, v13, v25, v18 op_sel_hi:[1,0,1]
	v_pk_fma_f16 v19, v13, v25, v19 op_sel:[0,1,0]
	v_pk_fma_f16 v20, v13, v26, v20 op_sel_hi:[1,0,1]
	v_pk_fma_f16 v13, v13, v26, v21 op_sel:[0,1,0]
	;; [unrolled: 2-line block ×7, first 2 shown]
	v_pk_fma_f16 v30, v16, v28, v23 op_sel_hi:[1,0,1]
	ds_load_2addr_b64 v[17:20], v125 offset0:72 offset1:92
	ds_load_b128 v[21:24], v86 offset:208
	v_pk_fma_f16 v14, v16, v28, v14 op_sel:[0,1,0]
	s_waitcnt lgkmcnt(2)
	v_pk_fma_f16 v16, v5, v9, v25 op_sel_hi:[1,0,1]
	v_pk_fma_f16 v25, v5, v9, v26 op_sel:[0,1,0]
	v_pk_fma_f16 v26, v5, v10, v29 op_sel_hi:[1,0,1]
	v_pk_fma_f16 v5, v5, v10, v13 op_sel:[0,1,0]
	;; [unrolled: 2-line block ×7, first 2 shown]
	ds_load_2addr_b64 v[13:16], v125 offset0:112 offset1:132
	ds_load_b128 v[25:28], v86 offset:224
	v_pk_fma_f16 v11, v8, v12, v29 op_sel_hi:[1,0,1]
	v_pk_fma_f16 v6, v8, v12, v6 op_sel:[0,1,0]
	s_waitcnt lgkmcnt(2)
	v_pk_fma_f16 v8, v17, v21, v10 op_sel_hi:[1,0,1]
	v_pk_fma_f16 v10, v17, v21, v30 op_sel:[0,1,0]
	v_pk_fma_f16 v12, v17, v22, v31 op_sel_hi:[1,0,1]
	v_pk_fma_f16 v5, v17, v22, v5 op_sel:[0,1,0]
	;; [unrolled: 2-line block ×8, first 2 shown]
	ds_load_b128 v[5:8], v86 offset:240
	ds_load_2addr_b64 v[9:12], v125 offset0:152 offset1:172
	s_waitcnt lgkmcnt(0)
	s_barrier
	buffer_gl0_inv
	s_load_b32 s9, s[18:19], 0x4
	v_pk_fma_f16 v17, v13, v25, v17 op_sel_hi:[1,0,1]
	v_pk_fma_f16 v18, v13, v25, v18 op_sel:[0,1,0]
	v_pk_fma_f16 v21, v13, v26, v21 op_sel_hi:[1,0,1]
	v_pk_fma_f16 v13, v13, v26, v19 op_sel:[0,1,0]
	;; [unrolled: 2-line block ×12, first 2 shown]
	s_waitcnt lgkmcnt(0)
	s_lshl_b32 s9, s9, 5
	v_pk_fma_f16 v94, v11, v7, v16 op_sel_hi:[1,0,1]
	v_pk_fma_f16 v92, v11, v7, v17 op_sel:[0,1,0]
	v_pk_fma_f16 v90, v11, v8, v18 op_sel_hi:[1,0,1]
	v_pk_fma_f16 v88, v11, v8, v9 op_sel:[0,1,0]
	;; [unrolled: 2-line block ×4, first 2 shown]
	s_add_i32 s27, s9, s27
	s_delay_alu instid0(SALU_CYCLE_1)
	s_cmp_lt_i32 s27, s46
	s_cbranch_scc0 .LBB56_43
; %bb.41:                               ;   in Loop: Header=BB56_16 Depth=1
	v_dual_mov_b32 v6, v1 :: v_dual_mov_b32 v7, v2
	v_dual_mov_b32 v8, v3 :: v_dual_mov_b32 v5, v4
	;; [unrolled: 1-line block ×4, first 2 shown]
	s_branch .LBB56_16
.LBB56_42:
	v_dual_mov_b32 v105, 0 :: v_dual_mov_b32 v106, 0
	v_dual_mov_b32 v107, 0 :: v_dual_mov_b32 v96, 0
	;; [unrolled: 1-line block ×5, first 2 shown]
.LBB56_43:
	s_cmp_gt_i32 s40, s27
	s_cbranch_scc1 .LBB56_45
; %bb.44:
	v_mbcnt_lo_u32_b32 v5, -1, 0
	v_mov_b32_e32 v74, 32
	s_delay_alu instid0(VALU_DEP_2)
	v_xor_b32_e32 v112, 16, v5
	v_xor_b32_e32 v111, 8, v5
	;; [unrolled: 1-line block ×5, first 2 shown]
	s_cbranch_execz .LBB56_46
	s_branch .LBB56_83
.LBB56_45:
                                        ; implicit-def: $vgpr5
                                        ; implicit-def: $vgpr74
                                        ; implicit-def: $vgpr112
                                        ; implicit-def: $vgpr111
                                        ; implicit-def: $vgpr77
                                        ; implicit-def: $vgpr76
                                        ; implicit-def: $vgpr75
.LBB56_46:
	v_mul_lo_u32 v5, s43, v110
	s_sub_i32 s12, s40, s27
	s_mul_hi_i32 s7, s27, s43
	s_mul_i32 s6, s27, s43
	s_movk_i32 s8, 0x60
	s_lshl_b64 s[6:7], s[6:7], 2
	v_cmp_gt_u32_e64 s5, 32, v110
	v_mad_u32_u24 v15, v110, s8, 0x1440
	v_ashrrev_i32_e32 v6, 31, v5
	v_cmp_gt_i32_e32 vcc_lo, s12, v110
	s_add_u32 s10, s44, s6
	s_addc_u32 s11, s45, s7
	s_mov_b64 s[8:9], src_private_base
	v_lshlrev_b64 v[5:6], 2, v[5:6]
	s_and_saveexec_b32 s7, s5
	s_cbranch_execz .LBB56_48
; %bb.47:
	s_delay_alu instid0(VALU_DEP_1) | instskip(NEXT) | instid1(VALU_DEP_1)
	v_add_co_u32 v8, s6, s10, v5
	v_add_co_ci_u32_e64 v9, s6, s11, v6, s6
	s_delay_alu instid0(VALU_DEP_2) | instskip(SKIP_1) | instid1(VALU_DEP_3)
	v_add_co_u32 v10, s6, v8, 64
	v_mov_b32_e32 v7, 0
	v_add_co_ci_u32_e64 v11, s6, 0, v9, s6
	s_delay_alu instid0(VALU_DEP_3) | instskip(NEXT) | instid1(VALU_DEP_2)
	v_cndmask_b32_e32 v10, 0, v10, vcc_lo
	v_dual_mov_b32 v8, v7 :: v_dual_cndmask_b32 v11, s9, v11
	v_mov_b32_e32 v9, v7
	s_clause 0x1
	scratch_store_b32 off, v7, off
	scratch_store_b96 off, v[7:9], off offset:4
	flat_load_b128 v[7:10], v[10:11]
	s_waitcnt vmcnt(0) lgkmcnt(0)
	ds_store_b128 v15, v[7:10]
.LBB56_48:
	s_or_b32 exec_lo, exec_lo, s7
	v_lshl_add_u32 v12, v95, 3, v109
	v_lshlrev_b32_e32 v17, 2, v108
	v_mov_b32_e32 v9, 0
	s_delay_alu instid0(VALU_DEP_3) | instskip(SKIP_3) | instid1(VALU_DEP_3)
	v_mul_lo_u32 v7, s43, v12
	v_mul_u32_u24_e32 v10, 0x60, v12
	v_cmp_gt_u32_e64 s7, 32, v12
	v_cmp_gt_i32_e64 s6, s12, v12
	v_add3_u32 v16, v10, v17, 0x1400
	v_ashrrev_i32_e32 v8, 31, v7
	s_delay_alu instid0(VALU_DEP_1)
	v_lshlrev_b64 v[10:11], 2, v[7:8]
	s_and_saveexec_b32 s13, s7
	s_cbranch_execz .LBB56_50
; %bb.49:
	s_delay_alu instid0(VALU_DEP_1) | instskip(NEXT) | instid1(VALU_DEP_1)
	v_add_co_u32 v7, s8, s10, v10
	v_add_co_ci_u32_e64 v8, s8, s11, v11, s8
	s_delay_alu instid0(VALU_DEP_2) | instskip(NEXT) | instid1(VALU_DEP_1)
	v_add_co_u32 v12, s8, v7, v17
	v_add_co_ci_u32_e64 v13, s8, 0, v8, s8
	v_mov_b32_e32 v7, v9
	v_mov_b32_e32 v8, v9
	s_delay_alu instid0(VALU_DEP_4) | instskip(NEXT) | instid1(VALU_DEP_4)
	v_cndmask_b32_e64 v12, 0, v12, s6
	v_cndmask_b32_e64 v13, s9, v13, s6
	s_clause 0x1
	scratch_store_b32 off, v9, off
	scratch_store_b96 off, v[7:9], off offset:4
	flat_load_b128 v[18:21], v[12:13]
	s_waitcnt vmcnt(0) lgkmcnt(0)
	ds_store_b128 v16, v[18:21]
.LBB56_50:
	s_or_b32 exec_lo, exec_lo, s13
	s_waitcnt lgkmcnt(0)
	s_waitcnt_vscnt null, 0x0
	s_barrier
	buffer_gl0_inv
	ds_load_b128 v[18:21], v103 offset:5120
	ds_load_b128 v[22:25], v102
	ds_load_b128 v[26:29], v102 offset:160
	ds_load_b128 v[30:33], v102 offset:320
	;; [unrolled: 1-line block ×3, first 2 shown]
	v_dual_mov_b32 v14, 0 :: v_dual_mov_b32 v13, 0
	v_mov_b32_e32 v12, 0
	s_waitcnt lgkmcnt(3)
	;;#ASMSTART
	v_dot2_f32_f16 v14, v18, v22, v14
	;;#ASMEND
	;;#ASMSTART
	v_dot2_f32_f16 v14, v19, v23, v14
	;;#ASMEND
	;;#ASMSTART
	v_dot2_f32_f16 v14, v20, v24, v14
	;;#ASMEND
	;;#ASMSTART
	v_dot2_f32_f16 v14, v21, v25, v14
	;;#ASMEND
	s_waitcnt lgkmcnt(2)
	;;#ASMSTART
	v_dot2_f32_f16 v13, v18, v26, v13
	;;#ASMEND
	;;#ASMSTART
	v_dot2_f32_f16 v13, v19, v27, v13
	;;#ASMEND
	;;#ASMSTART
	v_dot2_f32_f16 v13, v20, v28, v13
	;;#ASMEND
	;;#ASMSTART
	v_dot2_f32_f16 v13, v21, v29, v13
	;;#ASMEND
	s_waitcnt lgkmcnt(1)
	;;#ASMSTART
	v_dot2_f32_f16 v12, v18, v30, v12
	;;#ASMEND
	;;#ASMSTART
	v_dot2_f32_f16 v12, v19, v31, v12
	;;#ASMEND
	;;#ASMSTART
	v_dot2_f32_f16 v12, v20, v32, v12
	;;#ASMEND
	;;#ASMSTART
	v_dot2_f32_f16 v12, v21, v33, v12
	;;#ASMEND
	s_waitcnt lgkmcnt(0)
	;;#ASMSTART
	v_dot2_f32_f16 v9, v18, v34, v9
	;;#ASMEND
	;;#ASMSTART
	v_dot2_f32_f16 v9, v19, v35, v9
	;;#ASMEND
	;;#ASMSTART
	v_dot2_f32_f16 v9, v20, v36, v9
	;;#ASMEND
	;;#ASMSTART
	v_dot2_f32_f16 v9, v21, v37, v9
	;;#ASMEND
	ds_load_b128 v[18:21], v103 offset:5136
	ds_load_b128 v[22:25], v102 offset:16
	ds_load_b128 v[26:29], v102 offset:176
	ds_load_b128 v[30:33], v102 offset:336
	ds_load_b128 v[34:37], v102 offset:496
	s_waitcnt lgkmcnt(3)
	;;#ASMSTART
	v_dot2_f32_f16 v14, v18, v22, v14
	;;#ASMEND
	;;#ASMSTART
	v_dot2_f32_f16 v14, v19, v23, v14
	;;#ASMEND
	;;#ASMSTART
	v_dot2_f32_f16 v14, v20, v24, v14
	;;#ASMEND
	;;#ASMSTART
	v_dot2_f32_f16 v14, v21, v25, v14
	;;#ASMEND
	s_waitcnt lgkmcnt(2)
	;;#ASMSTART
	v_dot2_f32_f16 v13, v18, v26, v13
	;;#ASMEND
	;;#ASMSTART
	v_dot2_f32_f16 v13, v19, v27, v13
	;;#ASMEND
	;;#ASMSTART
	v_dot2_f32_f16 v13, v20, v28, v13
	;;#ASMEND
	;;#ASMSTART
	v_dot2_f32_f16 v13, v21, v29, v13
	;;#ASMEND
	s_waitcnt lgkmcnt(1)
	;;#ASMSTART
	v_dot2_f32_f16 v12, v18, v30, v12
	;;#ASMEND
	;;#ASMSTART
	v_dot2_f32_f16 v12, v19, v31, v12
	;;#ASMEND
	;;#ASMSTART
	v_dot2_f32_f16 v12, v20, v32, v12
	;;#ASMEND
	;;#ASMSTART
	v_dot2_f32_f16 v12, v21, v33, v12
	;;#ASMEND
	s_waitcnt lgkmcnt(0)
	;;#ASMSTART
	v_dot2_f32_f16 v9, v18, v34, v9
	;;#ASMEND
	;;#ASMSTART
	v_dot2_f32_f16 v9, v19, v35, v9
	;;#ASMEND
	;;#ASMSTART
	v_dot2_f32_f16 v9, v20, v36, v9
	;;#ASMEND
	;;#ASMSTART
	v_dot2_f32_f16 v9, v21, v37, v9
	;;#ASMEND
	ds_load_b128 v[18:21], v103 offset:5152
	ds_load_b128 v[22:25], v102 offset:32
	ds_load_b128 v[26:29], v102 offset:192
	ds_load_b128 v[30:33], v102 offset:352
	ds_load_b128 v[34:37], v102 offset:512
	;; [unrolled: 57-line block ×4, first 2 shown]
	s_waitcnt lgkmcnt(3)
	;;#ASMSTART
	v_dot2_f32_f16 v14, v18, v22, v14
	;;#ASMEND
	;;#ASMSTART
	v_dot2_f32_f16 v14, v19, v23, v14
	;;#ASMEND
	;;#ASMSTART
	v_dot2_f32_f16 v14, v20, v24, v14
	;;#ASMEND
	;;#ASMSTART
	v_dot2_f32_f16 v14, v21, v25, v14
	;;#ASMEND
	s_waitcnt lgkmcnt(2)
	;;#ASMSTART
	v_dot2_f32_f16 v13, v18, v26, v13
	;;#ASMEND
	;;#ASMSTART
	v_dot2_f32_f16 v13, v19, v27, v13
	;;#ASMEND
	;;#ASMSTART
	v_dot2_f32_f16 v13, v20, v28, v13
	;;#ASMEND
	;;#ASMSTART
	v_dot2_f32_f16 v13, v21, v29, v13
	;;#ASMEND
	;; [unrolled: 13-line block ×4, first 2 shown]
	s_barrier
	buffer_gl0_inv
	s_and_saveexec_b32 s8, s5
	s_cbranch_execz .LBB56_52
; %bb.51:
	v_add_co_u32 v7, s5, s10, v5
	s_delay_alu instid0(VALU_DEP_1) | instskip(NEXT) | instid1(VALU_DEP_2)
	v_add_co_ci_u32_e64 v6, s5, s11, v6, s5
	v_add_co_u32 v8, s5, 0x90, v7
	v_mov_b32_e32 v5, 0
	s_delay_alu instid0(VALU_DEP_3) | instskip(NEXT) | instid1(VALU_DEP_1)
	v_add_co_ci_u32_e64 v18, s5, 0, v6, s5
	v_cndmask_b32_e32 v19, s9, v18, vcc_lo
	s_delay_alu instid0(VALU_DEP_4) | instskip(NEXT) | instid1(VALU_DEP_4)
	v_cndmask_b32_e32 v18, 0, v8, vcc_lo
	v_mov_b32_e32 v6, v5
	v_mov_b32_e32 v7, v5
	s_clause 0x1
	scratch_store_b32 off, v5, off
	scratch_store_b96 off, v[5:7], off offset:4
	flat_load_b128 v[5:8], v[18:19]
	s_waitcnt vmcnt(0) lgkmcnt(0)
	ds_store_b128 v15, v[5:8]
.LBB56_52:
	s_or_b32 exec_lo, exec_lo, s8
	s_and_saveexec_b32 s5, s7
	s_cbranch_execz .LBB56_54
; %bb.53:
	v_add_co_u32 v5, vcc_lo, s10, v10
	v_add_co_ci_u32_e32 v6, vcc_lo, s11, v11, vcc_lo
	s_delay_alu instid0(VALU_DEP_2) | instskip(NEXT) | instid1(VALU_DEP_2)
	v_add_co_u32 v7, vcc_lo, v5, v17
	v_add_co_ci_u32_e32 v6, vcc_lo, 0, v6, vcc_lo
	v_mov_b32_e32 v5, 0
	s_delay_alu instid0(VALU_DEP_3) | instskip(NEXT) | instid1(VALU_DEP_3)
	v_add_co_u32 v8, vcc_lo, 0x50, v7
	v_add_co_ci_u32_e32 v10, vcc_lo, 0, v6, vcc_lo
	s_delay_alu instid0(VALU_DEP_3)
	v_mov_b32_e32 v6, v5
	v_mov_b32_e32 v7, v5
	s_clause 0x1
	scratch_store_b32 off, v5, off
	scratch_store_b96 off, v[5:7], off offset:4
	v_cndmask_b32_e64 v11, s9, v10, s6
	v_cndmask_b32_e64 v10, 0, v8, s6
	flat_load_b128 v[5:8], v[10:11]
	s_waitcnt vmcnt(0) lgkmcnt(0)
	ds_store_b128 v16, v[5:8]
.LBB56_54:
	s_or_b32 exec_lo, exec_lo, s5
	s_waitcnt lgkmcnt(0)
	s_waitcnt_vscnt null, 0x0
	s_barrier
	buffer_gl0_inv
	ds_load_b128 v[5:8], v103 offset:5120
	ds_load_b128 v[15:18], v102 offset:80
	ds_load_b128 v[19:22], v102 offset:240
	ds_load_b128 v[23:26], v102 offset:400
	ds_load_b128 v[27:30], v102 offset:560
	s_cmp_lg_u64 s[34:35], 0
	v_cmp_gt_i32_e64 s5, s12, v80
	s_cselect_b32 s7, -1, 0
	v_add_nc_u32_e32 v10, s27, v80
	v_cndmask_b32_e64 v11, 0, 1, s7
	s_waitcnt lgkmcnt(3)
	;;#ASMSTART
	v_dot2_f32_f16 v14, v5, v15, v14
	;;#ASMEND
	;;#ASMSTART
	v_dot2_f32_f16 v14, v6, v16, v14
	;;#ASMEND
	;;#ASMSTART
	v_dot2_f32_f16 v14, v7, v17, v14
	;;#ASMEND
	;;#ASMSTART
	v_dot2_f32_f16 v14, v8, v18, v14
	;;#ASMEND
	s_waitcnt lgkmcnt(2)
	;;#ASMSTART
	v_dot2_f32_f16 v13, v5, v19, v13
	;;#ASMEND
	;;#ASMSTART
	v_dot2_f32_f16 v13, v6, v20, v13
	;;#ASMEND
	;;#ASMSTART
	v_dot2_f32_f16 v13, v7, v21, v13
	;;#ASMEND
	;;#ASMSTART
	v_dot2_f32_f16 v13, v8, v22, v13
	;;#ASMEND
	s_waitcnt lgkmcnt(1)
	;;#ASMSTART
	v_dot2_f32_f16 v12, v5, v23, v12
	;;#ASMEND
	;;#ASMSTART
	v_dot2_f32_f16 v12, v6, v24, v12
	;;#ASMEND
	;;#ASMSTART
	v_dot2_f32_f16 v12, v7, v25, v12
	;;#ASMEND
	;;#ASMSTART
	v_dot2_f32_f16 v12, v8, v26, v12
	;;#ASMEND
	s_waitcnt lgkmcnt(0)
	;;#ASMSTART
	v_dot2_f32_f16 v9, v5, v27, v9
	;;#ASMEND
	;;#ASMSTART
	v_dot2_f32_f16 v9, v6, v28, v9
	;;#ASMEND
	;;#ASMSTART
	v_dot2_f32_f16 v9, v7, v29, v9
	;;#ASMEND
	;;#ASMSTART
	v_dot2_f32_f16 v9, v8, v30, v9
	;;#ASMEND
	ds_load_b128 v[5:8], v103 offset:5136
	ds_load_b128 v[15:18], v102 offset:96
	ds_load_b128 v[19:22], v102 offset:256
	ds_load_b128 v[23:26], v102 offset:416
	ds_load_b128 v[27:30], v102 offset:576
	s_waitcnt lgkmcnt(3)
	;;#ASMSTART
	v_dot2_f32_f16 v14, v5, v15, v14
	;;#ASMEND
	;;#ASMSTART
	v_dot2_f32_f16 v14, v6, v16, v14
	;;#ASMEND
	;;#ASMSTART
	v_dot2_f32_f16 v14, v7, v17, v14
	;;#ASMEND
	;;#ASMSTART
	v_dot2_f32_f16 v14, v8, v18, v14
	;;#ASMEND
	s_waitcnt lgkmcnt(2)
	;;#ASMSTART
	v_dot2_f32_f16 v13, v5, v19, v13
	;;#ASMEND
	;;#ASMSTART
	v_dot2_f32_f16 v13, v6, v20, v13
	;;#ASMEND
	;;#ASMSTART
	v_dot2_f32_f16 v13, v7, v21, v13
	;;#ASMEND
	;;#ASMSTART
	v_dot2_f32_f16 v13, v8, v22, v13
	;;#ASMEND
	s_waitcnt lgkmcnt(1)
	;;#ASMSTART
	v_dot2_f32_f16 v12, v5, v23, v12
	;;#ASMEND
	;;#ASMSTART
	v_dot2_f32_f16 v12, v6, v24, v12
	;;#ASMEND
	;;#ASMSTART
	v_dot2_f32_f16 v12, v7, v25, v12
	;;#ASMEND
	;;#ASMSTART
	v_dot2_f32_f16 v12, v8, v26, v12
	;;#ASMEND
	s_waitcnt lgkmcnt(0)
	;;#ASMSTART
	v_dot2_f32_f16 v9, v5, v27, v9
	;;#ASMEND
	;;#ASMSTART
	v_dot2_f32_f16 v9, v6, v28, v9
	;;#ASMEND
	;;#ASMSTART
	v_dot2_f32_f16 v9, v7, v29, v9
	;;#ASMEND
	;;#ASMSTART
	v_dot2_f32_f16 v9, v8, v30, v9
	;;#ASMEND
	ds_load_b128 v[5:8], v103 offset:5152
	ds_load_b128 v[15:18], v102 offset:112
	ds_load_b128 v[19:22], v102 offset:272
	ds_load_b128 v[23:26], v102 offset:432
	ds_load_b128 v[27:30], v102 offset:592
	;; [unrolled: 57-line block ×4, first 2 shown]
	s_waitcnt lgkmcnt(3)
	;;#ASMSTART
	v_dot2_f32_f16 v14, v15, v19, v14
	;;#ASMEND
	;;#ASMSTART
	v_dot2_f32_f16 v14, v16, v20, v14
	;;#ASMEND
	;; [unrolled: 3-line block ×4, first 2 shown]
	s_waitcnt lgkmcnt(2)
	;;#ASMSTART
	v_dot2_f32_f16 v13, v15, v23, v13
	;;#ASMEND
	;;#ASMSTART
	v_dot2_f32_f16 v13, v16, v24, v13
	;;#ASMEND
	;; [unrolled: 3-line block ×3, first 2 shown]
	v_dual_mov_b32 v8, v4 :: v_dual_mov_b32 v5, v1
	;;#ASMSTART
	v_dot2_f32_f16 v13, v18, v26, v13
	;;#ASMEND
	s_waitcnt lgkmcnt(1)
	;;#ASMSTART
	v_dot2_f32_f16 v12, v15, v27, v12
	;;#ASMEND
	v_dual_mov_b32 v7, v3 :: v_dual_mov_b32 v6, v2
	;;#ASMSTART
	v_dot2_f32_f16 v12, v16, v28, v12
	;;#ASMEND
	;;#ASMSTART
	v_dot2_f32_f16 v12, v17, v29, v12
	;;#ASMEND
	;; [unrolled: 3-line block ×3, first 2 shown]
	s_waitcnt lgkmcnt(0)
	;;#ASMSTART
	v_dot2_f32_f16 v9, v15, v31, v9
	;;#ASMEND
	;;#ASMSTART
	v_dot2_f32_f16 v9, v16, v32, v9
	;;#ASMEND
	;; [unrolled: 3-line block ×4, first 2 shown]
	s_and_saveexec_b32 s6, s5
	s_cbranch_execz .LBB56_59
; %bb.55:
	s_and_not1_b32 vcc_lo, exec_lo, s7
	s_cbranch_vccnz .LBB56_57
; %bb.56:
	v_mul_hi_u32 v5, s36, v84
	s_delay_alu instid0(VALU_DEP_1) | instskip(NEXT) | instid1(VALU_DEP_1)
	v_add_nc_u32_e32 v5, v84, v5
	v_lshrrev_b32_e32 v5, s37, v5
	s_delay_alu instid0(VALU_DEP_1) | instskip(NEXT) | instid1(VALU_DEP_1)
	v_mul_lo_u32 v5, v5, s38
	v_sub_nc_u32_e32 v7, v84, v5
	s_delay_alu instid0(VALU_DEP_1) | instskip(NEXT) | instid1(VALU_DEP_1)
	v_mad_u64_u32 v[5:6], null, v7, s42, v[10:11]
	v_ashrrev_i32_e32 v6, 31, v5
	s_delay_alu instid0(VALU_DEP_1) | instskip(NEXT) | instid1(VALU_DEP_1)
	v_lshlrev_b64 v[5:6], 1, v[5:6]
	v_add_co_u32 v5, vcc_lo, s34, v5
	s_delay_alu instid0(VALU_DEP_2) | instskip(SKIP_3) | instid1(VALU_DEP_1)
	v_add_co_ci_u32_e32 v6, vcc_lo, s35, v6, vcc_lo
	flat_load_u16 v5, v[5:6]
	s_waitcnt vmcnt(0) lgkmcnt(0)
	v_cvt_f32_f16_e32 v5, v5
	v_mul_f32_e32 v5, v97, v5
	s_branch .LBB56_58
.LBB56_57:
	v_mov_b32_e32 v5, 0
.LBB56_58:
	s_delay_alu instid0(VALU_DEP_1) | instskip(SKIP_2) | instid1(VALU_DEP_3)
	v_add_f32_e32 v14, v14, v5
	v_dual_mov_b32 v8, v4 :: v_dual_mov_b32 v5, v1
	v_mov_b32_e32 v7, v3
	v_dual_max_f32 v15, v1, v1 :: v_dual_add_f32 v16, 0x40051340, v14
	s_delay_alu instid0(VALU_DEP_1)
	v_dual_mov_b32 v6, v2 :: v_dual_max_f32 v5, v15, v16
.LBB56_59:
	s_or_b32 exec_lo, exec_lo, s6
	v_xor_b32_e32 v112, 16, v85
	v_xor_b32_e32 v111, 8, v85
	;; [unrolled: 1-line block ×5, first 2 shown]
	v_cmp_gt_i32_e32 vcc_lo, 32, v112
	v_dual_mov_b32 v74, 32 :: v_dual_cndmask_b32 v15, v85, v112
	v_cmp_gt_i32_e32 vcc_lo, 32, v111
	s_delay_alu instid0(VALU_DEP_2)
	v_lshlrev_b32_e32 v15, 2, v15
	v_cndmask_b32_e32 v17, v85, v111, vcc_lo
	v_cmp_gt_i32_e32 vcc_lo, 32, v77
	ds_bpermute_b32 v16, v15, v5
	s_waitcnt lgkmcnt(0)
	v_dual_max_f32 v5, v5, v5 :: v_dual_max_f32 v18, v16, v16
	s_delay_alu instid0(VALU_DEP_1)
	v_dual_max_f32 v5, v5, v18 :: v_dual_lshlrev_b32 v16, 2, v17
	v_cndmask_b32_e32 v18, v85, v77, vcc_lo
	v_cmp_gt_i32_e32 vcc_lo, 32, v76
	ds_bpermute_b32 v17, v16, v5
	s_waitcnt lgkmcnt(0)
	v_max_f32_e32 v19, v17, v17
	s_delay_alu instid0(VALU_DEP_1)
	v_max_f32_e32 v5, v5, v19
	v_cndmask_b32_e32 v19, v85, v76, vcc_lo
	v_cmp_gt_i32_e32 vcc_lo, 32, v75
	v_lshlrev_b32_e32 v17, 2, v18
	ds_bpermute_b32 v18, v17, v5
	s_waitcnt lgkmcnt(0)
	v_max_f32_e32 v20, v18, v18
	s_delay_alu instid0(VALU_DEP_1)
	v_dual_max_f32 v5, v5, v20 :: v_dual_lshlrev_b32 v18, 2, v19
	v_cndmask_b32_e32 v20, v85, v75, vcc_lo
	ds_bpermute_b32 v19, v18, v5
	s_waitcnt lgkmcnt(0)
	v_max_f32_e32 v21, v19, v19
	v_lshlrev_b32_e32 v19, 2, v20
	s_delay_alu instid0(VALU_DEP_2) | instskip(SKIP_3) | instid1(VALU_DEP_1)
	v_max_f32_e32 v5, v5, v21
	ds_bpermute_b32 v20, v19, v5
	s_waitcnt lgkmcnt(0)
	v_max_f32_e32 v20, v20, v20
	v_max_f32_e32 v5, v5, v20
	s_and_saveexec_b32 s6, s5
	s_cbranch_execz .LBB56_64
; %bb.60:
	v_cmp_ne_u32_e32 vcc_lo, 1, v11
	s_cbranch_vccnz .LBB56_62
; %bb.61:
	v_or_b32_e32 v20, 1, v84
	s_delay_alu instid0(VALU_DEP_1) | instskip(NEXT) | instid1(VALU_DEP_1)
	v_mul_hi_u32 v21, s36, v20
	v_add_nc_u32_e32 v21, v20, v21
	s_delay_alu instid0(VALU_DEP_1) | instskip(NEXT) | instid1(VALU_DEP_1)
	v_lshrrev_b32_e32 v21, s37, v21
	v_mul_lo_u32 v21, v21, s38
	s_delay_alu instid0(VALU_DEP_1) | instskip(NEXT) | instid1(VALU_DEP_1)
	v_sub_nc_u32_e32 v22, v20, v21
	v_mad_u64_u32 v[20:21], null, v22, s42, v[10:11]
	s_delay_alu instid0(VALU_DEP_1) | instskip(NEXT) | instid1(VALU_DEP_1)
	v_ashrrev_i32_e32 v21, 31, v20
	v_lshlrev_b64 v[20:21], 1, v[20:21]
	s_delay_alu instid0(VALU_DEP_1) | instskip(NEXT) | instid1(VALU_DEP_2)
	v_add_co_u32 v20, vcc_lo, s34, v20
	v_add_co_ci_u32_e32 v21, vcc_lo, s35, v21, vcc_lo
	flat_load_u16 v20, v[20:21]
	s_waitcnt vmcnt(0) lgkmcnt(0)
	v_cvt_f32_f16_e32 v20, v20
	s_delay_alu instid0(VALU_DEP_1)
	v_mul_f32_e32 v20, v97, v20
	s_branch .LBB56_63
.LBB56_62:
	v_mov_b32_e32 v20, 0
.LBB56_63:
	s_delay_alu instid0(VALU_DEP_1) | instskip(NEXT) | instid1(VALU_DEP_1)
	v_dual_add_f32 v13, v13, v20 :: v_dual_max_f32 v6, v6, v6
	v_add_f32_e32 v20, 0x40051340, v13
	s_delay_alu instid0(VALU_DEP_1)
	v_max_f32_e32 v6, v6, v20
.LBB56_64:
	s_or_b32 exec_lo, exec_lo, s6
	ds_bpermute_b32 v20, v15, v6
	v_max_f32_e32 v6, v6, v6
	s_waitcnt lgkmcnt(0)
	v_max_f32_e32 v20, v20, v20
	s_delay_alu instid0(VALU_DEP_1) | instskip(SKIP_3) | instid1(VALU_DEP_1)
	v_max_f32_e32 v6, v6, v20
	ds_bpermute_b32 v20, v16, v6
	s_waitcnt lgkmcnt(0)
	v_max_f32_e32 v20, v20, v20
	v_max_f32_e32 v6, v6, v20
	ds_bpermute_b32 v20, v17, v6
	s_waitcnt lgkmcnt(0)
	v_max_f32_e32 v20, v20, v20
	s_delay_alu instid0(VALU_DEP_1) | instskip(SKIP_3) | instid1(VALU_DEP_1)
	v_max_f32_e32 v6, v6, v20
	ds_bpermute_b32 v20, v18, v6
	s_waitcnt lgkmcnt(0)
	v_max_f32_e32 v20, v20, v20
	v_max_f32_e32 v6, v6, v20
	ds_bpermute_b32 v20, v19, v6
	s_waitcnt lgkmcnt(0)
	v_max_f32_e32 v20, v20, v20
	s_delay_alu instid0(VALU_DEP_1)
	v_max_f32_e32 v6, v6, v20
	s_and_saveexec_b32 s6, s5
	s_cbranch_execz .LBB56_69
; %bb.65:
	v_cmp_ne_u32_e32 vcc_lo, 1, v11
	s_cbranch_vccnz .LBB56_67
; %bb.66:
	v_or_b32_e32 v20, 2, v84
	s_delay_alu instid0(VALU_DEP_1) | instskip(NEXT) | instid1(VALU_DEP_1)
	v_mul_hi_u32 v21, s36, v20
	v_add_nc_u32_e32 v21, v20, v21
	s_delay_alu instid0(VALU_DEP_1) | instskip(NEXT) | instid1(VALU_DEP_1)
	v_lshrrev_b32_e32 v21, s37, v21
	v_mul_lo_u32 v21, v21, s38
	s_delay_alu instid0(VALU_DEP_1) | instskip(NEXT) | instid1(VALU_DEP_1)
	v_sub_nc_u32_e32 v22, v20, v21
	v_mad_u64_u32 v[20:21], null, v22, s42, v[10:11]
	s_delay_alu instid0(VALU_DEP_1) | instskip(NEXT) | instid1(VALU_DEP_1)
	v_ashrrev_i32_e32 v21, 31, v20
	v_lshlrev_b64 v[20:21], 1, v[20:21]
	s_delay_alu instid0(VALU_DEP_1) | instskip(NEXT) | instid1(VALU_DEP_2)
	v_add_co_u32 v20, vcc_lo, s34, v20
	v_add_co_ci_u32_e32 v21, vcc_lo, s35, v21, vcc_lo
	flat_load_u16 v20, v[20:21]
	s_waitcnt vmcnt(0) lgkmcnt(0)
	v_cvt_f32_f16_e32 v20, v20
	s_delay_alu instid0(VALU_DEP_1)
	v_mul_f32_e32 v20, v97, v20
	s_branch .LBB56_68
.LBB56_67:
	v_mov_b32_e32 v20, 0
.LBB56_68:
	s_delay_alu instid0(VALU_DEP_1) | instskip(NEXT) | instid1(VALU_DEP_1)
	v_dual_add_f32 v12, v12, v20 :: v_dual_max_f32 v7, v7, v7
	v_add_f32_e32 v20, 0x40051340, v12
	s_delay_alu instid0(VALU_DEP_1)
	v_max_f32_e32 v7, v7, v20
.LBB56_69:
	s_or_b32 exec_lo, exec_lo, s6
	ds_bpermute_b32 v20, v15, v7
	s_waitcnt lgkmcnt(0)
	v_dual_max_f32 v7, v7, v7 :: v_dual_max_f32 v20, v20, v20
	s_delay_alu instid0(VALU_DEP_1) | instskip(SKIP_3) | instid1(VALU_DEP_1)
	v_max_f32_e32 v7, v7, v20
	ds_bpermute_b32 v20, v16, v7
	s_waitcnt lgkmcnt(0)
	v_max_f32_e32 v20, v20, v20
	v_max_f32_e32 v7, v7, v20
	ds_bpermute_b32 v20, v17, v7
	s_waitcnt lgkmcnt(0)
	v_max_f32_e32 v20, v20, v20
	s_delay_alu instid0(VALU_DEP_1) | instskip(SKIP_3) | instid1(VALU_DEP_1)
	v_max_f32_e32 v7, v7, v20
	ds_bpermute_b32 v20, v18, v7
	s_waitcnt lgkmcnt(0)
	v_max_f32_e32 v20, v20, v20
	v_max_f32_e32 v7, v7, v20
	ds_bpermute_b32 v20, v19, v7
	s_waitcnt lgkmcnt(0)
	v_max_f32_e32 v20, v20, v20
	s_delay_alu instid0(VALU_DEP_1)
	v_max_f32_e32 v7, v7, v20
	s_and_saveexec_b32 s6, s5
	s_cbranch_execz .LBB56_74
; %bb.70:
	v_cmp_ne_u32_e32 vcc_lo, 1, v11
	s_cbranch_vccnz .LBB56_72
; %bb.71:
	v_or_b32_e32 v11, 3, v84
	s_delay_alu instid0(VALU_DEP_1) | instskip(NEXT) | instid1(VALU_DEP_1)
	v_mul_hi_u32 v20, s36, v11
	v_add_nc_u32_e32 v20, v11, v20
	s_delay_alu instid0(VALU_DEP_1) | instskip(NEXT) | instid1(VALU_DEP_1)
	v_lshrrev_b32_e32 v20, s37, v20
	v_mul_lo_u32 v20, v20, s38
	s_delay_alu instid0(VALU_DEP_1) | instskip(NEXT) | instid1(VALU_DEP_1)
	v_sub_nc_u32_e32 v11, v11, v20
	v_mad_u64_u32 v[20:21], null, v11, s42, v[10:11]
	s_delay_alu instid0(VALU_DEP_1) | instskip(NEXT) | instid1(VALU_DEP_1)
	v_ashrrev_i32_e32 v21, 31, v20
	v_lshlrev_b64 v[10:11], 1, v[20:21]
	s_delay_alu instid0(VALU_DEP_1) | instskip(NEXT) | instid1(VALU_DEP_2)
	v_add_co_u32 v10, vcc_lo, s34, v10
	v_add_co_ci_u32_e32 v11, vcc_lo, s35, v11, vcc_lo
	flat_load_u16 v10, v[10:11]
	s_waitcnt vmcnt(0) lgkmcnt(0)
	v_cvt_f32_f16_e32 v10, v10
	s_delay_alu instid0(VALU_DEP_1)
	v_mul_f32_e32 v10, v97, v10
	s_branch .LBB56_73
.LBB56_72:
	v_mov_b32_e32 v10, 0
.LBB56_73:
	s_delay_alu instid0(VALU_DEP_1) | instskip(NEXT) | instid1(VALU_DEP_1)
	v_dual_add_f32 v9, v9, v10 :: v_dual_max_f32 v8, v8, v8
	v_add_f32_e32 v10, 0x40051340, v9
	s_delay_alu instid0(VALU_DEP_1)
	v_max_f32_e32 v8, v8, v10
.LBB56_74:
	s_or_b32 exec_lo, exec_lo, s6
	ds_bpermute_b32 v10, v15, v8
	v_dual_max_f32 v8, v8, v8 :: v_dual_sub_f32 v11, v14, v5
	v_dual_sub_f32 v13, v13, v6 :: v_dual_sub_f32 v12, v12, v7
	s_load_b64 s[6:7], s[0:1], 0x4
	s_mul_hi_i32 s1, s27, s26
	s_mul_i32 s0, s27, s26
	v_lshl_add_u32 v108, v95, 4, v101
	s_lshl_b64 s[10:11], s[0:1], 2
	v_cmp_ngt_f32_e64 s0, 0xc2ce8ed0, v11
	v_bfe_u32 v0, v0, 20, 10
	s_mov_b64 s[8:9], src_private_base
	v_cmp_gt_u32_e32 vcc_lo, 16, v108
	s_waitcnt lgkmcnt(0)
	s_barrier
	buffer_gl0_inv
	v_dual_mul_f32 v15, 0x3fb8aa3b, v11 :: v_dual_max_f32 v10, v10, v10
	s_delay_alu instid0(VALU_DEP_1) | instskip(SKIP_3) | instid1(VALU_DEP_1)
	v_max_f32_e32 v8, v8, v10
	ds_bpermute_b32 v10, v16, v8
	s_waitcnt lgkmcnt(0)
	v_max_f32_e32 v10, v10, v10
	v_max_f32_e32 v8, v8, v10
	ds_bpermute_b32 v10, v17, v8
	v_mul_f32_e32 v17, 0x3fb8aa3b, v12
	s_delay_alu instid0(VALU_DEP_1) | instskip(SKIP_2) | instid1(VALU_DEP_3)
	v_fma_f32 v21, 0x3fb8aa3b, v12, -v17
	v_rndne_f32_e32 v22, v17
	v_mul_f32_e32 v16, 0x3fb8aa3b, v13
	v_fmac_f32_e32 v21, 0x32a5705f, v12
	s_delay_alu instid0(VALU_DEP_3) | instskip(NEXT) | instid1(VALU_DEP_3)
	v_sub_f32_e32 v17, v17, v22
	v_rndne_f32_e32 v20, v16
	s_delay_alu instid0(VALU_DEP_2) | instskip(SKIP_3) | instid1(VALU_DEP_3)
	v_add_f32_e32 v17, v17, v21
	v_mul_u32_u24_e32 v21, 0xa0, v108
	s_waitcnt lgkmcnt(0)
	v_max_f32_e32 v10, v10, v10
	v_exp_f32_e32 v17, v17
	s_delay_alu instid0(VALU_DEP_1) | instskip(SKIP_2) | instid1(VALU_DEP_1)
	v_max_f32_e32 v8, v8, v10
	ds_bpermute_b32 v10, v18, v8
	v_fma_f32 v18, 0x3fb8aa3b, v11, -v15
	v_fmac_f32_e32 v18, 0x32a5705f, v11
	s_waitcnt lgkmcnt(0)
	v_max_f32_e32 v10, v10, v10
	s_delay_alu instid0(VALU_DEP_1) | instskip(SKIP_3) | instid1(VALU_DEP_1)
	v_max_f32_e32 v8, v8, v10
	ds_bpermute_b32 v10, v19, v8
	v_fma_f32 v19, 0x3fb8aa3b, v13, -v16
	s_waitcnt lgkmcnt(0)
	v_dual_fmac_f32 v19, 0x32a5705f, v13 :: v_dual_max_f32 v10, v10, v10
	s_delay_alu instid0(VALU_DEP_1) | instskip(SKIP_1) | instid1(VALU_DEP_2)
	v_max_f32_e32 v8, v8, v10
	v_rndne_f32_e32 v10, v15
	v_dual_sub_f32 v9, v9, v8 :: v_dual_add_nc_u32 v14, v86, v89
	s_delay_alu instid0(VALU_DEP_2) | instskip(SKIP_1) | instid1(VALU_DEP_3)
	v_dual_sub_f32 v15, v15, v10 :: v_dual_sub_f32 v16, v16, v20
	v_cvt_i32_f32_e32 v10, v10
	v_mul_f32_e32 v23, 0x3fb8aa3b, v9
	s_delay_alu instid0(VALU_DEP_3) | instskip(SKIP_1) | instid1(VALU_DEP_3)
	v_dual_add_f32 v15, v15, v18 :: v_dual_add_f32 v16, v16, v19
	v_cmp_ngt_f32_e64 s1, 0xc2ce8ed0, v9
	v_fma_f32 v18, 0x3fb8aa3b, v9, -v23
	v_rndne_f32_e32 v24, v23
	s_delay_alu instid0(VALU_DEP_4) | instskip(SKIP_1) | instid1(VALU_DEP_1)
	v_exp_f32_e32 v15, v15
	v_exp_f32_e32 v16, v16
	v_dual_fmac_f32 v18, 0x32a5705f, v9 :: v_dual_sub_f32 v19, v23, v24
	s_delay_alu instid0(VALU_DEP_1)
	v_add_f32_e32 v18, v19, v18
	v_cvt_i32_f32_e32 v19, v20
	s_waitcnt_depctr 0xfff
	v_ldexp_f32 v10, v15, v10
	v_cvt_i32_f32_e32 v20, v22
	v_exp_f32_e32 v15, v18
	v_ldexp_f32 v16, v16, v19
	s_delay_alu instid0(VALU_DEP_3) | instskip(SKIP_3) | instid1(VALU_DEP_3)
	v_cndmask_b32_e64 v10, 0, v10, s0
	v_cmp_ngt_f32_e64 s0, 0xc2ce8ed0, v13
	v_ldexp_f32 v17, v17, v20
	v_cvt_i32_f32_e32 v18, v24
	v_cndmask_b32_e64 v16, 0, v16, s0
	v_cmp_ngt_f32_e64 s0, 0xc2ce8ed0, v12
	s_delay_alu instid0(TRANS32_DEP_1) | instid1(VALU_DEP_3)
	v_ldexp_f32 v15, v15, v18
	s_delay_alu instid0(VALU_DEP_2) | instskip(SKIP_1) | instid1(VALU_DEP_1)
	v_cndmask_b32_e64 v17, 0, v17, s0
	v_cmp_nlt_f32_e64 s0, 0x42b17218, v11
	v_cndmask_b32_e64 v11, 0x7f800000, v10, s0
	s_delay_alu instid0(VALU_DEP_4) | instskip(SKIP_2) | instid1(VALU_DEP_2)
	v_cndmask_b32_e64 v10, 0, v15, s1
	v_cmp_nlt_f32_e64 s1, 0x42b17218, v13
	v_cmp_gt_u32_e64 s0, s12, v80
	v_cndmask_b32_e64 v13, 0x7f800000, v16, s1
	v_cmp_nlt_f32_e64 s1, 0x42b17218, v12
	s_delay_alu instid0(VALU_DEP_3) | instskip(NEXT) | instid1(VALU_DEP_3)
	v_cndmask_b32_e64 v97, 0, v11, s0
	v_cndmask_b32_e64 v101, 0, v13, s0
	s_delay_alu instid0(VALU_DEP_3) | instskip(SKIP_1) | instid1(VALU_DEP_3)
	v_cndmask_b32_e64 v12, 0x7f800000, v17, s1
	v_cmp_nlt_f32_e64 s1, 0x42b17218, v9
	v_cvt_f16_f32_e32 v13, v101
	s_delay_alu instid0(VALU_DEP_3) | instskip(NEXT) | instid1(VALU_DEP_3)
	v_cndmask_b32_e64 v102, 0, v12, s0
	v_cndmask_b32_e64 v9, 0x7f800000, v10, s1
	v_mul_lo_u32 v10, s26, v108
	v_cvt_f16_f32_e32 v12, v97
	s_add_u32 s1, s20, s10
	v_cvt_f16_f32_e32 v15, v102
	v_cndmask_b32_e64 v103, 0, v9, s0
	v_lshl_or_b32 v9, v100, 2, v21
	v_pack_b32_f16 v12, v12, v13
	s_addc_u32 s5, s21, s11
	v_ashrrev_i32_e32 v11, 31, v10
	v_cvt_f16_f32_e32 v16, v103
	v_add_nc_u32_e32 v109, 0x1480, v9
	v_mul_u32_u24_e32 v9, s7, v95
	v_lshlrev_b32_e32 v95, 2, v100
	v_lshlrev_b64 v[70:71], 2, v[10:11]
	v_pack_b32_f16 v13, v15, v16
	ds_store_b64 v14, v[12:13]
	s_and_saveexec_b32 s8, vcc_lo
	s_cbranch_execz .LBB56_76
; %bb.75:
	v_add_co_u32 v10, s0, s1, v70
	s_delay_alu instid0(VALU_DEP_1) | instskip(NEXT) | instid1(VALU_DEP_2)
	v_add_co_ci_u32_e64 v11, s0, s5, v71, s0
	v_add_co_u32 v12, s0, v10, v95
	s_delay_alu instid0(VALU_DEP_1) | instskip(SKIP_1) | instid1(VALU_DEP_3)
	v_add_co_ci_u32_e64 v11, s0, 0, v11, s0
	v_mov_b32_e32 v10, 0
	v_add_co_u32 v13, s0, 0x80, v12
	s_delay_alu instid0(VALU_DEP_1) | instskip(SKIP_1) | instid1(VALU_DEP_4)
	v_add_co_ci_u32_e64 v14, s0, 0, v11, s0
	v_cmp_gt_i32_e64 s0, s12, v108
	v_mov_b32_e32 v11, v10
	v_mov_b32_e32 v12, v10
	s_clause 0x1
	scratch_store_b32 off, v10, off
	scratch_store_b96 off, v[10:12], off offset:4
	v_cndmask_b32_e64 v14, s9, v14, s0
	v_cndmask_b32_e64 v13, 0, v13, s0
	flat_load_b128 v[10:13], v[13:14]
	s_waitcnt vmcnt(0) lgkmcnt(0)
	ds_store_b128 v109, v[10:13]
.LBB56_76:
	s_or_b32 exec_lo, exec_lo, s8
	v_add_nc_u32_e32 v99, v83, v99
	s_lshr_b32 s0, s6, 16
	v_lshlrev_b32_e32 v110, 2, v98
	s_mul_i32 s0, s0, s7
	s_mov_b64 s[10:11], src_shared_base
	v_mul_lo_u32 v11, s0, v80
	v_mul_lo_u32 v10, s26, v99
	v_cmp_gt_u32_e64 s0, 16, v99
	s_delay_alu instid0(VALU_DEP_3) | instskip(NEXT) | instid1(VALU_DEP_3)
	v_add3_u32 v0, v11, v9, v0
	v_ashrrev_i32_e32 v11, 31, v10
	v_mul_u32_u24_e32 v9, 0xa0, v99
	s_delay_alu instid0(VALU_DEP_3) | instskip(NEXT) | instid1(VALU_DEP_3)
	v_lshl_add_u32 v98, v0, 4, 0x28c0
	v_lshlrev_b64 v[72:73], 2, v[10:11]
	s_delay_alu instid0(VALU_DEP_3)
	v_add3_u32 v100, v9, v110, 0x1400
	s_and_saveexec_b32 s6, s0
	s_cbranch_execz .LBB56_78
; %bb.77:
	s_delay_alu instid0(VALU_DEP_2) | instskip(NEXT) | instid1(VALU_DEP_1)
	v_add_co_u32 v0, s1, s1, v72
	v_add_co_ci_u32_e64 v9, s1, s5, v73, s1
	v_mov_b32_e32 v11, 0
	s_delay_alu instid0(VALU_DEP_3) | instskip(NEXT) | instid1(VALU_DEP_1)
	v_add_co_u32 v0, s1, v0, v110
	v_add_co_ci_u32_e64 v9, s1, 0, v9, s1
	v_cmp_gt_i32_e64 s1, s12, v99
	ds_store_2addr_b32 v98, v11, v11 offset0:1 offset1:2
	ds_store_2addr_b32 v98, v11, v11 offset1:3
	v_cndmask_b32_e64 v10, s11, v9, s1
	v_cndmask_b32_e64 v9, v98, v0, s1
	flat_load_b128 v[9:12], v[9:10]
	s_waitcnt vmcnt(0) lgkmcnt(0)
	ds_store_b128 v100, v[9:12]
.LBB56_78:
	s_or_b32 exec_lo, exec_lo, s6
	v_dual_sub_f32 v0, v1, v5 :: v_dual_sub_f32 v115, v3, v7
	v_sub_f32_e32 v114, v2, v6
	v_sub_f32_e32 v116, v4, v8
	s_waitcnt lgkmcnt(0)
	s_waitcnt_vscnt null, 0x0
	v_mul_f32_e32 v1, 0x3fb8aa3b, v0
	v_mul_f32_e32 v3, 0x3fb8aa3b, v115
	v_cmp_ngt_f32_e64 s5, 0xc2ce8ed0, v0
	v_cmp_nlt_f32_e64 s1, 0x42b17218, v0
	s_barrier
	v_fma_f32 v9, 0x3fb8aa3b, v0, -v1
	v_rndne_f32_e32 v10, v1
	v_mul_f32_e32 v4, 0x3fb8aa3b, v116
	v_fma_f32 v13, 0x3fb8aa3b, v115, -v3
	v_rndne_f32_e32 v14, v3
	v_fmac_f32_e32 v9, 0x32a5705f, v0
	v_sub_f32_e32 v1, v1, v10
	v_mul_f32_e32 v2, 0x3fb8aa3b, v114
	v_rndne_f32_e32 v15, v4
	v_sub_f32_e32 v3, v3, v14
	v_cvt_i32_f32_e32 v10, v10
	v_add_f32_e32 v1, v1, v9
	v_fma_f32 v11, 0x3fb8aa3b, v114, -v2
	v_rndne_f32_e32 v12, v2
	v_fma_f32 v9, 0x3fb8aa3b, v116, -v4
	v_sub_f32_e32 v4, v4, v15
	v_exp_f32_e32 v1, v1
	s_delay_alu instid0(VALU_DEP_3) | instskip(NEXT) | instid1(VALU_DEP_3)
	v_dual_fmac_f32 v11, 0x32a5705f, v114 :: v_dual_sub_f32 v2, v2, v12
	v_fmac_f32_e32 v9, 0x32a5705f, v116
	v_fmac_f32_e32 v13, 0x32a5705f, v115
	v_add_nc_u32_e32 v0, 0x1000, v89
	v_cvt_i32_f32_e32 v119, v15
	v_add_f32_e32 v2, v2, v11
	v_add_f32_e32 v4, v4, v9
	;; [unrolled: 1-line block ×3, first 2 shown]
	v_cvt_i32_f32_e32 v9, v12
	v_ldexp_f32 v1, v1, v10
	v_exp_f32_e32 v2, v2
	v_cvt_i32_f32_e32 v11, v14
	v_exp_f32_e32 v3, v3
	v_exp_f32_e32 v117, v4
	v_cndmask_b32_e64 v4, 0, v1, s5
	v_add_nc_u32_e32 v1, 0x1400, v89
	buffer_gl0_inv
	ds_load_2addr_b64 v[57:60], v0 offset0:128 offset1:148
	ds_load_b128 v[61:64], v86
	ds_load_b128 v[49:52], v86 offset:16
	v_cmp_ngt_f32_e64 s5, 0xc2ce8ed0, v114
	v_cmp_ngt_f32_e64 s6, 0xc2ce8ed0, v115
	v_ldexp_f32 v113, v2, v9
	v_add_nc_u32_e32 v2, 0x1800, v89
	v_ldexp_f32 v118, v3, v11
	ds_load_b128 v[45:48], v86 offset:32
	ds_load_b128 v[37:40], v86 offset:48
	ds_load_2addr_b64 v[65:68], v0 offset0:168 offset1:188
	ds_load_2addr_b64 v[53:56], v0 offset0:208 offset1:228
	;; [unrolled: 1-line block ×5, first 2 shown]
	ds_load_b128 v[33:36], v86 offset:64
	ds_load_b128 v[25:28], v86 offset:80
	ds_load_2addr_b64 v[13:16], v2 offset0:112 offset1:132
	ds_load_2addr_b64 v[0:3], v2 offset0:152 offset1:172
	ds_load_b128 v[17:20], v86 offset:96
	ds_load_b128 v[9:12], v86 offset:112
	v_ldexp_f32 v117, v117, v119
	v_cmp_ngt_f32_e64 s7, 0xc2ce8ed0, v116
	s_or_b32 s8, s27, 16
	v_cndmask_b32_e64 v113, 0, v113, s5
	s_mul_hi_i32 s17, s8, s26
	s_mul_i32 s16, s8, s26
	v_cmp_nlt_f32_e64 s5, 0x42b17218, v114
	v_cndmask_b32_e64 v114, 0, v118, s6
	v_cmp_nlt_f32_e64 s6, 0x42b17218, v115
	v_cndmask_b32_e64 v115, 0, v117, s7
	v_cmp_nlt_f32_e64 s7, 0x42b17218, v116
	s_lshl_b64 s[16:17], s[16:17], 2
	s_waitcnt lgkmcnt(0)
	s_add_u32 s8, s20, s16
	s_addc_u32 s10, s21, s17
	s_add_i32 s12, s12, -16
	s_barrier
	buffer_gl0_inv
	s_and_saveexec_b32 s13, vcc_lo
	s_cbranch_execz .LBB56_80
; %bb.79:
	v_add_co_u32 v70, vcc_lo, s8, v70
	v_add_co_ci_u32_e32 v71, vcc_lo, s10, v71, vcc_lo
	s_delay_alu instid0(VALU_DEP_2) | instskip(NEXT) | instid1(VALU_DEP_2)
	v_add_co_u32 v70, vcc_lo, v70, v95
	v_add_co_ci_u32_e32 v71, vcc_lo, 0, v71, vcc_lo
	s_delay_alu instid0(VALU_DEP_2) | instskip(NEXT) | instid1(VALU_DEP_2)
	v_add_co_u32 v70, vcc_lo, 0x80, v70
	v_add_co_ci_u32_e32 v71, vcc_lo, 0, v71, vcc_lo
	v_cmp_gt_i32_e32 vcc_lo, s12, v108
	s_delay_alu instid0(VALU_DEP_2) | instskip(NEXT) | instid1(VALU_DEP_1)
	v_dual_mov_b32 v116, 0 :: v_dual_cndmask_b32 v71, s9, v71
	v_dual_mov_b32 v117, v116 :: v_dual_cndmask_b32 v70, 0, v70
	v_mov_b32_e32 v118, v116
	s_clause 0x1
	scratch_store_b32 off, v116, off
	scratch_store_b96 off, v[116:118], off offset:4
	flat_load_b128 v[116:119], v[70:71]
	s_waitcnt vmcnt(0) lgkmcnt(0)
	ds_store_b128 v109, v[116:119]
.LBB56_80:
	s_or_b32 exec_lo, exec_lo, s13
	v_cndmask_b32_e64 v4, 0x7f800000, v4, s1
	v_cndmask_b32_e64 v70, 0x7f800000, v113, s5
	;; [unrolled: 1-line block ×4, first 2 shown]
	s_and_saveexec_b32 s1, s0
	s_cbranch_execz .LBB56_82
; %bb.81:
	v_add_co_u32 v72, vcc_lo, s8, v72
	v_add_co_ci_u32_e32 v73, vcc_lo, s10, v73, vcc_lo
	s_delay_alu instid0(VALU_DEP_2) | instskip(NEXT) | instid1(VALU_DEP_2)
	v_add_co_u32 v72, vcc_lo, v72, v110
	v_add_co_ci_u32_e32 v73, vcc_lo, 0, v73, vcc_lo
	v_cmp_gt_i32_e32 vcc_lo, s12, v99
	s_delay_alu instid0(VALU_DEP_3) | instskip(NEXT) | instid1(VALU_DEP_3)
	v_dual_mov_b32 v99, 0 :: v_dual_cndmask_b32 v72, v98, v72
	v_cndmask_b32_e32 v73, s11, v73, vcc_lo
	ds_store_2addr_b32 v98, v99, v99 offset0:1 offset1:2
	ds_store_2addr_b32 v98, v99, v99 offset1:3
	flat_load_b128 v[113:116], v[72:73]
	s_waitcnt vmcnt(0) lgkmcnt(0)
	ds_store_b128 v100, v[113:116]
.LBB56_82:
	s_or_b32 exec_lo, exec_lo, s1
	v_cvt_f16_f32_e32 v72, v4
	v_cvt_f16_f32_e32 v99, v95
	;; [unrolled: 1-line block ×4, first 2 shown]
	v_pk_mul_f16 v100, v57, v61 op_sel_hi:[1,0]
	v_pk_mul_f16 v96, v72, v96 op_sel_hi:[0,1]
	v_pk_mul_f16 v108, v57, v61 op_sel:[0,1]
	v_pk_mul_f16 v109, v57, v62 op_sel_hi:[1,0]
	v_pk_mul_f16 v88, v99, v88 op_sel_hi:[0,1]
	;; [unrolled: 1-line block ×5, first 2 shown]
	v_pk_fma_f16 v72, v72, v94, v100 op_sel_hi:[0,1,1]
	v_pk_fma_f16 v73, v73, v92, v108 op_sel_hi:[0,1,1]
	v_pk_fma_f16 v90, v98, v90, v109 op_sel_hi:[0,1,1]
	v_pk_fma_f16 v57, v57, v62, v88 op_sel:[0,1,0]
	v_pk_fma_f16 v88, v58, v61, v96 op_sel_hi:[1,0,1]
	v_pk_fma_f16 v61, v58, v61, v93 op_sel:[0,1,0]
	v_pk_fma_f16 v91, v58, v62, v91 op_sel_hi:[1,0,1]
	;; [unrolled: 2-line block ×53, first 2 shown]
	v_dual_fmac_f32 v102, v105, v71 :: v_dual_add_nc_u32 v29, 0x1000, v89
	v_pk_fma_f16 v21, v16, v19, v17 op_sel:[0,1,0]
	v_pk_fma_f16 v23, v16, v20, v23 op_sel_hi:[1,0,1]
	v_pk_fma_f16 v25, v16, v20, v14 op_sel:[0,1,0]
	v_pk_fma_f16 v26, v0, v9, v18 op_sel_hi:[1,0,1]
	;; [unrolled: 2-line block ×4, first 2 shown]
	s_waitcnt lgkmcnt(0)
	s_waitcnt_vscnt null, 0x0
	s_barrier
	buffer_gl0_inv
	ds_load_2addr_b64 v[13:16], v29 offset0:128 offset1:148
	ds_load_b128 v[17:20], v86 offset:128
	v_pk_fma_f16 v9, v1, v9, v21 op_sel:[0,1,0]
	v_pk_fma_f16 v21, v1, v10, v23 op_sel_hi:[1,0,1]
	v_pk_fma_f16 v1, v1, v10, v25 op_sel:[0,1,0]
	v_pk_fma_f16 v30, v2, v11, v26 op_sel_hi:[1,0,1]
	v_pk_fma_f16 v31, v2, v11, v22 op_sel:[0,1,0]
	v_pk_fma_f16 v32, v2, v12, v24 op_sel_hi:[1,0,1]
	v_pk_fma_f16 v33, v2, v12, v0 op_sel:[0,1,0]
	v_pk_fma_f16 v34, v3, v11, v27 op_sel_hi:[1,0,1]
	v_pk_fma_f16 v35, v3, v11, v9 op_sel:[0,1,0]
	v_pk_fma_f16 v36, v3, v12, v21 op_sel_hi:[1,0,1]
	v_pk_fma_f16 v37, v3, v12, v1 op_sel:[0,1,0]
	ds_load_b128 v[0:3], v86 offset:144
	ds_load_2addr_b64 v[9:12], v29 offset0:168 offset1:188
	ds_load_b128 v[21:24], v86 offset:160
	ds_load_b128 v[25:28], v86 offset:176
	v_fmac_f32_e32 v103, v104, v95
	v_fmac_f32_e32 v101, v106, v70
	s_delay_alu instid0(VALU_DEP_2) | instskip(NEXT) | instid1(VALU_DEP_2)
	v_dual_mov_b32 v105, v102 :: v_dual_mov_b32 v104, v103
	v_dual_fmac_f32 v97, v107, v4 :: v_dual_mov_b32 v106, v101
	s_waitcnt lgkmcnt(4)
	v_pk_fma_f16 v4, v13, v17, v30 op_sel_hi:[1,0,1]
	v_pk_fma_f16 v30, v13, v17, v31 op_sel:[0,1,0]
	v_pk_fma_f16 v31, v13, v18, v32 op_sel_hi:[1,0,1]
	v_pk_fma_f16 v13, v13, v18, v33 op_sel:[0,1,0]
	;; [unrolled: 2-line block ×7, first 2 shown]
	v_pk_fma_f16 v19, v16, v20, v33 op_sel_hi:[1,0,1]
	ds_load_2addr_b64 v[29:32], v29 offset0:208 offset1:228
	v_pk_fma_f16 v14, v16, v20, v14 op_sel:[0,1,0]
	s_waitcnt lgkmcnt(3)
	v_pk_fma_f16 v4, v9, v0, v4 op_sel_hi:[1,0,1]
	v_pk_fma_f16 v16, v9, v0, v18 op_sel:[0,1,0]
	v_pk_fma_f16 v18, v9, v1, v34 op_sel_hi:[1,0,1]
	v_pk_fma_f16 v9, v9, v1, v13 op_sel:[0,1,0]
	;; [unrolled: 2-line block ×6, first 2 shown]
	v_add_nc_u32_e32 v11, 0x1400, v89
	v_pk_fma_f16 v13, v12, v2, v13 op_sel_hi:[1,0,1]
	v_pk_fma_f16 v16, v12, v2, v0 op_sel:[0,1,0]
	v_pk_fma_f16 v15, v12, v3, v15 op_sel_hi:[1,0,1]
	v_pk_fma_f16 v12, v12, v3, v1 op_sel:[0,1,0]
	ds_load_2addr_b64 v[0:3], v11 offset0:120 offset1:140
	s_waitcnt lgkmcnt(1)
	v_pk_fma_f16 v4, v29, v21, v4 op_sel_hi:[1,0,1]
	v_pk_fma_f16 v10, v29, v21, v10 op_sel:[0,1,0]
	v_pk_fma_f16 v11, v29, v22, v14 op_sel_hi:[1,0,1]
	v_pk_fma_f16 v9, v29, v22, v9 op_sel:[0,1,0]
	;; [unrolled: 2-line block ×3, first 2 shown]
	v_pk_fma_f16 v15, v30, v22, v15 op_sel_hi:[1,0,1]
	v_add_nc_u32_e32 v29, 0x1800, v89
	v_pk_fma_f16 v17, v30, v22, v12 op_sel:[0,1,0]
	v_pk_fma_f16 v4, v31, v23, v4 op_sel_hi:[1,0,1]
	v_pk_fma_f16 v18, v31, v23, v10 op_sel:[0,1,0]
	v_pk_fma_f16 v19, v31, v24, v11 op_sel_hi:[1,0,1]
	;; [unrolled: 2-line block ×4, first 2 shown]
	ds_load_2addr_b64 v[9:12], v29 offset0:32 offset1:52
	ds_load_b128 v[13:16], v86 offset:192
	v_pk_fma_f16 v17, v32, v24, v17 op_sel:[0,1,0]
	v_mov_b32_e32 v107, v97
	s_waitcnt lgkmcnt(2)
	v_pk_fma_f16 v4, v0, v25, v4 op_sel_hi:[1,0,1]
	v_pk_fma_f16 v18, v0, v25, v18 op_sel:[0,1,0]
	v_pk_fma_f16 v19, v0, v26, v19 op_sel_hi:[1,0,1]
	v_pk_fma_f16 v0, v0, v26, v20 op_sel:[0,1,0]
	;; [unrolled: 2-line block ×7, first 2 shown]
	v_pk_fma_f16 v30, v3, v28, v22 op_sel_hi:[1,0,1]
	ds_load_2addr_b64 v[17:20], v29 offset0:72 offset1:92
	ds_load_b128 v[21:24], v86 offset:208
	v_pk_fma_f16 v1, v3, v28, v1 op_sel:[0,1,0]
	s_waitcnt lgkmcnt(2)
	v_pk_fma_f16 v3, v9, v13, v4 op_sel_hi:[1,0,1]
	v_pk_fma_f16 v4, v9, v13, v25 op_sel:[0,1,0]
	v_pk_fma_f16 v25, v9, v14, v26 op_sel_hi:[1,0,1]
	v_pk_fma_f16 v0, v9, v14, v0 op_sel:[0,1,0]
	;; [unrolled: 2-line block ×6, first 2 shown]
	v_pk_fma_f16 v31, v12, v15, v2 op_sel_hi:[1,0,1]
	ds_load_2addr_b64 v[0:3], v29 offset0:112 offset1:132
	ds_load_b128 v[25:28], v86 offset:224
	v_pk_fma_f16 v9, v12, v15, v9 op_sel:[0,1,0]
	v_pk_fma_f16 v13, v12, v16, v13 op_sel_hi:[1,0,1]
	v_pk_fma_f16 v10, v12, v16, v10 op_sel:[0,1,0]
	s_waitcnt lgkmcnt(2)
	v_pk_fma_f16 v12, v17, v21, v14 op_sel_hi:[1,0,1]
	v_pk_fma_f16 v4, v17, v21, v4 op_sel:[0,1,0]
	v_pk_fma_f16 v14, v17, v22, v30 op_sel_hi:[1,0,1]
	v_pk_fma_f16 v11, v17, v22, v11 op_sel:[0,1,0]
	;; [unrolled: 2-line block ×6, first 2 shown]
	v_pk_fma_f16 v31, v20, v23, v15 op_sel_hi:[1,0,1]
	ds_load_2addr_b64 v[9:12], v29 offset0:152 offset1:172
	ds_load_b128 v[13:16], v86 offset:240
	v_pk_fma_f16 v17, v20, v23, v17 op_sel:[0,1,0]
	v_pk_fma_f16 v21, v20, v24, v21 op_sel_hi:[1,0,1]
	v_pk_fma_f16 v18, v20, v24, v18 op_sel:[0,1,0]
	s_waitcnt lgkmcnt(2)
	v_pk_fma_f16 v20, v0, v25, v22 op_sel_hi:[1,0,1]
	v_pk_fma_f16 v4, v0, v25, v4 op_sel:[0,1,0]
	v_pk_fma_f16 v22, v0, v26, v30 op_sel_hi:[1,0,1]
	v_pk_fma_f16 v0, v0, v26, v19 op_sel:[0,1,0]
	;; [unrolled: 2-line block ×7, first 2 shown]
	v_pk_fma_f16 v17, v3, v27, v17 op_sel:[0,1,0]
	v_pk_fma_f16 v19, v3, v28, v21 op_sel_hi:[1,0,1]
	s_waitcnt lgkmcnt(0)
	v_pk_fma_f16 v3, v9, v13, v18 op_sel_hi:[1,0,1]
	v_pk_fma_f16 v4, v9, v13, v4 op_sel:[0,1,0]
	v_pk_fma_f16 v2, v10, v13, v2 op_sel_hi:[1,0,1]
	v_pk_fma_f16 v1, v10, v14, v1 op_sel:[0,1,0]
	;; [unrolled: 2-line block ×3, first 2 shown]
	v_pk_fma_f16 v9, v10, v13, v17 op_sel:[0,1,0]
	v_pk_fma_f16 v13, v10, v14, v19 op_sel_hi:[1,0,1]
	v_pk_fma_f16 v94, v11, v15, v3 op_sel_hi:[1,0,1]
	v_pk_fma_f16 v92, v11, v15, v4 op_sel:[0,1,0]
	v_pk_fma_f16 v96, v12, v15, v2 op_sel_hi:[1,0,1]
	v_pk_fma_f16 v87, v12, v16, v1 op_sel:[0,1,0]
	v_dual_mov_b32 v1, v5 :: v_dual_mov_b32 v4, v8
	v_pk_fma_f16 v90, v11, v16, v18 op_sel_hi:[1,0,1]
	v_pk_fma_f16 v88, v11, v16, v0 op_sel:[0,1,0]
	v_pk_fma_f16 v93, v12, v15, v9 op_sel:[0,1,0]
	v_pk_fma_f16 v91, v12, v16, v13 op_sel_hi:[1,0,1]
	v_dual_mov_b32 v2, v6 :: v_dual_mov_b32 v3, v7
	v_mov_b32_e32 v5, v85
	s_barrier
	buffer_gl0_inv
.LBB56_83:
	v_cmp_lt_i32_e32 vcc_lo, v112, v74
	s_cmp_eq_u64 s[24:25], 0
	s_cselect_b32 s0, -1, 0
	s_cmp_lg_u32 s14, 0
	v_cndmask_b32_e32 v0, v5, v112, vcc_lo
	v_cmp_lt_i32_e32 vcc_lo, v111, v74
	s_cselect_b32 s1, -1, 0
	s_delay_alu instid0(SALU_CYCLE_1) | instskip(SKIP_2) | instid1(VALU_DEP_2)
	s_or_b32 s0, s1, s0
	v_cndmask_b32_e32 v9, v5, v111, vcc_lo
	v_cmp_lt_i32_e32 vcc_lo, v77, v74
	v_lshlrev_b32_e32 v9, 2, v9
	v_dual_cndmask_b32 v13, v5, v77 :: v_dual_lshlrev_b32 v0, 2, v0
	v_cmp_lt_i32_e32 vcc_lo, v76, v74
	ds_bpermute_b32 v7, v0, v106
	v_lshlrev_b32_e32 v13, 2, v13
	s_waitcnt lgkmcnt(0)
	v_add_f32_e32 v7, v106, v7
	ds_bpermute_b32 v6, v0, v107
	ds_bpermute_b32 v8, v0, v105
	;; [unrolled: 1-line block ×4, first 2 shown]
	s_waitcnt lgkmcnt(3)
	v_add_f32_e32 v6, v107, v6
	s_waitcnt lgkmcnt(2)
	v_add_f32_e32 v8, v105, v8
	s_waitcnt lgkmcnt(0)
	v_dual_add_f32 v0, v104, v0 :: v_dual_add_f32 v7, v7, v11
	ds_bpermute_b32 v10, v9, v6
	ds_bpermute_b32 v12, v9, v8
	;; [unrolled: 1-line block ×3, first 2 shown]
	s_waitcnt lgkmcnt(2)
	v_add_f32_e32 v6, v6, v10
	s_waitcnt lgkmcnt(1)
	v_add_f32_e32 v8, v8, v12
	;; [unrolled: 2-line block ×3, first 2 shown]
	ds_bpermute_b32 v10, v13, v7
	ds_bpermute_b32 v9, v13, v6
	;; [unrolled: 1-line block ×4, first 2 shown]
	v_cndmask_b32_e32 v13, v5, v76, vcc_lo
	v_cmp_lt_i32_e32 vcc_lo, v75, v74
	s_delay_alu instid0(VALU_DEP_2) | instskip(SKIP_2) | instid1(VALU_DEP_1)
	v_lshlrev_b32_e32 v13, 2, v13
	v_cndmask_b32_e32 v5, v5, v75, vcc_lo
	s_and_b32 vcc_lo, exec_lo, s0
	v_lshlrev_b32_e32 v5, 2, v5
	s_waitcnt lgkmcnt(2)
	v_dual_add_f32 v7, v7, v10 :: v_dual_add_f32 v6, v6, v9
	s_waitcnt lgkmcnt(1)
	v_add_f32_e32 v8, v8, v11
	s_waitcnt lgkmcnt(0)
	v_add_f32_e32 v0, v0, v12
	ds_bpermute_b32 v10, v13, v7
	ds_bpermute_b32 v9, v13, v6
	;; [unrolled: 1-line block ×4, first 2 shown]
	s_waitcnt lgkmcnt(2)
	v_dual_add_f32 v7, v7, v10 :: v_dual_add_f32 v6, v6, v9
	s_waitcnt lgkmcnt(0)
	v_add_f32_e32 v0, v0, v12
	ds_bpermute_b32 v10, v5, v7
	ds_bpermute_b32 v9, v5, v6
	v_add_f32_e32 v8, v8, v11
	ds_bpermute_b32 v12, v5, v0
	ds_bpermute_b32 v11, v5, v8
	s_waitcnt lgkmcnt(2)
	v_dual_add_f32 v5, v6, v9 :: v_dual_add_f32 v6, v7, v10
	s_waitcnt lgkmcnt(0)
	v_add_f32_e32 v7, v8, v11
	v_add_f32_e32 v8, v0, v12
	s_cbranch_vccnz .LBB56_86
; %bb.84:
	s_lshl_b64 s[0:1], s[22:23], 2
	v_dual_mov_b32 v0, 0 :: v_dual_max_f32 v9, v1, v1
	s_add_u32 s0, s24, s0
	s_addc_u32 s1, s25, s1
	v_max_f32_e32 v11, v2, v2
	global_load_b32 v0, v0, s[0:1]
	s_waitcnt vmcnt(0)
	v_max_f32_e32 v10, v0, v0
	s_delay_alu instid0(VALU_DEP_1) | instskip(SKIP_1) | instid1(VALU_DEP_2)
	v_dual_max_f32 v12, v3, v3 :: v_dual_max_f32 v13, v9, v10
	v_max_f32_e32 v16, v4, v4
	v_dual_max_f32 v14, v11, v10 :: v_dual_sub_f32 v9, v0, v13
	v_sub_f32_e32 v1, v1, v13
	s_delay_alu instid0(VALU_DEP_4) | instskip(NEXT) | instid1(VALU_DEP_3)
	v_max_f32_e32 v15, v12, v10
	v_mul_f32_e32 v17, 0x3fb8aa3b, v9
	s_delay_alu instid0(VALU_DEP_3) | instskip(NEXT) | instid1(VALU_DEP_3)
	v_mul_f32_e32 v12, 0x3fb8aa3b, v1
	v_dual_max_f32 v16, v16, v10 :: v_dual_sub_f32 v3, v3, v15
	v_dual_sub_f32 v2, v2, v14 :: v_dual_sub_f32 v11, v0, v15
	v_sub_f32_e32 v10, v0, v14
	s_delay_alu instid0(VALU_DEP_3)
	v_sub_f32_e32 v4, v4, v16
	v_sub_f32_e32 v0, v0, v16
	v_fma_f32 v24, 0x3fb8aa3b, v1, -v12
	v_mul_f32_e32 v21, 0x3fb8aa3b, v11
	v_mul_f32_e32 v19, 0x3fb8aa3b, v10
	v_rndne_f32_e32 v25, v12
	v_dual_mul_f32 v18, 0x3fb8aa3b, v2 :: v_dual_mul_f32 v23, 0x3fb8aa3b, v0
	v_fma_f32 v26, 0x3fb8aa3b, v9, -v17
	v_rndne_f32_e32 v27, v17
	v_rndne_f32_e32 v31, v19
	;; [unrolled: 1-line block ×3, first 2 shown]
	v_fmac_f32_e32 v24, 0x32a5705f, v1
	v_sub_f32_e32 v12, v12, v25
	v_dual_mul_f32 v22, 0x3fb8aa3b, v4 :: v_dual_sub_f32 v17, v17, v27
	v_fma_f32 v30, 0x3fb8aa3b, v10, -v19
	v_fma_f32 v34, 0x3fb8aa3b, v11, -v21
	v_rndne_f32_e32 v39, v23
	v_dual_fmac_f32 v26, 0x32a5705f, v9 :: v_dual_sub_f32 v19, v19, v31
	v_dual_sub_f32 v21, v21, v35 :: v_dual_add_f32 v12, v12, v24
	v_fma_f32 v38, 0x3fb8aa3b, v0, -v23
	s_delay_alu instid0(VALU_DEP_4) | instskip(NEXT) | instid1(VALU_DEP_4)
	v_sub_f32_e32 v23, v23, v39
	v_dual_mul_f32 v20, 0x3fb8aa3b, v3 :: v_dual_add_f32 v17, v17, v26
	s_delay_alu instid0(VALU_DEP_4)
	v_exp_f32_e32 v12, v12
	v_cvt_i32_f32_e32 v25, v25
	v_fma_f32 v28, 0x3fb8aa3b, v2, -v18
	v_rndne_f32_e32 v29, v18
	v_exp_f32_e32 v17, v17
	v_cvt_i32_f32_e32 v27, v27
	v_cmp_ngt_f32_e32 vcc_lo, 0xc2ce8ed0, v1
	v_rndne_f32_e32 v33, v20
	v_fmac_f32_e32 v30, 0x32a5705f, v10
	v_sub_f32_e32 v18, v18, v29
	v_ldexp_f32 v12, v12, v25
	v_fmac_f32_e32 v38, 0x32a5705f, v0
	v_fma_f32 v32, 0x3fb8aa3b, v3, -v20
	v_sub_f32_e32 v20, v20, v33
	v_ldexp_f32 v17, v17, v27
	v_cndmask_b32_e32 v12, 0, v12, vcc_lo
	v_cmp_ngt_f32_e32 vcc_lo, 0xc2ce8ed0, v9
	v_fmac_f32_e32 v28, 0x32a5705f, v2
	v_add_f32_e32 v19, v19, v30
	v_dual_add_f32 v23, v23, v38 :: v_dual_fmac_f32 v34, 0x32a5705f, v11
	s_delay_alu instid0(VALU_DEP_3) | instskip(SKIP_1) | instid1(VALU_DEP_3)
	v_dual_cndmask_b32 v17, 0, v17 :: v_dual_add_f32 v18, v18, v28
	v_fmac_f32_e32 v32, 0x32a5705f, v3
	v_exp_f32_e32 v23, v23
	s_delay_alu instid0(VALU_DEP_3)
	v_add_f32_e32 v21, v21, v34
	v_fma_f32 v36, 0x3fb8aa3b, v4, -v22
	v_exp_f32_e32 v18, v18
	v_rndne_f32_e32 v37, v22
	v_cvt_i32_f32_e32 v29, v29
	v_add_f32_e32 v20, v20, v32
	v_exp_f32_e32 v19, v19
	v_cvt_i32_f32_e32 v26, v39
	v_cvt_i32_f32_e32 v31, v31
	v_sub_f32_e32 v22, v22, v37
	v_exp_f32_e32 v20, v20
	v_cmp_ngt_f32_e32 vcc_lo, 0xc2ce8ed0, v2
	v_ldexp_f32 v18, v18, v29
	v_ldexp_f32 v23, v23, v26
	v_fmac_f32_e32 v36, 0x32a5705f, v4
	v_cvt_i32_f32_e32 v33, v33
	v_exp_f32_e32 v21, v21
	v_ldexp_f32 v19, v19, v31
	v_cndmask_b32_e32 v18, 0, v18, vcc_lo
	v_add_f32_e32 v22, v22, v36
	v_cmp_ngt_f32_e32 vcc_lo, 0xc2ce8ed0, v10
	v_cvt_i32_f32_e32 v35, v35
	v_ldexp_f32 v20, v20, v33
	v_cvt_i32_f32_e32 v24, v37
	v_exp_f32_e32 v22, v22
	v_cndmask_b32_e32 v19, 0, v19, vcc_lo
	v_cmp_ngt_f32_e32 vcc_lo, 0xc2ce8ed0, v3
	v_ldexp_f32 v21, v21, v35
	v_cndmask_b32_e32 v20, 0, v20, vcc_lo
	v_cmp_ngt_f32_e32 vcc_lo, 0xc2ce8ed0, v11
	s_waitcnt_depctr 0xfff
	v_ldexp_f32 v22, v22, v24
	v_cndmask_b32_e32 v21, 0, v21, vcc_lo
	v_cmp_ngt_f32_e32 vcc_lo, 0xc2ce8ed0, v4
	s_delay_alu instid0(VALU_DEP_3)
	v_cndmask_b32_e32 v22, 0, v22, vcc_lo
	v_cmp_ngt_f32_e32 vcc_lo, 0xc2ce8ed0, v0
	v_cndmask_b32_e32 v23, 0, v23, vcc_lo
	v_cmp_nlt_f32_e32 vcc_lo, 0x42b17218, v1
	v_cndmask_b32_e32 v1, 0x7f800000, v12, vcc_lo
	v_cmp_nlt_f32_e32 vcc_lo, 0x42b17218, v9
	;; [unrolled: 2-line block ×3, first 2 shown]
	s_delay_alu instid0(VALU_DEP_2) | instskip(SKIP_3) | instid1(VALU_DEP_2)
	v_dual_fmac_f32 v9, v5, v1 :: v_dual_cndmask_b32 v2, 0x7f800000, v18
	v_cmp_nlt_f32_e32 vcc_lo, 0x42b17218, v10
	v_cndmask_b32_e32 v10, 0x7f800000, v19, vcc_lo
	v_cmp_nlt_f32_e32 vcc_lo, 0x42b17218, v3
	v_dual_fmac_f32 v10, v6, v2 :: v_dual_cndmask_b32 v3, 0x7f800000, v20
	v_cmp_nlt_f32_e32 vcc_lo, 0x42b17218, v11
	v_cndmask_b32_e32 v11, 0x7f800000, v21, vcc_lo
	v_cmp_nlt_f32_e32 vcc_lo, 0x42b17218, v4
	s_delay_alu instid0(VALU_DEP_2)
	v_dual_fmac_f32 v11, v7, v3 :: v_dual_cndmask_b32 v4, 0x7f800000, v22
	v_cmp_nlt_f32_e32 vcc_lo, 0x42b17218, v0
	v_cvt_f16_f32_e32 v0, v1
	v_cvt_f16_f32_e32 v1, v2
	;; [unrolled: 1-line block ×4, first 2 shown]
	v_cndmask_b32_e32 v12, 0x7f800000, v23, vcc_lo
	v_pk_mul_f16 v94, v0, v94 op_sel_hi:[0,1]
	v_pk_mul_f16 v92, v1, v92 op_sel_hi:[0,1]
	;; [unrolled: 1-line block ×4, first 2 shown]
	v_fmac_f32_e32 v12, v8, v4
	v_pk_mul_f16 v91, v2, v91 op_sel_hi:[0,1]
	v_pk_mul_f16 v88, v3, v88 op_sel_hi:[0,1]
	v_pk_mul_f16 v87, v3, v87 op_sel_hi:[0,1]
	v_mov_b32_e32 v5, v9
	v_mov_b32_e32 v1, v13
	v_pk_mul_f16 v96, v0, v96 op_sel_hi:[0,1]
	v_dual_mov_b32 v6, v10 :: v_dual_mov_b32 v7, v11
	v_mov_b32_e32 v8, v12
	v_dual_mov_b32 v2, v14 :: v_dual_mov_b32 v3, v15
	v_mov_b32_e32 v4, v16
	s_mov_b32 s0, exec_lo
	v_cmpx_gt_i32_e64 s38, v84
	s_cbranch_execnz .LBB56_87
.LBB56_85:
	s_nop 0
	s_sendmsg sendmsg(MSG_DEALLOC_VGPRS)
	s_endpgm
.LBB56_86:
	v_dual_mov_b32 v9, v5 :: v_dual_mov_b32 v10, v6
	s_delay_alu instid0(VALU_DEP_2)
	v_dual_mov_b32 v11, v7 :: v_dual_mov_b32 v12, v8
	s_mov_b32 s0, exec_lo
	v_cmpx_gt_i32_e64 s38, v84
	s_cbranch_execz .LBB56_85
.LBB56_87:
	s_load_b32 s0, s[2:3], 0xd4
	v_mov_b32_e32 v0, 1.0
	s_waitcnt lgkmcnt(0)
	s_cmp_lg_u32 s0, 1
	s_cselect_b32 s2, -1, 0
	s_cmp_eq_u32 s0, 1
	s_cselect_b32 s3, -1, 0
	s_and_b32 vcc_lo, exec_lo, s2
	s_cbranch_vccnz .LBB56_89
; %bb.88:
	v_div_scale_f32 v0, null, v9, v9, 1.0
	s_delay_alu instid0(VALU_DEP_1) | instskip(SKIP_2) | instid1(VALU_DEP_1)
	v_rcp_f32_e32 v13, v0
	s_waitcnt_depctr 0xfff
	v_fma_f32 v14, -v0, v13, 1.0
	v_fmac_f32_e32 v13, v14, v13
	v_div_scale_f32 v14, vcc_lo, 1.0, v9, 1.0
	s_delay_alu instid0(VALU_DEP_1) | instskip(NEXT) | instid1(VALU_DEP_1)
	v_mul_f32_e32 v15, v14, v13
	v_fma_f32 v16, -v0, v15, v14
	s_delay_alu instid0(VALU_DEP_1) | instskip(NEXT) | instid1(VALU_DEP_1)
	v_fmac_f32_e32 v15, v16, v13
	v_fma_f32 v0, -v0, v15, v14
	s_delay_alu instid0(VALU_DEP_1) | instskip(NEXT) | instid1(VALU_DEP_1)
	v_div_fmas_f32 v0, v0, v13, v15
	v_div_fixup_f32 v0, v0, v9, 1.0
.LBB56_89:
	s_mul_i32 s1, s33, s38
	s_delay_alu instid0(SALU_CYCLE_1) | instskip(NEXT) | instid1(SALU_CYCLE_1)
	s_add_i32 s1, s1, s41
	v_add_nc_u32_e32 v9, s1, v83
	s_delay_alu instid0(VALU_DEP_1) | instskip(NEXT) | instid1(VALU_DEP_1)
	v_mad_u64_u32 v[15:16], null, v9, s39, s[22:23]
	v_mad_u64_u32 v[13:14], null, s0, v15, s[14:15]
	s_and_saveexec_b32 s5, s4
	s_cbranch_execz .LBB56_91
; %bb.90:
	s_delay_alu instid0(VALU_DEP_1)
	v_mad_u64_u32 v[14:15], null, 0x50, v13, v[69:70]
	v_lshrrev_b32_e32 v16, 16, v94
	v_cvt_f32_f16_e32 v20, v96
	v_mov_b32_e32 v15, 0
	v_lshrrev_b32_e32 v9, 16, v96
	v_cvt_f32_f16_e32 v22, v94
	v_cvt_f32_f16_e32 v21, v16
	v_mul_f32_e32 v16, v0, v20
	v_lshlrev_b64 v[18:19], 2, v[14:15]
	v_cvt_f32_f16_e32 v9, v9
	v_mul_f32_e32 v14, v0, v22
	v_mul_f32_e32 v15, v0, v21
	s_delay_alu instid0(VALU_DEP_3)
	v_mul_f32_e32 v17, v0, v9
	v_add_co_u32 v18, vcc_lo, s28, v18
	v_add_co_ci_u32_e32 v19, vcc_lo, s29, v19, vcc_lo
	global_store_b128 v[18:19], v[14:17], off
.LBB56_91:
	s_or_b32 exec_lo, exec_lo, s5
	v_cmp_eq_u32_e32 vcc_lo, 0, v80
	s_and_b32 s2, vcc_lo, s2
	s_delay_alu instid0(SALU_CYCLE_1)
	s_and_saveexec_b32 s5, s2
	s_cbranch_execz .LBB56_93
; %bb.92:
	v_ashrrev_i32_e32 v14, 31, v13
	v_mov_b32_e32 v0, v1
	v_mov_b32_e32 v1, v5
	s_delay_alu instid0(VALU_DEP_3) | instskip(NEXT) | instid1(VALU_DEP_1)
	v_lshlrev_b64 v[13:14], 3, v[13:14]
	v_add_co_u32 v13, vcc_lo, s30, v13
	s_delay_alu instid0(VALU_DEP_2)
	v_add_co_ci_u32_e32 v14, vcc_lo, s31, v14, vcc_lo
	global_store_b64 v[13:14], v[0:1], off
.LBB56_93:
	s_or_b32 exec_lo, exec_lo, s5
	v_cmp_gt_i32_e32 vcc_lo, s38, v82
	s_and_b32 exec_lo, exec_lo, vcc_lo
	s_cbranch_execz .LBB56_85
; %bb.94:
	v_cndmask_b32_e64 v9, 0, 1, s3
	v_mov_b32_e32 v5, 1.0
	s_and_not1_b32 vcc_lo, exec_lo, s3
	s_cbranch_vccnz .LBB56_96
; %bb.95:
	v_div_scale_f32 v0, null, v10, v10, 1.0
	s_delay_alu instid0(VALU_DEP_1) | instskip(SKIP_2) | instid1(VALU_DEP_1)
	v_rcp_f32_e32 v1, v0
	s_waitcnt_depctr 0xfff
	v_fma_f32 v5, -v0, v1, 1.0
	v_fmac_f32_e32 v1, v5, v1
	v_div_scale_f32 v5, vcc_lo, 1.0, v10, 1.0
	s_delay_alu instid0(VALU_DEP_1) | instskip(NEXT) | instid1(VALU_DEP_1)
	v_mul_f32_e32 v13, v5, v1
	v_fma_f32 v14, -v0, v13, v5
	s_delay_alu instid0(VALU_DEP_1) | instskip(NEXT) | instid1(VALU_DEP_1)
	v_fmac_f32_e32 v13, v14, v1
	v_fma_f32 v0, -v0, v13, v5
	s_delay_alu instid0(VALU_DEP_1) | instskip(NEXT) | instid1(VALU_DEP_1)
	v_div_fmas_f32 v0, v0, v1, v13
	v_div_fixup_f32 v5, v0, v10, 1.0
.LBB56_96:
	v_add_nc_u32_e32 v0, s1, v81
	s_delay_alu instid0(VALU_DEP_1) | instskip(NEXT) | instid1(VALU_DEP_1)
	v_mad_u64_u32 v[13:14], null, v0, s39, s[22:23]
	v_mad_u64_u32 v[0:1], null, s0, v13, s[14:15]
	s_and_saveexec_b32 s3, s4
	s_cbranch_execz .LBB56_98
; %bb.97:
	s_delay_alu instid0(VALU_DEP_1)
	v_mad_u64_u32 v[13:14], null, 0x50, v0, v[69:70]
	v_cvt_f32_f16_e32 v15, v93
	v_mov_b32_e32 v14, 0
	v_lshrrev_b32_e32 v1, 16, v93
	v_lshrrev_b32_e32 v10, 16, v92
	v_cvt_f32_f16_e32 v19, v92
	v_mul_f32_e32 v15, v5, v15
	v_lshlrev_b64 v[17:18], 2, v[13:14]
	v_cvt_f32_f16_e32 v1, v1
	v_cvt_f32_f16_e32 v10, v10
	v_mul_f32_e32 v13, v5, v19
	s_delay_alu instid0(VALU_DEP_3) | instskip(SKIP_1) | instid1(VALU_DEP_4)
	v_mul_f32_e32 v16, v5, v1
	v_add_co_u32 v17, vcc_lo, s28, v17
	v_mul_f32_e32 v14, v5, v10
	v_add_co_ci_u32_e32 v18, vcc_lo, s29, v18, vcc_lo
	global_store_b128 v[17:18], v[13:16], off
.LBB56_98:
	s_or_b32 exec_lo, exec_lo, s3
	s_and_saveexec_b32 s3, s2
	s_cbranch_execz .LBB56_100
; %bb.99:
	s_delay_alu instid0(VALU_DEP_1) | instskip(SKIP_1) | instid1(VALU_DEP_2)
	v_ashrrev_i32_e32 v1, 31, v0
	v_mov_b32_e32 v5, v2
	v_lshlrev_b64 v[0:1], 3, v[0:1]
	s_delay_alu instid0(VALU_DEP_1) | instskip(NEXT) | instid1(VALU_DEP_2)
	v_add_co_u32 v0, vcc_lo, s30, v0
	v_add_co_ci_u32_e32 v1, vcc_lo, s31, v1, vcc_lo
	global_store_b64 v[0:1], v[5:6], off
.LBB56_100:
	s_or_b32 exec_lo, exec_lo, s3
	v_add_nc_u32_e32 v0, s41, v79
	s_delay_alu instid0(VALU_DEP_1)
	v_cmp_gt_i32_e32 vcc_lo, s38, v0
	s_and_b32 exec_lo, exec_lo, vcc_lo
	s_cbranch_execz .LBB56_85
; %bb.101:
	v_cmp_ne_u32_e32 vcc_lo, 1, v9
	v_mov_b32_e32 v2, 1.0
	s_cbranch_vccnz .LBB56_103
; %bb.102:
	v_div_scale_f32 v0, null, v11, v11, 1.0
	s_delay_alu instid0(VALU_DEP_1) | instskip(SKIP_2) | instid1(VALU_DEP_1)
	v_rcp_f32_e32 v1, v0
	s_waitcnt_depctr 0xfff
	v_fma_f32 v2, -v0, v1, 1.0
	v_fmac_f32_e32 v1, v2, v1
	v_div_scale_f32 v2, vcc_lo, 1.0, v11, 1.0
	s_delay_alu instid0(VALU_DEP_1) | instskip(NEXT) | instid1(VALU_DEP_1)
	v_mul_f32_e32 v5, v2, v1
	v_fma_f32 v6, -v0, v5, v2
	s_delay_alu instid0(VALU_DEP_1) | instskip(NEXT) | instid1(VALU_DEP_1)
	v_fmac_f32_e32 v5, v6, v1
	v_fma_f32 v0, -v0, v5, v2
	s_delay_alu instid0(VALU_DEP_1) | instskip(NEXT) | instid1(VALU_DEP_1)
	v_div_fmas_f32 v0, v0, v1, v5
	v_div_fixup_f32 v2, v0, v11, 1.0
.LBB56_103:
	v_add_nc_u32_e32 v0, s1, v79
	s_delay_alu instid0(VALU_DEP_1) | instskip(NEXT) | instid1(VALU_DEP_1)
	v_mad_u64_u32 v[5:6], null, v0, s39, s[22:23]
	v_mad_u64_u32 v[0:1], null, s0, v5, s[14:15]
	s_and_saveexec_b32 s3, s4
	s_cbranch_execz .LBB56_105
; %bb.104:
	s_delay_alu instid0(VALU_DEP_1)
	v_mad_u64_u32 v[5:6], null, 0x50, v0, v[69:70]
	v_cvt_f32_f16_e32 v11, v91
	v_mov_b32_e32 v6, 0
	v_lshrrev_b32_e32 v1, 16, v91
	v_lshrrev_b32_e32 v10, 16, v90
	v_cvt_f32_f16_e32 v13, v90
	v_mul_f32_e32 v15, v2, v11
	v_lshlrev_b64 v[5:6], 2, v[5:6]
	v_cvt_f32_f16_e32 v1, v1
	v_cvt_f32_f16_e32 v10, v10
	v_mul_f32_e32 v13, v2, v13
	s_delay_alu instid0(VALU_DEP_3) | instskip(SKIP_1) | instid1(VALU_DEP_4)
	v_mul_f32_e32 v16, v2, v1
	v_add_co_u32 v1, vcc_lo, s28, v5
	v_mul_f32_e32 v14, v2, v10
	v_add_co_ci_u32_e32 v2, vcc_lo, s29, v6, vcc_lo
	global_store_b128 v[1:2], v[13:16], off
.LBB56_105:
	s_or_b32 exec_lo, exec_lo, s3
	s_and_saveexec_b32 s3, s2
	s_cbranch_execz .LBB56_107
; %bb.106:
	s_delay_alu instid0(VALU_DEP_1) | instskip(SKIP_1) | instid1(VALU_DEP_2)
	v_ashrrev_i32_e32 v1, 31, v0
	v_mov_b32_e32 v6, v3
	v_lshlrev_b64 v[0:1], 3, v[0:1]
	s_delay_alu instid0(VALU_DEP_1) | instskip(NEXT) | instid1(VALU_DEP_2)
	v_add_co_u32 v0, vcc_lo, s30, v0
	v_add_co_ci_u32_e32 v1, vcc_lo, s31, v1, vcc_lo
	global_store_b64 v[0:1], v[6:7], off
.LBB56_107:
	s_or_b32 exec_lo, exec_lo, s3
	v_add_nc_u32_e32 v0, s41, v78
	s_delay_alu instid0(VALU_DEP_1)
	v_cmp_gt_i32_e32 vcc_lo, s38, v0
	s_and_b32 exec_lo, exec_lo, vcc_lo
	s_cbranch_execz .LBB56_85
; %bb.108:
	v_cmp_ne_u32_e32 vcc_lo, 1, v9
	v_mov_b32_e32 v2, 1.0
	s_cbranch_vccnz .LBB56_110
; %bb.109:
	v_div_scale_f32 v0, null, v12, v12, 1.0
	s_delay_alu instid0(VALU_DEP_1) | instskip(SKIP_2) | instid1(VALU_DEP_1)
	v_rcp_f32_e32 v1, v0
	s_waitcnt_depctr 0xfff
	v_fma_f32 v2, -v0, v1, 1.0
	v_fmac_f32_e32 v1, v2, v1
	v_div_scale_f32 v2, vcc_lo, 1.0, v12, 1.0
	s_delay_alu instid0(VALU_DEP_1) | instskip(NEXT) | instid1(VALU_DEP_1)
	v_mul_f32_e32 v3, v2, v1
	v_fma_f32 v5, -v0, v3, v2
	s_delay_alu instid0(VALU_DEP_1) | instskip(NEXT) | instid1(VALU_DEP_1)
	v_fmac_f32_e32 v3, v5, v1
	v_fma_f32 v0, -v0, v3, v2
	s_delay_alu instid0(VALU_DEP_1) | instskip(NEXT) | instid1(VALU_DEP_1)
	v_div_fmas_f32 v0, v0, v1, v3
	v_div_fixup_f32 v2, v0, v12, 1.0
.LBB56_110:
	v_add_nc_u32_e32 v0, s1, v78
	s_delay_alu instid0(VALU_DEP_1) | instskip(NEXT) | instid1(VALU_DEP_1)
	v_mad_u64_u32 v[5:6], null, v0, s39, s[22:23]
	v_mad_u64_u32 v[0:1], null, s0, v5, s[14:15]
	s_and_saveexec_b32 s0, s4
	s_cbranch_execz .LBB56_112
; %bb.111:
	s_delay_alu instid0(VALU_DEP_1)
	v_mad_u64_u32 v[5:6], null, 0x50, v0, v[69:70]
	v_cvt_f32_f16_e32 v7, v87
	v_mov_b32_e32 v6, 0
	v_lshrrev_b32_e32 v1, 16, v87
	v_lshrrev_b32_e32 v3, 16, v88
	v_cvt_f32_f16_e32 v9, v88
	v_mul_f32_e32 v11, v2, v7
	v_lshlrev_b64 v[5:6], 2, v[5:6]
	v_cvt_f32_f16_e32 v1, v1
	v_cvt_f32_f16_e32 v3, v3
	v_mul_f32_e32 v9, v2, v9
	s_delay_alu instid0(VALU_DEP_3) | instskip(SKIP_1) | instid1(VALU_DEP_4)
	v_mul_f32_e32 v12, v2, v1
	v_add_co_u32 v1, vcc_lo, s28, v5
	v_mul_f32_e32 v10, v2, v3
	v_add_co_ci_u32_e32 v2, vcc_lo, s29, v6, vcc_lo
	global_store_b128 v[1:2], v[9:12], off
.LBB56_112:
	s_or_b32 exec_lo, exec_lo, s0
	s_delay_alu instid0(SALU_CYCLE_1)
	s_and_b32 exec_lo, exec_lo, s2
	s_cbranch_execz .LBB56_85
; %bb.113:
	s_delay_alu instid0(VALU_DEP_1) | instskip(SKIP_1) | instid1(VALU_DEP_2)
	v_ashrrev_i32_e32 v1, 31, v0
	v_mov_b32_e32 v7, v4
	v_lshlrev_b64 v[0:1], 3, v[0:1]
	s_delay_alu instid0(VALU_DEP_1) | instskip(NEXT) | instid1(VALU_DEP_2)
	v_add_co_u32 v0, vcc_lo, s30, v0
	v_add_co_ci_u32_e32 v1, vcc_lo, s31, v1, vcc_lo
	global_store_b64 v[0:1], v[7:8], off
	s_nop 0
	s_sendmsg sendmsg(MSG_DEALLOC_VGPRS)
	s_endpgm
	.section	.rodata,"a",@progbits
	.p2align	6, 0x0
	.amdhsa_kernel _ZL15flash_attn_tileILi80ELi80ELi32ELi1ELb0EEvPKcS1_S1_S1_S1_PKiPfP15HIP_vector_typeIfLj2EEffffjfiS5_IjLj3EEiiiiiiiiiiiliiliiiiil
		.amdhsa_group_segment_fixed_size 14528
		.amdhsa_private_segment_fixed_size 32
		.amdhsa_kernarg_size 464
		.amdhsa_user_sgpr_count 13
		.amdhsa_user_sgpr_dispatch_ptr 1
		.amdhsa_user_sgpr_queue_ptr 0
		.amdhsa_user_sgpr_kernarg_segment_ptr 1
		.amdhsa_user_sgpr_dispatch_id 0
		.amdhsa_user_sgpr_private_segment_size 0
		.amdhsa_wavefront_size32 1
		.amdhsa_uses_dynamic_stack 0
		.amdhsa_enable_private_segment 1
		.amdhsa_system_sgpr_workgroup_id_x 1
		.amdhsa_system_sgpr_workgroup_id_y 1
		.amdhsa_system_sgpr_workgroup_id_z 1
		.amdhsa_system_sgpr_workgroup_info 0
		.amdhsa_system_vgpr_workitem_id 2
		.amdhsa_next_free_vgpr 142
		.amdhsa_next_free_sgpr 51
		.amdhsa_reserve_vcc 1
		.amdhsa_float_round_mode_32 0
		.amdhsa_float_round_mode_16_64 0
		.amdhsa_float_denorm_mode_32 3
		.amdhsa_float_denorm_mode_16_64 3
		.amdhsa_dx10_clamp 1
		.amdhsa_ieee_mode 1
		.amdhsa_fp16_overflow 0
		.amdhsa_workgroup_processor_mode 1
		.amdhsa_memory_ordered 1
		.amdhsa_forward_progress 0
		.amdhsa_shared_vgpr_count 0
		.amdhsa_exception_fp_ieee_invalid_op 0
		.amdhsa_exception_fp_denorm_src 0
		.amdhsa_exception_fp_ieee_div_zero 0
		.amdhsa_exception_fp_ieee_overflow 0
		.amdhsa_exception_fp_ieee_underflow 0
		.amdhsa_exception_fp_ieee_inexact 0
		.amdhsa_exception_int_div_zero 0
	.end_amdhsa_kernel
	.section	.text._ZL15flash_attn_tileILi80ELi80ELi32ELi1ELb0EEvPKcS1_S1_S1_S1_PKiPfP15HIP_vector_typeIfLj2EEffffjfiS5_IjLj3EEiiiiiiiiiiiliiliiiiil,"axG",@progbits,_ZL15flash_attn_tileILi80ELi80ELi32ELi1ELb0EEvPKcS1_S1_S1_S1_PKiPfP15HIP_vector_typeIfLj2EEffffjfiS5_IjLj3EEiiiiiiiiiiiliiliiiiil,comdat
.Lfunc_end56:
	.size	_ZL15flash_attn_tileILi80ELi80ELi32ELi1ELb0EEvPKcS1_S1_S1_S1_PKiPfP15HIP_vector_typeIfLj2EEffffjfiS5_IjLj3EEiiiiiiiiiiiliiliiiiil, .Lfunc_end56-_ZL15flash_attn_tileILi80ELi80ELi32ELi1ELb0EEvPKcS1_S1_S1_S1_PKiPfP15HIP_vector_typeIfLj2EEffffjfiS5_IjLj3EEiiiiiiiiiiiliiliiiiil
                                        ; -- End function
	.section	.AMDGPU.csdata,"",@progbits
; Kernel info:
; codeLenInByte = 25260
; NumSgprs: 53
; NumVgprs: 142
; ScratchSize: 32
; MemoryBound: 0
; FloatMode: 240
; IeeeMode: 1
; LDSByteSize: 14528 bytes/workgroup (compile time only)
; SGPRBlocks: 6
; VGPRBlocks: 17
; NumSGPRsForWavesPerEU: 53
; NumVGPRsForWavesPerEU: 142
; Occupancy: 10
; WaveLimiterHint : 1
; COMPUTE_PGM_RSRC2:SCRATCH_EN: 1
; COMPUTE_PGM_RSRC2:USER_SGPR: 13
; COMPUTE_PGM_RSRC2:TRAP_HANDLER: 0
; COMPUTE_PGM_RSRC2:TGID_X_EN: 1
; COMPUTE_PGM_RSRC2:TGID_Y_EN: 1
; COMPUTE_PGM_RSRC2:TGID_Z_EN: 1
; COMPUTE_PGM_RSRC2:TIDIG_COMP_CNT: 2
	.section	.text._ZL33flash_attn_stream_k_fixup_uniformILi80ELi32ELi1EEvPfPK15HIP_vector_typeIfLj2EEiiiiiiS1_IjLj3EES5_S5_,"axG",@progbits,_ZL33flash_attn_stream_k_fixup_uniformILi80ELi32ELi1EEvPfPK15HIP_vector_typeIfLj2EEiiiiiiS1_IjLj3EES5_S5_,comdat
	.globl	_ZL33flash_attn_stream_k_fixup_uniformILi80ELi32ELi1EEvPfPK15HIP_vector_typeIfLj2EEiiiiiiS1_IjLj3EES5_S5_ ; -- Begin function _ZL33flash_attn_stream_k_fixup_uniformILi80ELi32ELi1EEvPfPK15HIP_vector_typeIfLj2EEiiiiiiS1_IjLj3EES5_S5_
	.p2align	8
	.type	_ZL33flash_attn_stream_k_fixup_uniformILi80ELi32ELi1EEvPfPK15HIP_vector_typeIfLj2EEiiiiiiS1_IjLj3EES5_S5_,@function
_ZL33flash_attn_stream_k_fixup_uniformILi80ELi32ELi1EEvPfPK15HIP_vector_typeIfLj2EEiiiiiiS1_IjLj3EES5_S5_: ; @_ZL33flash_attn_stream_k_fixup_uniformILi80ELi32ELi1EEvPfPK15HIP_vector_typeIfLj2EEiiiiiiS1_IjLj3EES5_S5_
; %bb.0:
	s_clause 0x1
	s_load_b256 s[4:11], s[0:1], 0x1c
	s_load_b128 s[16:19], s[0:1], 0x3c
	s_waitcnt lgkmcnt(0)
	s_mul_hi_u32 s2, s7, s13
	s_delay_alu instid0(SALU_CYCLE_1) | instskip(NEXT) | instid1(SALU_CYCLE_1)
	s_add_i32 s2, s13, s2
	s_lshr_b32 s2, s2, s8
	s_delay_alu instid0(SALU_CYCLE_1) | instskip(SKIP_2) | instid1(SALU_CYCLE_1)
	s_mul_i32 s3, s2, s9
	s_load_b64 s[8:9], s[0:1], 0x10
	s_sub_i32 s3, s13, s3
	s_mul_hi_u32 s7, s3, s10
	s_delay_alu instid0(SALU_CYCLE_1) | instskip(NEXT) | instid1(SALU_CYCLE_1)
	s_add_i32 s7, s3, s7
	s_lshr_b32 s7, s7, s11
	s_delay_alu instid0(SALU_CYCLE_1) | instskip(NEXT) | instid1(SALU_CYCLE_1)
	s_mul_i32 s10, s7, s16
	s_sub_i32 s3, s3, s10
	s_delay_alu instid0(SALU_CYCLE_1) | instskip(NEXT) | instid1(SALU_CYCLE_1)
	s_mul_hi_u32 s10, s3, s17
	s_add_i32 s10, s3, s10
	s_delay_alu instid0(SALU_CYCLE_1) | instskip(NEXT) | instid1(SALU_CYCLE_1)
	s_lshr_b32 s11, s10, s18
	s_mul_i32 s10, s11, s19
	s_delay_alu instid0(SALU_CYCLE_1) | instskip(NEXT) | instid1(SALU_CYCLE_1)
	s_sub_i32 s10, s3, s10
	s_lshl_b32 s3, s10, 5
	s_delay_alu instid0(SALU_CYCLE_1) | instskip(SKIP_4) | instid1(SALU_CYCLE_1)
	s_add_i32 s3, s3, s14
	s_waitcnt lgkmcnt(0)
	s_cmp_lt_i32 s3, s8
	s_cselect_b32 s3, -1, 0
	s_add_i32 s11, s11, s15
	s_cmp_lt_i32 s11, s5
	s_cselect_b32 s12, -1, 0
	s_delay_alu instid0(SALU_CYCLE_1) | instskip(NEXT) | instid1(SALU_CYCLE_1)
	s_and_b32 s3, s3, s12
	s_and_not1_b32 vcc_lo, exec_lo, s3
	s_cbranch_vccnz .LBB57_6
; %bb.1:
	s_mul_i32 s8, s2, s8
	s_mul_i32 s7, s7, s5
	s_add_i32 s8, s8, s14
	s_add_i32 s5, s11, s7
	s_mul_i32 s8, s8, s9
	s_load_b128 s[0:3], s[0:1], 0x0
	s_mul_i32 s7, s9, s10
	s_add_i32 s5, s5, s8
	s_mulk_i32 s7, 0xa00
	s_mulk_i32 s5, 0x50
	s_add_i32 s10, s14, s15
	v_add3_u32 v1, s5, s7, v0
	s_mul_i32 s5, s13, s6
	s_delay_alu instid0(SALU_CYCLE_1) | instskip(NEXT) | instid1(VALU_DEP_1)
	s_add_i32 s9, s5, s6
	v_ashrrev_i32_e32 v2, 31, v1
	s_delay_alu instid0(VALU_DEP_1) | instskip(SKIP_1) | instid1(VALU_DEP_1)
	v_lshlrev_b64 v[1:2], 2, v[1:2]
	s_waitcnt lgkmcnt(0)
	v_add_co_u32 v1, vcc_lo, s0, v1
	s_delay_alu instid0(VALU_DEP_2) | instskip(SKIP_1) | instid1(SALU_CYCLE_1)
	v_add_co_ci_u32_e32 v2, vcc_lo, s1, v2, vcc_lo
	s_lshl_b32 s0, s9, 5
	s_add_i32 s0, s10, s0
	global_load_b32 v5, v[1:2], off
	s_sub_i32 s0, s0, 32
	s_delay_alu instid0(SALU_CYCLE_1) | instskip(NEXT) | instid1(SALU_CYCLE_1)
	s_ashr_i32 s1, s0, 31
	s_lshl_b64 s[0:1], s[0:1], 3
	s_delay_alu instid0(SALU_CYCLE_1)
	s_add_u32 s0, s2, s0
	s_addc_u32 s1, s3, s1
	s_add_i32 s7, s9, -2
	s_load_b32 s11, s[0:1], 0x4
	s_cmp_lt_i32 s7, s5
	s_cbranch_scc1 .LBB57_4
; %bb.2:
	s_load_b32 s12, s[0:1], 0x0
	s_lshl_b32 s0, s4, 7
	s_waitcnt lgkmcnt(0)
	v_mov_b32_e32 v6, s11
	s_ashr_i32 s1, s0, 31
	s_delay_alu instid0(SALU_CYCLE_1) | instskip(NEXT) | instid1(SALU_CYCLE_1)
	s_lshl_b64 s[0:1], s[0:1], 2
	s_add_u32 s7, s2, s0
	s_addc_u32 s8, s3, s1
	s_add_i32 s13, s13, 1
	s_mul_i32 s1, s10, 0x50
	s_mul_i32 s0, s6, s13
	s_delay_alu instid0(SALU_CYCLE_1)
	s_lshl_b32 s6, s0, 5
	s_mulk_i32 s0, 0xa00
	s_add_i32 s6, s10, s6
	s_add_i32 s1, s1, s0
	s_lshl_b32 s0, s4, 5
	v_add3_u32 v3, s1, v0, 0xffffec00
	s_add_i32 s6, s6, s0
	v_mov_b32_e32 v0, s12
	s_add_i32 s4, s9, -1
	s_sub_i32 s0, s6, 64
.LBB57_3:                               ; =>This Inner Loop Header: Depth=1
	s_delay_alu instid0(VALU_DEP_2) | instskip(SKIP_1) | instid1(SALU_CYCLE_1)
	v_ashrrev_i32_e32 v4, 31, v3
	s_ashr_i32 s1, s0, 31
	s_lshl_b64 s[10:11], s[0:1], 3
	s_delay_alu instid0(SALU_CYCLE_1) | instskip(NEXT) | instid1(VALU_DEP_1)
	s_add_u32 s10, s2, s10
	v_lshlrev_b64 v[7:8], 2, v[3:4]
	s_addc_u32 s11, s3, s11
	s_add_i32 s4, s4, -1
	s_sub_i32 s0, s0, 32
	s_cmp_le_i32 s4, s5
	s_load_b64 s[10:11], s[10:11], 0x0
	v_add_co_u32 v7, vcc_lo, s7, v7
	v_add_co_ci_u32_e32 v8, vcc_lo, s8, v8, vcc_lo
	global_load_b32 v4, v[7:8], off
	v_max_f32_e32 v7, v0, v0
	s_waitcnt lgkmcnt(0)
	v_max_f32_e64 v8, s10, s10
	s_delay_alu instid0(VALU_DEP_1) | instskip(NEXT) | instid1(VALU_DEP_1)
	v_max_f32_e32 v7, v7, v8
	v_sub_f32_e32 v8, s10, v7
	s_delay_alu instid0(VALU_DEP_1) | instskip(NEXT) | instid1(VALU_DEP_1)
	v_dual_sub_f32 v0, v0, v7 :: v_dual_mul_f32 v9, 0x3fb8aa3b, v8
	v_fma_f32 v10, 0x3fb8aa3b, v8, -v9
	v_rndne_f32_e32 v11, v9
	s_delay_alu instid0(VALU_DEP_3) | instskip(NEXT) | instid1(VALU_DEP_2)
	v_mul_f32_e32 v12, 0x3fb8aa3b, v0
	v_dual_fmac_f32 v10, 0x32a5705f, v8 :: v_dual_sub_f32 v9, v9, v11
	v_cvt_i32_f32_e32 v11, v11
	s_delay_alu instid0(VALU_DEP_3) | instskip(SKIP_1) | instid1(VALU_DEP_4)
	v_fma_f32 v13, 0x3fb8aa3b, v0, -v12
	v_rndne_f32_e32 v14, v12
	v_add_f32_e32 v9, v9, v10
	v_cmp_ngt_f32_e32 vcc_lo, 0xc2ce8ed0, v8
	s_delay_alu instid0(VALU_DEP_3) | instskip(NEXT) | instid1(VALU_DEP_3)
	v_sub_f32_e32 v10, v12, v14
	v_exp_f32_e32 v9, v9
	s_waitcnt_depctr 0xfff
	v_ldexp_f32 v9, v9, v11
	v_cvt_i32_f32_e32 v11, v14
	s_delay_alu instid0(VALU_DEP_2) | instskip(SKIP_1) | instid1(VALU_DEP_2)
	v_cndmask_b32_e32 v9, 0, v9, vcc_lo
	v_cmp_nlt_f32_e32 vcc_lo, 0x42b17218, v8
	v_cndmask_b32_e32 v9, 0x7f800000, v9, vcc_lo
	v_cmp_ngt_f32_e32 vcc_lo, 0xc2ce8ed0, v0
	v_fmac_f32_e32 v13, 0x32a5705f, v0
	s_delay_alu instid0(VALU_DEP_1) | instskip(NEXT) | instid1(VALU_DEP_1)
	v_add_f32_e32 v10, v10, v13
	v_exp_f32_e32 v10, v10
	s_waitcnt_depctr 0xfff
	v_ldexp_f32 v10, v10, v11
	s_delay_alu instid0(VALU_DEP_1)
	v_dual_mov_b32 v11, v6 :: v_dual_cndmask_b32 v10, 0, v10
	v_cmp_le_f32_e32 vcc_lo, 0xc1a00000, v8
	s_waitcnt vmcnt(1)
	v_dual_cndmask_b32 v8, 0, v9 :: v_dual_mov_b32 v9, v5
	v_cmp_nlt_f32_e32 vcc_lo, 0x42b17218, v0
	v_cndmask_b32_e32 v5, 0x7f800000, v10, vcc_lo
	s_delay_alu instid0(VALU_DEP_3) | instskip(SKIP_2) | instid1(VALU_DEP_3)
	v_mul_f32_e32 v10, s11, v8
	v_cmp_le_f32_e32 vcc_lo, 0xc1a00000, v0
	v_mov_b32_e32 v0, v7
	v_mov_b32_e32 v6, v10
	s_waitcnt vmcnt(0)
	v_dual_cndmask_b32 v12, 0, v5 :: v_dual_mul_f32 v5, v4, v8
	s_delay_alu instid0(VALU_DEP_1) | instskip(NEXT) | instid1(VALU_DEP_2)
	v_dual_fmac_f32 v6, v11, v12 :: v_dual_add_nc_u32 v3, 0xfffff600, v3
	v_fmac_f32_e32 v5, v9, v12
	s_cbranch_scc0 .LBB57_3
	s_branch .LBB57_5
.LBB57_4:
	s_waitcnt lgkmcnt(0)
	v_mov_b32_e32 v6, s11
.LBB57_5:
	s_waitcnt vmcnt(0)
	s_delay_alu instid0(VALU_DEP_1) | instskip(NEXT) | instid1(VALU_DEP_1)
	v_div_scale_f32 v0, null, v6, v6, v5
	v_rcp_f32_e32 v3, v0
	s_waitcnt_depctr 0xfff
	v_fma_f32 v4, -v0, v3, 1.0
	s_delay_alu instid0(VALU_DEP_1) | instskip(SKIP_1) | instid1(VALU_DEP_1)
	v_fmac_f32_e32 v3, v4, v3
	v_div_scale_f32 v4, vcc_lo, v5, v6, v5
	v_mul_f32_e32 v7, v4, v3
	s_delay_alu instid0(VALU_DEP_1) | instskip(NEXT) | instid1(VALU_DEP_1)
	v_fma_f32 v8, -v0, v7, v4
	v_fmac_f32_e32 v7, v8, v3
	s_delay_alu instid0(VALU_DEP_1) | instskip(NEXT) | instid1(VALU_DEP_1)
	v_fma_f32 v0, -v0, v7, v4
	v_div_fmas_f32 v0, v0, v3, v7
	s_delay_alu instid0(VALU_DEP_1)
	v_div_fixup_f32 v0, v0, v6, v5
	global_store_b32 v[1:2], v0, off
.LBB57_6:
	s_nop 0
	s_sendmsg sendmsg(MSG_DEALLOC_VGPRS)
	s_endpgm
	.section	.rodata,"a",@progbits
	.p2align	6, 0x0
	.amdhsa_kernel _ZL33flash_attn_stream_k_fixup_uniformILi80ELi32ELi1EEvPfPK15HIP_vector_typeIfLj2EEiiiiiiS1_IjLj3EES5_S5_
		.amdhsa_group_segment_fixed_size 0
		.amdhsa_private_segment_fixed_size 0
		.amdhsa_kernarg_size 76
		.amdhsa_user_sgpr_count 13
		.amdhsa_user_sgpr_dispatch_ptr 0
		.amdhsa_user_sgpr_queue_ptr 0
		.amdhsa_user_sgpr_kernarg_segment_ptr 1
		.amdhsa_user_sgpr_dispatch_id 0
		.amdhsa_user_sgpr_private_segment_size 0
		.amdhsa_wavefront_size32 1
		.amdhsa_uses_dynamic_stack 0
		.amdhsa_enable_private_segment 0
		.amdhsa_system_sgpr_workgroup_id_x 1
		.amdhsa_system_sgpr_workgroup_id_y 1
		.amdhsa_system_sgpr_workgroup_id_z 1
		.amdhsa_system_sgpr_workgroup_info 0
		.amdhsa_system_vgpr_workitem_id 0
		.amdhsa_next_free_vgpr 15
		.amdhsa_next_free_sgpr 20
		.amdhsa_reserve_vcc 1
		.amdhsa_float_round_mode_32 0
		.amdhsa_float_round_mode_16_64 0
		.amdhsa_float_denorm_mode_32 3
		.amdhsa_float_denorm_mode_16_64 3
		.amdhsa_dx10_clamp 1
		.amdhsa_ieee_mode 1
		.amdhsa_fp16_overflow 0
		.amdhsa_workgroup_processor_mode 1
		.amdhsa_memory_ordered 1
		.amdhsa_forward_progress 0
		.amdhsa_shared_vgpr_count 0
		.amdhsa_exception_fp_ieee_invalid_op 0
		.amdhsa_exception_fp_denorm_src 0
		.amdhsa_exception_fp_ieee_div_zero 0
		.amdhsa_exception_fp_ieee_overflow 0
		.amdhsa_exception_fp_ieee_underflow 0
		.amdhsa_exception_fp_ieee_inexact 0
		.amdhsa_exception_int_div_zero 0
	.end_amdhsa_kernel
	.section	.text._ZL33flash_attn_stream_k_fixup_uniformILi80ELi32ELi1EEvPfPK15HIP_vector_typeIfLj2EEiiiiiiS1_IjLj3EES5_S5_,"axG",@progbits,_ZL33flash_attn_stream_k_fixup_uniformILi80ELi32ELi1EEvPfPK15HIP_vector_typeIfLj2EEiiiiiiS1_IjLj3EES5_S5_,comdat
.Lfunc_end57:
	.size	_ZL33flash_attn_stream_k_fixup_uniformILi80ELi32ELi1EEvPfPK15HIP_vector_typeIfLj2EEiiiiiiS1_IjLj3EES5_S5_, .Lfunc_end57-_ZL33flash_attn_stream_k_fixup_uniformILi80ELi32ELi1EEvPfPK15HIP_vector_typeIfLj2EEiiiiiiS1_IjLj3EES5_S5_
                                        ; -- End function
	.section	.AMDGPU.csdata,"",@progbits
; Kernel info:
; codeLenInByte = 976
; NumSgprs: 22
; NumVgprs: 15
; ScratchSize: 0
; MemoryBound: 0
; FloatMode: 240
; IeeeMode: 1
; LDSByteSize: 0 bytes/workgroup (compile time only)
; SGPRBlocks: 2
; VGPRBlocks: 1
; NumSGPRsForWavesPerEU: 22
; NumVGPRsForWavesPerEU: 15
; Occupancy: 16
; WaveLimiterHint : 0
; COMPUTE_PGM_RSRC2:SCRATCH_EN: 0
; COMPUTE_PGM_RSRC2:USER_SGPR: 13
; COMPUTE_PGM_RSRC2:TRAP_HANDLER: 0
; COMPUTE_PGM_RSRC2:TGID_X_EN: 1
; COMPUTE_PGM_RSRC2:TGID_Y_EN: 1
; COMPUTE_PGM_RSRC2:TGID_Z_EN: 1
; COMPUTE_PGM_RSRC2:TIDIG_COMP_CNT: 0
	.section	.text._ZL33flash_attn_stream_k_fixup_generalILi80ELi32ELi1EEvPfPK15HIP_vector_typeIfLj2EEiiiiS1_IjLj3EES5_S5_S5_,"axG",@progbits,_ZL33flash_attn_stream_k_fixup_generalILi80ELi32ELi1EEvPfPK15HIP_vector_typeIfLj2EEiiiiS1_IjLj3EES5_S5_S5_,comdat
	.globl	_ZL33flash_attn_stream_k_fixup_generalILi80ELi32ELi1EEvPfPK15HIP_vector_typeIfLj2EEiiiiS1_IjLj3EES5_S5_S5_ ; -- Begin function _ZL33flash_attn_stream_k_fixup_generalILi80ELi32ELi1EEvPfPK15HIP_vector_typeIfLj2EEiiiiS1_IjLj3EES5_S5_S5_
	.p2align	8
	.type	_ZL33flash_attn_stream_k_fixup_generalILi80ELi32ELi1EEvPfPK15HIP_vector_typeIfLj2EEiiiiS1_IjLj3EES5_S5_S5_,@function
_ZL33flash_attn_stream_k_fixup_generalILi80ELi32ELi1EEvPfPK15HIP_vector_typeIfLj2EEiiiiS1_IjLj3EES5_S5_S5_: ; @_ZL33flash_attn_stream_k_fixup_generalILi80ELi32ELi1EEvPfPK15HIP_vector_typeIfLj2EEiiiiS1_IjLj3EES5_S5_S5_
; %bb.0:
	s_clause 0x1
	s_load_b128 s[4:7], s[0:1], 0x10
	s_load_b32 s20, s[0:1], 0x50
	s_mov_b32 s2, 0
	s_waitcnt lgkmcnt(0)
	s_mul_hi_i32 s3, s7, s13
	s_mul_i32 s12, s7, s13
	s_cmp_lg_u64 s[2:3], 0
	s_cbranch_scc0 .LBB58_21
; %bb.1:
	v_cvt_f32_ubyte0_e32 v1, 0
	v_cvt_f32_u32_e32 v2, s20
	s_sub_u32 s10, 0, s20
	s_subb_u32 s11, 0, 0
	s_delay_alu instid0(VALU_DEP_1) | instskip(NEXT) | instid1(VALU_DEP_1)
	v_fmamk_f32 v1, v1, 0x4f800000, v2
	v_rcp_f32_e32 v1, v1
	s_waitcnt_depctr 0xfff
	v_mul_f32_e32 v1, 0x5f7ffffc, v1
	s_delay_alu instid0(VALU_DEP_1) | instskip(NEXT) | instid1(VALU_DEP_1)
	v_mul_f32_e32 v2, 0x2f800000, v1
	v_trunc_f32_e32 v2, v2
	s_delay_alu instid0(VALU_DEP_1) | instskip(SKIP_1) | instid1(VALU_DEP_2)
	v_fmamk_f32 v1, v2, 0xcf800000, v1
	v_cvt_u32_f32_e32 v2, v2
	v_cvt_u32_f32_e32 v1, v1
	s_delay_alu instid0(VALU_DEP_2) | instskip(NEXT) | instid1(VALU_DEP_2)
	v_readfirstlane_b32 s8, v2
	v_readfirstlane_b32 s9, v1
	s_delay_alu instid0(VALU_DEP_2) | instskip(NEXT) | instid1(VALU_DEP_1)
	s_mul_i32 s16, s10, s8
	s_mul_hi_u32 s18, s10, s9
	s_mul_i32 s17, s11, s9
	s_add_i32 s16, s18, s16
	s_mul_i32 s19, s10, s9
	s_add_i32 s16, s16, s17
	s_mul_hi_u32 s18, s9, s19
	s_mul_hi_u32 s21, s8, s19
	s_mul_i32 s17, s8, s19
	s_mul_hi_u32 s19, s9, s16
	s_mul_i32 s9, s9, s16
	s_mul_hi_u32 s22, s8, s16
	s_add_u32 s9, s18, s9
	s_addc_u32 s18, 0, s19
	s_add_u32 s9, s9, s17
	s_mul_i32 s16, s8, s16
	s_addc_u32 s9, s18, s21
	s_addc_u32 s17, s22, 0
	s_add_u32 s9, s9, s16
	s_addc_u32 s16, 0, s17
	v_add_co_u32 v1, s9, v1, s9
	s_delay_alu instid0(VALU_DEP_1) | instskip(SKIP_1) | instid1(VALU_DEP_1)
	s_cmp_lg_u32 s9, 0
	s_addc_u32 s8, s8, s16
	v_readfirstlane_b32 s9, v1
	s_mul_i32 s16, s10, s8
	s_delay_alu instid0(VALU_DEP_1)
	s_mul_hi_u32 s17, s10, s9
	s_mul_i32 s11, s11, s9
	s_add_i32 s16, s17, s16
	s_mul_i32 s10, s10, s9
	s_add_i32 s16, s16, s11
	s_mul_hi_u32 s17, s8, s10
	s_mul_i32 s18, s8, s10
	s_mul_hi_u32 s10, s9, s10
	s_mul_hi_u32 s19, s9, s16
	s_mul_i32 s9, s9, s16
	s_mul_hi_u32 s11, s8, s16
	s_add_u32 s9, s10, s9
	s_addc_u32 s10, 0, s19
	s_add_u32 s9, s9, s18
	s_mul_i32 s16, s8, s16
	s_addc_u32 s9, s10, s17
	s_addc_u32 s10, s11, 0
	s_add_u32 s9, s9, s16
	s_addc_u32 s10, 0, s10
	v_add_co_u32 v1, s9, v1, s9
	s_delay_alu instid0(VALU_DEP_1) | instskip(SKIP_2) | instid1(SALU_CYCLE_1)
	s_cmp_lg_u32 s9, 0
	s_addc_u32 s16, s8, s10
	s_ashr_i32 s8, s3, 31
	s_add_u32 s10, s12, s8
	s_addc_u32 s11, s3, s8
	v_readfirstlane_b32 s3, v1
	s_mov_b32 s9, s8
	s_delay_alu instid0(SALU_CYCLE_1) | instskip(NEXT) | instid1(SALU_CYCLE_1)
	s_xor_b64 s[10:11], s[10:11], s[8:9]
	s_mul_i32 s18, s10, s16
	s_delay_alu instid0(VALU_DEP_1)
	s_mul_hi_u32 s19, s10, s3
	s_mul_hi_u32 s17, s10, s16
	;; [unrolled: 1-line block ×3, first 2 shown]
	s_mul_i32 s3, s11, s3
	s_add_u32 s18, s19, s18
	s_addc_u32 s17, 0, s17
	s_mul_hi_u32 s21, s11, s16
	s_add_u32 s3, s18, s3
	s_mul_i32 s16, s11, s16
	s_addc_u32 s3, s17, s22
	s_addc_u32 s17, s21, 0
	s_add_u32 s3, s3, s16
	s_addc_u32 s16, 0, s17
	s_mul_i32 s18, s20, s3
	s_add_u32 s17, s3, 1
	v_sub_co_u32 v1, s10, s10, s18
	s_mul_hi_u32 s18, s20, s3
	s_addc_u32 s19, s16, 0
	s_mul_i32 s21, s20, s16
	s_delay_alu instid0(VALU_DEP_1)
	v_sub_co_u32 v2, s22, v1, s20
	s_add_u32 s23, s3, 2
	s_addc_u32 s24, s16, 0
	s_add_i32 s18, s18, s21
	s_cmp_lg_u32 s10, 0
	v_readfirstlane_b32 s10, v2
	s_subb_u32 s11, s11, s18
	s_cmp_lg_u32 s22, 0
	s_subb_u32 s18, s11, 0
	s_delay_alu instid0(VALU_DEP_1) | instskip(SKIP_4) | instid1(SALU_CYCLE_1)
	s_cmp_ge_u32 s10, s20
	s_cselect_b32 s10, -1, 0
	s_cmp_eq_u32 s18, 0
	v_readfirstlane_b32 s18, v1
	s_cselect_b32 s10, s10, -1
	s_cmp_lg_u32 s10, 0
	s_cselect_b32 s10, s23, s17
	s_cselect_b32 s17, s24, s19
	s_cmp_ge_u32 s18, s20
	s_cselect_b32 s18, -1, 0
	s_cmp_eq_u32 s11, 0
	s_cselect_b32 s11, s18, -1
	s_delay_alu instid0(SALU_CYCLE_1) | instskip(SKIP_2) | instid1(SALU_CYCLE_1)
	s_cmp_lg_u32 s11, 0
	s_cselect_b32 s11, s17, s16
	s_cselect_b32 s10, s10, s3
	s_xor_b64 s[10:11], s[10:11], s[8:9]
	s_delay_alu instid0(SALU_CYCLE_1)
	s_sub_u32 s16, s10, s8
	s_load_b128 s[8:11], s[0:1], 0x44
	s_and_not1_b32 vcc_lo, exec_lo, s2
	s_cbranch_vccnz .LBB58_3
.LBB58_2:
	v_cvt_f32_u32_e32 v1, s20
	s_sub_i32 s3, 0, s20
	s_delay_alu instid0(VALU_DEP_1) | instskip(SKIP_2) | instid1(VALU_DEP_1)
	v_rcp_iflag_f32_e32 v1, v1
	s_waitcnt_depctr 0xfff
	v_mul_f32_e32 v1, 0x4f7ffffe, v1
	v_cvt_u32_f32_e32 v1, v1
	s_delay_alu instid0(VALU_DEP_1) | instskip(NEXT) | instid1(VALU_DEP_1)
	v_readfirstlane_b32 s2, v1
	s_mul_i32 s3, s3, s2
	s_delay_alu instid0(SALU_CYCLE_1) | instskip(NEXT) | instid1(SALU_CYCLE_1)
	s_mul_hi_u32 s3, s2, s3
	s_add_i32 s2, s2, s3
	s_delay_alu instid0(SALU_CYCLE_1) | instskip(NEXT) | instid1(SALU_CYCLE_1)
	s_mul_hi_u32 s2, s12, s2
	s_mul_i32 s3, s2, s20
	s_waitcnt lgkmcnt(0)
	s_add_i32 s11, s2, 1
	s_sub_i32 s3, s12, s3
	s_delay_alu instid0(SALU_CYCLE_1)
	s_sub_i32 s12, s3, s20
	s_cmp_ge_u32 s3, s20
	s_cselect_b32 s2, s11, s2
	s_cselect_b32 s3, s12, s3
	s_add_i32 s11, s2, 1
	s_cmp_ge_u32 s3, s20
	s_cselect_b32 s16, s11, s2
.LBB58_3:
	s_waitcnt lgkmcnt(0)
	s_add_i32 s11, s13, 1
	s_mov_b32 s2, 0
	s_mul_hi_i32 s3, s7, s11
	s_mul_i32 s11, s7, s11
	s_cmp_lg_u64 s[2:3], 0
	s_cbranch_scc0 .LBB58_22
; %bb.4:
	v_cvt_f32_ubyte0_e32 v1, 0
	v_cvt_f32_u32_e32 v2, s20
	s_sub_u32 s18, 0, s20
	s_subb_u32 s19, 0, 0
	s_delay_alu instid0(VALU_DEP_1) | instskip(NEXT) | instid1(VALU_DEP_1)
	v_fmamk_f32 v1, v1, 0x4f800000, v2
	v_rcp_f32_e32 v1, v1
	s_waitcnt_depctr 0xfff
	v_mul_f32_e32 v1, 0x5f7ffffc, v1
	s_delay_alu instid0(VALU_DEP_1) | instskip(NEXT) | instid1(VALU_DEP_1)
	v_mul_f32_e32 v2, 0x2f800000, v1
	v_trunc_f32_e32 v2, v2
	s_delay_alu instid0(VALU_DEP_1) | instskip(SKIP_1) | instid1(VALU_DEP_2)
	v_fmamk_f32 v1, v2, 0xcf800000, v1
	v_cvt_u32_f32_e32 v2, v2
	v_cvt_u32_f32_e32 v1, v1
	s_delay_alu instid0(VALU_DEP_2) | instskip(NEXT) | instid1(VALU_DEP_2)
	v_readfirstlane_b32 s12, v2
	v_readfirstlane_b32 s17, v1
	s_delay_alu instid0(VALU_DEP_2) | instskip(NEXT) | instid1(VALU_DEP_1)
	s_mul_i32 s21, s18, s12
	s_mul_hi_u32 s23, s18, s17
	s_mul_i32 s22, s19, s17
	s_add_i32 s21, s23, s21
	s_mul_i32 s24, s18, s17
	s_add_i32 s21, s21, s22
	s_mul_hi_u32 s23, s17, s24
	s_mul_hi_u32 s25, s12, s24
	s_mul_i32 s22, s12, s24
	s_mul_hi_u32 s24, s17, s21
	s_mul_i32 s17, s17, s21
	s_mul_hi_u32 s26, s12, s21
	s_add_u32 s17, s23, s17
	s_addc_u32 s23, 0, s24
	s_add_u32 s17, s17, s22
	s_mul_i32 s21, s12, s21
	s_addc_u32 s17, s23, s25
	s_addc_u32 s22, s26, 0
	s_add_u32 s17, s17, s21
	s_addc_u32 s21, 0, s22
	v_add_co_u32 v1, s17, v1, s17
	s_delay_alu instid0(VALU_DEP_1) | instskip(SKIP_1) | instid1(VALU_DEP_1)
	s_cmp_lg_u32 s17, 0
	s_addc_u32 s12, s12, s21
	v_readfirstlane_b32 s17, v1
	s_mul_i32 s21, s18, s12
	s_delay_alu instid0(VALU_DEP_1)
	s_mul_hi_u32 s22, s18, s17
	s_mul_i32 s19, s19, s17
	s_add_i32 s21, s22, s21
	s_mul_i32 s18, s18, s17
	s_add_i32 s21, s21, s19
	s_mul_hi_u32 s22, s12, s18
	s_mul_i32 s23, s12, s18
	s_mul_hi_u32 s18, s17, s18
	s_mul_hi_u32 s24, s17, s21
	s_mul_i32 s17, s17, s21
	s_mul_hi_u32 s19, s12, s21
	s_add_u32 s17, s18, s17
	s_addc_u32 s18, 0, s24
	s_add_u32 s17, s17, s23
	s_mul_i32 s21, s12, s21
	s_addc_u32 s17, s18, s22
	s_addc_u32 s18, s19, 0
	s_add_u32 s17, s17, s21
	s_addc_u32 s18, 0, s18
	v_add_co_u32 v1, s17, v1, s17
	s_delay_alu instid0(VALU_DEP_1) | instskip(SKIP_2) | instid1(SALU_CYCLE_1)
	s_cmp_lg_u32 s17, 0
	s_addc_u32 s12, s12, s18
	s_ashr_i32 s18, s3, 31
	s_add_u32 s22, s11, s18
	s_addc_u32 s23, s3, s18
	v_readfirstlane_b32 s3, v1
	s_mov_b32 s19, s18
	s_delay_alu instid0(SALU_CYCLE_1) | instskip(NEXT) | instid1(SALU_CYCLE_1)
	s_xor_b64 s[22:23], s[22:23], s[18:19]
	s_mul_i32 s21, s22, s12
	s_delay_alu instid0(VALU_DEP_1)
	s_mul_hi_u32 s24, s22, s3
	s_mul_hi_u32 s17, s22, s12
	;; [unrolled: 1-line block ×3, first 2 shown]
	s_mul_i32 s3, s23, s3
	s_add_u32 s21, s24, s21
	s_addc_u32 s17, 0, s17
	s_mul_hi_u32 s25, s23, s12
	s_add_u32 s3, s21, s3
	s_mul_i32 s12, s23, s12
	s_addc_u32 s3, s17, s26
	s_addc_u32 s17, s25, 0
	s_add_u32 s3, s3, s12
	s_addc_u32 s12, 0, s17
	s_mul_i32 s21, s20, s3
	s_add_u32 s17, s3, 1
	v_sub_co_u32 v1, s21, s22, s21
	s_mul_hi_u32 s22, s20, s3
	s_addc_u32 s24, s12, 0
	s_mul_i32 s25, s20, s12
	s_delay_alu instid0(VALU_DEP_1)
	v_sub_co_u32 v2, s26, v1, s20
	s_add_u32 s27, s3, 2
	s_addc_u32 s28, s12, 0
	s_add_i32 s22, s22, s25
	s_cmp_lg_u32 s21, 0
	v_readfirstlane_b32 s21, v2
	s_subb_u32 s22, s23, s22
	s_cmp_lg_u32 s26, 0
	s_subb_u32 s23, s22, 0
	s_delay_alu instid0(VALU_DEP_1) | instskip(SKIP_4) | instid1(SALU_CYCLE_1)
	s_cmp_ge_u32 s21, s20
	s_cselect_b32 s21, -1, 0
	s_cmp_eq_u32 s23, 0
	v_readfirstlane_b32 s23, v1
	s_cselect_b32 s21, s21, -1
	s_cmp_lg_u32 s21, 0
	s_cselect_b32 s17, s27, s17
	s_cselect_b32 s21, s28, s24
	s_cmp_ge_u32 s23, s20
	s_cselect_b32 s23, -1, 0
	s_cmp_eq_u32 s22, 0
	s_cselect_b32 s22, s23, -1
	s_delay_alu instid0(SALU_CYCLE_1) | instskip(SKIP_2) | instid1(SALU_CYCLE_1)
	s_cmp_lg_u32 s22, 0
	s_cselect_b32 s23, s21, s12
	s_cselect_b32 s22, s17, s3
	s_xor_b64 s[22:23], s[22:23], s[18:19]
	s_delay_alu instid0(SALU_CYCLE_1)
	s_sub_u32 s18, s22, s18
	s_and_not1_b32 vcc_lo, exec_lo, s2
	s_cbranch_vccnz .LBB58_6
.LBB58_5:
	v_cvt_f32_u32_e32 v1, s20
	s_sub_i32 s3, 0, s20
	s_delay_alu instid0(VALU_DEP_1) | instskip(SKIP_2) | instid1(VALU_DEP_1)
	v_rcp_iflag_f32_e32 v1, v1
	s_waitcnt_depctr 0xfff
	v_mul_f32_e32 v1, 0x4f7ffffe, v1
	v_cvt_u32_f32_e32 v1, v1
	s_delay_alu instid0(VALU_DEP_1) | instskip(NEXT) | instid1(VALU_DEP_1)
	v_readfirstlane_b32 s2, v1
	s_mul_i32 s3, s3, s2
	s_delay_alu instid0(SALU_CYCLE_1) | instskip(NEXT) | instid1(SALU_CYCLE_1)
	s_mul_hi_u32 s3, s2, s3
	s_add_i32 s2, s2, s3
	s_delay_alu instid0(SALU_CYCLE_1) | instskip(NEXT) | instid1(SALU_CYCLE_1)
	s_mul_hi_u32 s2, s11, s2
	s_mul_i32 s3, s2, s20
	s_delay_alu instid0(SALU_CYCLE_1)
	s_sub_i32 s3, s11, s3
	s_add_i32 s11, s2, 1
	s_sub_i32 s12, s3, s20
	s_cmp_ge_u32 s3, s20
	s_cselect_b32 s2, s11, s2
	s_cselect_b32 s3, s12, s3
	s_add_i32 s11, s2, 1
	s_cmp_ge_u32 s3, s20
	s_cselect_b32 s18, s11, s2
.LBB58_6:
	s_delay_alu instid0(SALU_CYCLE_1) | instskip(SKIP_3) | instid1(SALU_CYCLE_1)
	s_cmp_eq_u32 s16, s18
	s_mul_hi_u32 s2, s16, s8
	s_cselect_b32 s3, -1, 0
	s_add_i32 s2, s2, s16
	s_lshr_b32 s11, s2, s9
	s_delay_alu instid0(SALU_CYCLE_1) | instskip(NEXT) | instid1(SALU_CYCLE_1)
	s_mul_i32 s2, s11, s10
	s_cmp_eq_u32 s2, s16
	s_mul_hi_u32 s2, s18, s8
	s_cselect_b32 s12, -1, 0
	s_add_i32 s2, s2, s18
	s_delay_alu instid0(SALU_CYCLE_1) | instskip(NEXT) | instid1(SALU_CYCLE_1)
	s_lshr_b32 s2, s2, s9
	s_cmp_eq_u32 s11, s2
	s_mul_i32 s2, s2, s10
	s_cselect_b32 s17, -1, 0
	s_cmp_lg_u32 s2, s18
	s_cselect_b32 s2, -1, 0
	s_or_b32 s3, s3, s12
	s_and_b32 s2, s17, s2
	s_delay_alu instid0(SALU_CYCLE_1) | instskip(NEXT) | instid1(SALU_CYCLE_1)
	s_or_b32 s2, s3, s2
	s_and_b32 vcc_lo, exec_lo, s2
	s_cbranch_vccnz .LBB58_24
; %bb.7:
	s_load_b256 s[24:31], s[0:1], 0x20
	s_waitcnt lgkmcnt(0)
	s_mul_hi_u32 s2, s16, s24
	s_delay_alu instid0(SALU_CYCLE_1) | instskip(NEXT) | instid1(SALU_CYCLE_1)
	s_add_i32 s2, s2, s16
	s_lshr_b32 s17, s2, s25
	s_load_b32 s2, s[0:1], 0x40
	s_mul_i32 s3, s17, s26
	s_delay_alu instid0(SALU_CYCLE_1) | instskip(NEXT) | instid1(SALU_CYCLE_1)
	s_sub_i32 s3, s16, s3
	s_mul_hi_u32 s12, s3, s27
	s_delay_alu instid0(SALU_CYCLE_1) | instskip(NEXT) | instid1(SALU_CYCLE_1)
	s_add_i32 s12, s3, s12
	s_lshr_b32 s19, s12, s28
	s_delay_alu instid0(SALU_CYCLE_1) | instskip(NEXT) | instid1(SALU_CYCLE_1)
	s_mul_i32 s12, s19, s29
	s_sub_i32 s3, s3, s12
	s_delay_alu instid0(SALU_CYCLE_1) | instskip(NEXT) | instid1(SALU_CYCLE_1)
	s_mul_hi_u32 s12, s3, s30
	s_add_i32 s12, s3, s12
	s_delay_alu instid0(SALU_CYCLE_1) | instskip(SKIP_3) | instid1(SALU_CYCLE_1)
	s_lshr_b32 s21, s12, s31
	s_mov_b32 s12, 0
	s_waitcnt lgkmcnt(0)
	s_mul_i32 s2, s21, s2
	s_sub_i32 s2, s3, s2
	s_delay_alu instid0(SALU_CYCLE_1) | instskip(NEXT) | instid1(SALU_CYCLE_1)
	s_mul_hi_u32 s3, s2, s8
	s_add_i32 s2, s2, s3
	s_delay_alu instid0(SALU_CYCLE_1) | instskip(NEXT) | instid1(SALU_CYCLE_1)
	s_lshr_b32 s18, s2, s9
	s_lshl_b32 s2, s18, 5
	s_delay_alu instid0(SALU_CYCLE_1) | instskip(NEXT) | instid1(SALU_CYCLE_1)
	s_add_i32 s2, s2, s14
	s_cmp_lt_i32 s2, s4
	s_cselect_b32 s2, -1, 0
	s_add_i32 s21, s21, s15
	s_delay_alu instid0(SALU_CYCLE_1) | instskip(SKIP_1) | instid1(SALU_CYCLE_1)
	s_cmp_lt_i32 s21, s6
	s_cselect_b32 s3, -1, 0
	s_and_b32 s2, s2, s3
	s_delay_alu instid0(SALU_CYCLE_1)
	s_and_not1_b32 vcc_lo, exec_lo, s2
	s_cbranch_vccnz .LBB58_24
; %bb.8:
	s_load_b128 s[0:3], s[0:1], 0x0
	s_lshl_b32 s22, s20, 7
	s_mov_b32 s23, s12
	s_add_i32 s15, s14, s15
	s_lshl_b64 s[22:23], s[22:23], 2
	s_mul_i32 s4, s17, s4
	s_mul_i32 s19, s19, s6
	v_cvt_f32_ubyte0_e32 v3, 0
	v_cvt_f32_u32_e32 v4, s20
	s_waitcnt lgkmcnt(0)
	s_add_u32 s6, s2, s22
	s_addc_u32 s17, s3, s23
	s_add_i32 s4, s4, s14
	s_add_i32 s14, s21, s19
	s_mul_i32 s4, s4, s5
	s_mul_i32 s5, s5, s18
	s_add_i32 s4, s14, s4
	s_mulk_i32 s5, 0xa00
	s_mulk_i32 s4, 0x50
	s_delay_alu instid0(SALU_CYCLE_1) | instskip(NEXT) | instid1(VALU_DEP_1)
	v_add3_u32 v1, s5, s4, v0
	v_ashrrev_i32_e32 v2, 31, v1
	s_delay_alu instid0(VALU_DEP_1) | instskip(NEXT) | instid1(VALU_DEP_1)
	v_lshlrev_b64 v[1:2], 2, v[1:2]
	v_add_co_u32 v1, vcc_lo, s0, v1
	s_delay_alu instid0(VALU_DEP_2) | instskip(SKIP_1) | instid1(SALU_CYCLE_1)
	v_add_co_ci_u32_e32 v2, vcc_lo, s1, v2, vcc_lo
	s_lshl_b32 s0, s13, 5
	s_add_i32 s0, s0, s15
	global_load_b32 v5, v[1:2], off
	s_ashr_i32 s1, s0, 31
	s_delay_alu instid0(SALU_CYCLE_1) | instskip(NEXT) | instid1(SALU_CYCLE_1)
	s_lshl_b64 s[0:1], s[0:1], 3
	s_add_u32 s0, s2, s0
	s_addc_u32 s1, s3, s1
	s_add_i32 s18, s13, -1
	s_load_b64 s[0:1], s[0:1], 0x0
	v_fmac_f32_e32 v4, 0x4f800000, v3
	s_sub_i32 s14, 0, s20
	s_delay_alu instid0(VALU_DEP_1)
	v_rcp_f32_e32 v3, v4
	s_waitcnt_depctr 0xfff
	v_mul_f32_e32 v6, 0x5f7ffffc, v3
	v_cvt_f32_u32_e32 v3, s20
	s_waitcnt lgkmcnt(0)
	v_mov_b32_e32 v8, s0
	s_delay_alu instid0(VALU_DEP_3) | instskip(NEXT) | instid1(VALU_DEP_3)
	v_mul_f32_e32 v4, 0x2f800000, v6
	v_rcp_iflag_f32_e32 v7, v3
	s_delay_alu instid0(VALU_DEP_1) | instskip(SKIP_1) | instid1(VALU_DEP_2)
	v_trunc_f32_e32 v9, v4
	v_mad_u64_u32 v[3:4], null, 0x50, s15, v[0:1]
	v_fmac_f32_e32 v6, 0xcf800000, v9
	s_waitcnt_depctr 0xfff
	v_dual_mul_f32 v10, 0x4f7ffffe, v7 :: v_dual_mov_b32 v7, s1
	v_cvt_u32_f32_e32 v4, v9
	v_cvt_u32_f32_e32 v0, v6
	s_delay_alu instid0(VALU_DEP_3)
	v_cvt_u32_f32_e32 v6, v10
.LBB58_9:                               ; =>This Inner Loop Header: Depth=1
	s_mul_hi_i32 s13, s18, s7
	s_mul_i32 s4, s18, s7
	s_cmp_lg_u64 s[12:13], 0
	s_mov_b32 s5, -1
                                        ; implicit-def: $sgpr0_sgpr1
	s_cbranch_scc0 .LBB58_11
; %bb.10:                               ;   in Loop: Header=BB58_9 Depth=1
	v_readfirstlane_b32 s0, v0
	v_readfirstlane_b32 s1, v4
	s_sub_u32 s5, 0, s20
	s_subb_u32 s19, 0, 0
	s_delay_alu instid0(VALU_DEP_2) | instskip(NEXT) | instid1(VALU_DEP_1)
	s_mul_hi_u32 s21, s5, s0
	s_mul_i32 s22, s5, s1
	s_mul_i32 s23, s19, s0
	s_add_i32 s21, s21, s22
	s_mul_i32 s22, s5, s0
	s_add_i32 s21, s21, s23
	s_mul_hi_u32 s23, s0, s22
	s_mul_i32 s24, s0, s21
	s_mul_hi_u32 s0, s0, s21
	s_add_u32 s23, s23, s24
	s_mul_i32 s25, s1, s22
	s_addc_u32 s0, 0, s0
	s_mul_hi_u32 s22, s1, s22
	s_mul_hi_u32 s24, s1, s21
	s_add_u32 s23, s23, s25
	s_addc_u32 s0, s0, s22
	s_mul_i32 s21, s1, s21
	s_addc_u32 s22, s24, 0
	s_add_u32 s0, s0, s21
	s_addc_u32 s21, 0, s22
	v_add_co_u32 v9, s0, v0, s0
	s_delay_alu instid0(VALU_DEP_1) | instskip(SKIP_1) | instid1(VALU_DEP_1)
	s_cmp_lg_u32 s0, 0
	s_addc_u32 s1, s1, s21
	v_readfirstlane_b32 s0, v9
	s_mul_i32 s21, s5, s1
	s_delay_alu instid0(VALU_DEP_1)
	s_mul_hi_u32 s22, s5, s0
	s_mul_i32 s19, s19, s0
	s_add_i32 s21, s22, s21
	s_mul_i32 s5, s5, s0
	s_add_i32 s21, s21, s19
	s_mul_hi_u32 s19, s1, s5
	s_mul_i32 s23, s1, s5
	s_mul_i32 s24, s0, s21
	s_mul_hi_u32 s5, s0, s5
	s_mul_hi_u32 s0, s0, s21
	s_add_u32 s5, s5, s24
	s_addc_u32 s0, 0, s0
	s_mul_hi_u32 s22, s1, s21
	s_add_u32 s5, s5, s23
	s_addc_u32 s0, s0, s19
	s_mul_i32 s5, s1, s21
	s_addc_u32 s19, s22, 0
	s_add_u32 s0, s0, s5
	s_addc_u32 s5, 0, s19
	v_add_co_u32 v9, s0, v9, s0
	s_delay_alu instid0(VALU_DEP_1) | instskip(SKIP_2) | instid1(SALU_CYCLE_1)
	s_cmp_lg_u32 s0, 0
	s_addc_u32 s5, s1, s5
	s_ashr_i32 s0, s13, 31
	s_add_u32 s22, s4, s0
	s_addc_u32 s23, s13, s0
	v_readfirstlane_b32 s13, v9
	s_mov_b32 s1, s0
	s_delay_alu instid0(SALU_CYCLE_1) | instskip(NEXT) | instid1(SALU_CYCLE_1)
	s_xor_b64 s[22:23], s[22:23], s[0:1]
	s_mul_i32 s19, s22, s5
	s_delay_alu instid0(VALU_DEP_1)
	s_mul_hi_u32 s21, s22, s13
	s_mul_hi_u32 s24, s22, s5
	s_add_u32 s19, s21, s19
	s_mul_i32 s25, s23, s13
	s_addc_u32 s21, 0, s24
	s_mul_hi_u32 s13, s23, s13
	s_mul_hi_u32 s24, s23, s5
	s_add_u32 s19, s19, s25
	s_addc_u32 s13, s21, s13
	s_mul_i32 s5, s23, s5
	s_addc_u32 s19, s24, 0
	s_add_u32 s5, s13, s5
	s_addc_u32 s13, 0, s19
	s_mul_i32 s21, s20, s5
	s_add_u32 s19, s5, 1
	v_sub_co_u32 v9, s21, s22, s21
	s_addc_u32 s22, s13, 0
	s_mul_i32 s25, s20, s13
	s_mul_hi_u32 s27, s20, s5
	s_delay_alu instid0(VALU_DEP_1)
	v_sub_co_u32 v10, s26, v9, s20
	s_add_u32 s24, s5, 2
	s_addc_u32 s28, s13, 0
	s_add_i32 s27, s27, s25
	s_cmp_lg_u32 s21, 0
	v_readfirstlane_b32 s21, v10
	s_subb_u32 s23, s23, s27
	s_cmp_lg_u32 s26, 0
	s_subb_u32 s25, s23, 0
	s_delay_alu instid0(VALU_DEP_1) | instskip(SKIP_4) | instid1(SALU_CYCLE_1)
	s_cmp_ge_u32 s21, s20
	s_cselect_b32 s21, -1, 0
	s_cmp_eq_u32 s25, 0
	v_readfirstlane_b32 s25, v9
	s_cselect_b32 s21, s21, -1
	s_cmp_lg_u32 s21, 0
	s_cselect_b32 s19, s24, s19
	s_cselect_b32 s21, s28, s22
	s_cmp_ge_u32 s25, s20
	s_cselect_b32 s22, -1, 0
	s_cmp_eq_u32 s23, 0
	s_cselect_b32 s22, s22, -1
	s_delay_alu instid0(SALU_CYCLE_1) | instskip(SKIP_4) | instid1(SALU_CYCLE_1)
	s_cmp_lg_u32 s22, 0
	s_cselect_b32 s23, s21, s13
	s_cselect_b32 s22, s19, s5
	s_mov_b32 s5, 0
	s_xor_b64 s[22:23], s[22:23], s[0:1]
	s_sub_u32 s0, s22, s0
.LBB58_11:                              ;   in Loop: Header=BB58_9 Depth=1
	s_and_not1_b32 vcc_lo, exec_lo, s5
	s_cbranch_vccnz .LBB58_13
; %bb.12:                               ;   in Loop: Header=BB58_9 Depth=1
	v_readfirstlane_b32 s0, v6
	s_delay_alu instid0(VALU_DEP_1) | instskip(NEXT) | instid1(SALU_CYCLE_1)
	s_mul_i32 s1, s14, s0
	s_mul_hi_u32 s1, s0, s1
	s_delay_alu instid0(SALU_CYCLE_1) | instskip(NEXT) | instid1(SALU_CYCLE_1)
	s_add_i32 s0, s0, s1
	s_mul_hi_u32 s0, s4, s0
	s_delay_alu instid0(SALU_CYCLE_1) | instskip(NEXT) | instid1(SALU_CYCLE_1)
	s_mul_i32 s1, s0, s20
	s_sub_i32 s1, s4, s1
	s_add_i32 s4, s0, 1
	s_sub_i32 s5, s1, s20
	s_cmp_ge_u32 s1, s20
	s_cselect_b32 s0, s4, s0
	s_cselect_b32 s1, s5, s1
	s_add_i32 s4, s0, 1
	s_cmp_ge_u32 s1, s20
	s_cselect_b32 s0, s4, s0
.LBB58_13:                              ;   in Loop: Header=BB58_9 Depth=1
	s_delay_alu instid0(SALU_CYCLE_1)
	s_cmp_lg_u32 s16, s0
	s_cbranch_scc0 .LBB58_17
; %bb.14:                               ;   in Loop: Header=BB58_9 Depth=1
	s_add_i32 s1, s18, s20
	s_mov_b32 s5, s12
	s_lshl_b32 s1, s1, 5
	s_mov_b32 s19, s16
	s_add_i32 s4, s1, s15
	s_mul_hi_u32 s1, s0, s8
	s_lshl_b64 s[4:5], s[4:5], 3
	s_delay_alu instid0(SALU_CYCLE_1) | instskip(SKIP_2) | instid1(SALU_CYCLE_1)
	s_add_u32 s4, s2, s4
	s_addc_u32 s5, s3, s5
	s_add_i32 s1, s1, s0
	s_lshr_b32 s1, s1, s9
	s_delay_alu instid0(SALU_CYCLE_1) | instskip(NEXT) | instid1(SALU_CYCLE_1)
	s_mul_i32 s13, s1, s10
	s_cmp_eq_u32 s13, s0
	s_cselect_b32 s13, -1, 0
	s_cmp_lt_u32 s1, s11
	s_cselect_b32 s1, -1, 0
	s_delay_alu instid0(SALU_CYCLE_1)
	s_or_b32 s1, s1, s13
	s_mov_b32 s13, -1
	s_and_b32 vcc_lo, exec_lo, s1
	s_mov_b32 s1, s18
	s_cbranch_vccnz .LBB58_16
; %bb.15:                               ;   in Loop: Header=BB58_9 Depth=1
	s_add_i32 s1, s18, -1
	s_mov_b32 s13, 0
	s_mov_b32 s19, s0
.LBB58_16:                              ;   in Loop: Header=BB58_9 Depth=1
	v_mad_u64_u32 v[9:10], null, 0xa00, s18, v[3:4]
	s_load_b64 s[4:5], s[4:5], 0x0
	s_delay_alu instid0(VALU_DEP_1) | instskip(NEXT) | instid1(VALU_DEP_1)
	v_ashrrev_i32_e32 v10, 31, v9
	v_lshlrev_b64 v[9:10], 2, v[9:10]
	s_delay_alu instid0(VALU_DEP_1) | instskip(NEXT) | instid1(VALU_DEP_2)
	v_add_co_u32 v9, vcc_lo, s6, v9
	v_add_co_ci_u32_e32 v10, vcc_lo, s17, v10, vcc_lo
	s_waitcnt lgkmcnt(0)
	v_max_f32_e64 v11, s4, s4
	global_load_b32 v10, v[9:10], off
	v_max_f32_e32 v9, v8, v8
	s_delay_alu instid0(VALU_DEP_1) | instskip(NEXT) | instid1(VALU_DEP_1)
	v_max_f32_e32 v9, v9, v11
	v_sub_f32_e32 v12, v8, v9
	s_delay_alu instid0(VALU_DEP_1) | instskip(NEXT) | instid1(VALU_DEP_1)
	v_dual_mul_f32 v14, 0x3fb8aa3b, v12 :: v_dual_sub_f32 v11, s4, v9
	v_rndne_f32_e32 v18, v14
	s_delay_alu instid0(VALU_DEP_2) | instskip(SKIP_2) | instid1(VALU_DEP_4)
	v_mul_f32_e32 v13, 0x3fb8aa3b, v11
	v_fma_f32 v17, 0x3fb8aa3b, v12, -v14
	v_cmp_ngt_f32_e32 vcc_lo, 0xc2ce8ed0, v11
	v_sub_f32_e32 v14, v14, v18
	s_delay_alu instid0(VALU_DEP_4) | instskip(SKIP_2) | instid1(VALU_DEP_3)
	v_fma_f32 v15, 0x3fb8aa3b, v11, -v13
	v_rndne_f32_e32 v16, v13
	v_fmac_f32_e32 v17, 0x32a5705f, v12
	v_fmac_f32_e32 v15, 0x32a5705f, v11
	s_delay_alu instid0(VALU_DEP_2) | instskip(NEXT) | instid1(VALU_DEP_1)
	v_dual_sub_f32 v13, v13, v16 :: v_dual_add_f32 v14, v14, v17
	v_add_f32_e32 v13, v13, v15
	s_delay_alu instid0(VALU_DEP_2) | instskip(SKIP_2) | instid1(VALU_DEP_3)
	v_exp_f32_e32 v14, v14
	v_cvt_i32_f32_e32 v15, v16
	v_cvt_i32_f32_e32 v16, v18
	v_exp_f32_e32 v13, v13
	s_waitcnt_depctr 0xfff
	v_ldexp_f32 v14, v14, v16
	v_ldexp_f32 v13, v13, v15
	s_delay_alu instid0(VALU_DEP_1) | instskip(SKIP_1) | instid1(VALU_DEP_4)
	v_cndmask_b32_e32 v13, 0, v13, vcc_lo
	v_cmp_ngt_f32_e32 vcc_lo, 0xc2ce8ed0, v12
	v_cndmask_b32_e32 v14, 0, v14, vcc_lo
	v_cmp_nlt_f32_e32 vcc_lo, 0x42b17218, v11
	s_delay_alu instid0(VALU_DEP_4) | instskip(SKIP_1) | instid1(VALU_DEP_4)
	v_cndmask_b32_e32 v13, 0x7f800000, v13, vcc_lo
	v_cmp_nlt_f32_e32 vcc_lo, 0x42b17218, v12
	v_cndmask_b32_e32 v14, 0x7f800000, v14, vcc_lo
	v_cmp_le_f32_e32 vcc_lo, 0xc1a00000, v11
	s_delay_alu instid0(VALU_DEP_4) | instskip(SKIP_1) | instid1(VALU_DEP_4)
	v_cndmask_b32_e32 v11, 0, v13, vcc_lo
	v_cmp_le_f32_e32 vcc_lo, 0xc1a00000, v12
	v_cndmask_b32_e32 v12, 0, v14, vcc_lo
	s_waitcnt vmcnt(0)
	s_delay_alu instid0(VALU_DEP_3) | instskip(NEXT) | instid1(VALU_DEP_1)
	v_mul_f32_e32 v10, v10, v11
	v_dual_mul_f32 v11, s5, v11 :: v_dual_fmac_f32 v10, v5, v12
	s_delay_alu instid0(VALU_DEP_1)
	v_fmac_f32_e32 v11, v7, v12
	s_cbranch_execz .LBB58_18
	s_branch .LBB58_19
.LBB58_17:                              ;   in Loop: Header=BB58_9 Depth=1
                                        ; implicit-def: $sgpr13
                                        ; implicit-def: $vgpr10
                                        ; implicit-def: $vgpr9
                                        ; implicit-def: $vgpr11
                                        ; implicit-def: $sgpr1
                                        ; implicit-def: $sgpr19
.LBB58_18:                              ;   in Loop: Header=BB58_9 Depth=1
	s_waitcnt vmcnt(0)
	v_dual_mov_b32 v11, v7 :: v_dual_mov_b32 v10, v5
	v_mov_b32_e32 v9, v8
	s_add_i32 s1, s18, -1
	s_mov_b32 s13, 0
	s_mov_b32 s19, s16
.LBB58_19:                              ;   in Loop: Header=BB58_9 Depth=1
	s_and_not1_b32 vcc_lo, exec_lo, s13
	s_cbranch_vccz .LBB58_23
; %bb.20:                               ;   in Loop: Header=BB58_9 Depth=1
	v_dual_mov_b32 v7, v11 :: v_dual_mov_b32 v8, v9
	s_waitcnt vmcnt(0)
	v_mov_b32_e32 v5, v10
	s_mov_b32 s16, s19
	s_mov_b32 s18, s1
	s_branch .LBB58_9
.LBB58_21:
                                        ; implicit-def: $sgpr16_sgpr17
	s_load_b128 s[8:11], s[0:1], 0x44
	s_branch .LBB58_2
.LBB58_22:
                                        ; implicit-def: $sgpr18_sgpr19
	s_branch .LBB58_5
.LBB58_23:
	v_div_scale_f32 v0, null, v11, v11, v10
	s_delay_alu instid0(VALU_DEP_1) | instskip(SKIP_2) | instid1(VALU_DEP_1)
	v_rcp_f32_e32 v3, v0
	s_waitcnt_depctr 0xfff
	v_fma_f32 v4, -v0, v3, 1.0
	v_fmac_f32_e32 v3, v4, v3
	v_div_scale_f32 v4, vcc_lo, v10, v11, v10
	s_waitcnt vmcnt(0)
	s_delay_alu instid0(VALU_DEP_1) | instskip(NEXT) | instid1(VALU_DEP_1)
	v_mul_f32_e32 v5, v4, v3
	v_fma_f32 v6, -v0, v5, v4
	s_delay_alu instid0(VALU_DEP_1) | instskip(NEXT) | instid1(VALU_DEP_1)
	v_fmac_f32_e32 v5, v6, v3
	v_fma_f32 v0, -v0, v5, v4
	s_delay_alu instid0(VALU_DEP_1) | instskip(NEXT) | instid1(VALU_DEP_1)
	v_div_fmas_f32 v0, v0, v3, v5
	v_div_fixup_f32 v0, v0, v11, v10
	global_store_b32 v[1:2], v0, off
.LBB58_24:
	s_nop 0
	s_sendmsg sendmsg(MSG_DEALLOC_VGPRS)
	s_endpgm
	.section	.rodata,"a",@progbits
	.p2align	6, 0x0
	.amdhsa_kernel _ZL33flash_attn_stream_k_fixup_generalILi80ELi32ELi1EEvPfPK15HIP_vector_typeIfLj2EEiiiiS1_IjLj3EES5_S5_S5_
		.amdhsa_group_segment_fixed_size 0
		.amdhsa_private_segment_fixed_size 0
		.amdhsa_kernarg_size 336
		.amdhsa_user_sgpr_count 13
		.amdhsa_user_sgpr_dispatch_ptr 0
		.amdhsa_user_sgpr_queue_ptr 0
		.amdhsa_user_sgpr_kernarg_segment_ptr 1
		.amdhsa_user_sgpr_dispatch_id 0
		.amdhsa_user_sgpr_private_segment_size 0
		.amdhsa_wavefront_size32 1
		.amdhsa_uses_dynamic_stack 0
		.amdhsa_enable_private_segment 0
		.amdhsa_system_sgpr_workgroup_id_x 1
		.amdhsa_system_sgpr_workgroup_id_y 1
		.amdhsa_system_sgpr_workgroup_id_z 1
		.amdhsa_system_sgpr_workgroup_info 0
		.amdhsa_system_vgpr_workitem_id 0
		.amdhsa_next_free_vgpr 19
		.amdhsa_next_free_sgpr 32
		.amdhsa_reserve_vcc 1
		.amdhsa_float_round_mode_32 0
		.amdhsa_float_round_mode_16_64 0
		.amdhsa_float_denorm_mode_32 3
		.amdhsa_float_denorm_mode_16_64 3
		.amdhsa_dx10_clamp 1
		.amdhsa_ieee_mode 1
		.amdhsa_fp16_overflow 0
		.amdhsa_workgroup_processor_mode 1
		.amdhsa_memory_ordered 1
		.amdhsa_forward_progress 0
		.amdhsa_shared_vgpr_count 0
		.amdhsa_exception_fp_ieee_invalid_op 0
		.amdhsa_exception_fp_denorm_src 0
		.amdhsa_exception_fp_ieee_div_zero 0
		.amdhsa_exception_fp_ieee_overflow 0
		.amdhsa_exception_fp_ieee_underflow 0
		.amdhsa_exception_fp_ieee_inexact 0
		.amdhsa_exception_int_div_zero 0
	.end_amdhsa_kernel
	.section	.text._ZL33flash_attn_stream_k_fixup_generalILi80ELi32ELi1EEvPfPK15HIP_vector_typeIfLj2EEiiiiS1_IjLj3EES5_S5_S5_,"axG",@progbits,_ZL33flash_attn_stream_k_fixup_generalILi80ELi32ELi1EEvPfPK15HIP_vector_typeIfLj2EEiiiiS1_IjLj3EES5_S5_S5_,comdat
.Lfunc_end58:
	.size	_ZL33flash_attn_stream_k_fixup_generalILi80ELi32ELi1EEvPfPK15HIP_vector_typeIfLj2EEiiiiS1_IjLj3EES5_S5_S5_, .Lfunc_end58-_ZL33flash_attn_stream_k_fixup_generalILi80ELi32ELi1EEvPfPK15HIP_vector_typeIfLj2EEiiiiS1_IjLj3EES5_S5_S5_
                                        ; -- End function
	.section	.AMDGPU.csdata,"",@progbits
; Kernel info:
; codeLenInByte = 3220
; NumSgprs: 34
; NumVgprs: 19
; ScratchSize: 0
; MemoryBound: 0
; FloatMode: 240
; IeeeMode: 1
; LDSByteSize: 0 bytes/workgroup (compile time only)
; SGPRBlocks: 4
; VGPRBlocks: 2
; NumSGPRsForWavesPerEU: 34
; NumVGPRsForWavesPerEU: 19
; Occupancy: 16
; WaveLimiterHint : 0
; COMPUTE_PGM_RSRC2:SCRATCH_EN: 0
; COMPUTE_PGM_RSRC2:USER_SGPR: 13
; COMPUTE_PGM_RSRC2:TRAP_HANDLER: 0
; COMPUTE_PGM_RSRC2:TGID_X_EN: 1
; COMPUTE_PGM_RSRC2:TGID_Y_EN: 1
; COMPUTE_PGM_RSRC2:TGID_Z_EN: 1
; COMPUTE_PGM_RSRC2:TIDIG_COMP_CNT: 0
	.section	.text._ZL15flash_attn_tileILi80ELi80ELi16ELi1ELb0EEvPKcS1_S1_S1_S1_PKiPfP15HIP_vector_typeIfLj2EEffffjfiS5_IjLj3EEiiiiiiiiiiiliiliiiiil,"axG",@progbits,_ZL15flash_attn_tileILi80ELi80ELi16ELi1ELb0EEvPKcS1_S1_S1_S1_PKiPfP15HIP_vector_typeIfLj2EEffffjfiS5_IjLj3EEiiiiiiiiiiiliiliiiiil,comdat
	.globl	_ZL15flash_attn_tileILi80ELi80ELi16ELi1ELb0EEvPKcS1_S1_S1_S1_PKiPfP15HIP_vector_typeIfLj2EEffffjfiS5_IjLj3EEiiiiiiiiiiiliiliiiiil ; -- Begin function _ZL15flash_attn_tileILi80ELi80ELi16ELi1ELb0EEvPKcS1_S1_S1_S1_PKiPfP15HIP_vector_typeIfLj2EEffffjfiS5_IjLj3EEiiiiiiiiiiiliiliiiiil
	.p2align	8
	.type	_ZL15flash_attn_tileILi80ELi80ELi16ELi1ELb0EEvPKcS1_S1_S1_S1_PKiPfP15HIP_vector_typeIfLj2EEffffjfiS5_IjLj3EEiiiiiiiiiiiliiliiiiil,@function
_ZL15flash_attn_tileILi80ELi80ELi16ELi1ELb0EEvPKcS1_S1_S1_S1_PKiPfP15HIP_vector_typeIfLj2EEffffjfiS5_IjLj3EEiiiiiiiiiiiliiliiiiil: ; @_ZL15flash_attn_tileILi80ELi80ELi16ELi1ELb0EEvPKcS1_S1_S1_S1_PKiPfP15HIP_vector_typeIfLj2EEffffjfiS5_IjLj3EEiiiiiiiiiiiliiliiiiil
; %bb.0:
	s_clause 0x1
	s_load_b128 s[36:39], s[2:3], 0x5c
	s_load_b64 s[40:41], s[2:3], 0x80
	s_mov_b64 s[34:35], 0
	s_waitcnt lgkmcnt(0)
	v_cvt_f32_u32_e32 v1, s39
	s_sub_i32 s5, 0, s39
	s_delay_alu instid0(VALU_DEP_1) | instskip(SKIP_2) | instid1(VALU_DEP_1)
	v_rcp_iflag_f32_e32 v1, v1
	s_waitcnt_depctr 0xfff
	v_mul_f32_e32 v1, 0x4f7ffffe, v1
	v_cvt_u32_f32_e32 v1, v1
	s_delay_alu instid0(VALU_DEP_1) | instskip(NEXT) | instid1(VALU_DEP_1)
	v_readfirstlane_b32 s4, v1
	s_mul_i32 s5, s5, s4
	s_delay_alu instid0(SALU_CYCLE_1) | instskip(NEXT) | instid1(SALU_CYCLE_1)
	s_mul_hi_u32 s5, s4, s5
	s_add_i32 s4, s4, s5
	s_delay_alu instid0(SALU_CYCLE_1) | instskip(NEXT) | instid1(SALU_CYCLE_1)
	s_mul_hi_u32 s4, s15, s4
	s_mul_i32 s5, s4, s39
	s_add_i32 s6, s4, 1
	s_sub_i32 s5, s15, s5
	s_delay_alu instid0(SALU_CYCLE_1)
	s_sub_i32 s7, s5, s39
	s_cmp_ge_u32 s5, s39
	s_cselect_b32 s4, s6, s4
	s_cselect_b32 s5, s7, s5
	s_add_i32 s6, s4, 1
	s_cmp_ge_u32 s5, s39
	s_cselect_b32 s33, s6, s4
	s_abs_i32 s4, s41
	s_abs_i32 s7, s39
	v_cvt_f32_u32_e32 v1, s4
	s_sub_i32 s6, 0, s4
	s_delay_alu instid0(VALU_DEP_1) | instskip(SKIP_2) | instid1(VALU_DEP_1)
	v_rcp_iflag_f32_e32 v1, v1
	s_waitcnt_depctr 0xfff
	v_mul_f32_e32 v1, 0x4f7ffffe, v1
	v_cvt_u32_f32_e32 v1, v1
	s_delay_alu instid0(VALU_DEP_1) | instskip(NEXT) | instid1(VALU_DEP_1)
	v_readfirstlane_b32 s5, v1
	s_mul_i32 s6, s6, s5
	s_delay_alu instid0(SALU_CYCLE_1) | instskip(NEXT) | instid1(SALU_CYCLE_1)
	s_mul_hi_u32 s6, s5, s6
	s_add_i32 s5, s5, s6
	s_xor_b32 s6, s39, s41
	s_mul_hi_u32 s5, s7, s5
	s_ashr_i32 s6, s6, 31
	s_mul_i32 s8, s5, s4
	s_delay_alu instid0(SALU_CYCLE_1)
	s_sub_i32 s7, s7, s8
	s_add_i32 s8, s5, 1
	s_sub_i32 s9, s7, s4
	s_cmp_ge_u32 s7, s4
	s_cselect_b32 s5, s8, s5
	s_cselect_b32 s7, s9, s7
	s_add_i32 s8, s5, 1
	s_cmp_ge_u32 s7, s4
	s_cselect_b32 s4, s8, s5
	s_delay_alu instid0(SALU_CYCLE_1) | instskip(NEXT) | instid1(SALU_CYCLE_1)
	s_xor_b32 s4, s4, s6
	s_sub_i32 s41, s4, s6
	s_clause 0x1
	s_load_b512 s[16:31], s[2:3], 0x0
	s_load_b64 s[6:7], s[2:3], 0xb8
	s_abs_i32 s12, s41
	s_mul_i32 s4, s33, s39
	v_cvt_f32_u32_e32 v1, s12
	s_sub_i32 s5, 0, s12
	s_delay_alu instid0(VALU_DEP_1) | instskip(SKIP_4) | instid1(VALU_DEP_1)
	v_rcp_iflag_f32_e32 v1, v1
	s_waitcnt_depctr 0xfff
	v_mul_f32_e32 v1, 0x4f7ffffe, v1
	s_waitcnt lgkmcnt(0)
	s_cmp_eq_u64 s[22:23], 0
	v_cvt_u32_f32_e32 v1, v1
	s_delay_alu instid0(VALU_DEP_1) | instskip(NEXT) | instid1(VALU_DEP_1)
	v_readfirstlane_b32 s42, v1
	s_mul_i32 s5, s5, s42
	s_cbranch_scc1 .LBB59_2
; %bb.1:
	s_abs_i32 s6, s6
	s_abs_i32 s10, s33
	v_cvt_f32_u32_e32 v1, s6
	s_sub_i32 s9, 0, s6
	s_delay_alu instid0(VALU_DEP_1) | instskip(SKIP_2) | instid1(VALU_DEP_1)
	v_rcp_iflag_f32_e32 v1, v1
	s_waitcnt_depctr 0xfff
	v_mul_f32_e32 v1, 0x4f7ffffe, v1
	v_cvt_u32_f32_e32 v1, v1
	s_delay_alu instid0(VALU_DEP_1) | instskip(NEXT) | instid1(VALU_DEP_1)
	v_readfirstlane_b32 s8, v1
	s_mul_i32 s9, s9, s8
	s_delay_alu instid0(SALU_CYCLE_1) | instskip(NEXT) | instid1(SALU_CYCLE_1)
	s_mul_hi_u32 s9, s8, s9
	s_add_i32 s11, s8, s9
	s_load_b64 s[8:9], s[2:3], 0xc8
	s_mul_hi_u32 s11, s10, s11
	s_delay_alu instid0(SALU_CYCLE_1) | instskip(NEXT) | instid1(SALU_CYCLE_1)
	s_mul_i32 s11, s11, s6
	s_sub_i32 s10, s10, s11
	s_ashr_i32 s11, s33, 31
	s_sub_i32 s34, s10, s6
	s_cmp_ge_u32 s10, s6
	s_cselect_b32 s10, s34, s10
	s_delay_alu instid0(SALU_CYCLE_1) | instskip(SKIP_2) | instid1(SALU_CYCLE_1)
	s_sub_i32 s34, s10, s6
	s_cmp_ge_u32 s10, s6
	s_cselect_b32 s6, s34, s10
	s_xor_b32 s6, s6, s11
	s_delay_alu instid0(SALU_CYCLE_1)
	s_sub_i32 s6, s6, s11
	s_waitcnt lgkmcnt(0)
	s_mul_i32 s9, s6, s9
	s_mul_hi_u32 s10, s6, s8
	s_ashr_i32 s11, s6, 31
	s_add_i32 s9, s10, s9
	s_mul_i32 s11, s11, s8
	s_mul_i32 s6, s6, s8
	s_add_i32 s9, s9, s11
	s_add_u32 s34, s22, s6
	s_addc_u32 s35, s23, s9
.LBB59_2:
	s_clause 0x1
	s_load_b128 s[8:11], s[2:3], 0x40
	s_load_b32 s6, s[2:3], 0x50
	v_mov_b32_e32 v74, 1.0
	s_sub_i32 s22, s15, s4
	s_waitcnt lgkmcnt(0)
	v_cmp_le_f32_e64 s9, s9, 0
	s_delay_alu instid0(VALU_DEP_1)
	s_and_b32 vcc_lo, exec_lo, s9
	s_mul_hi_u32 s9, s42, s5
	s_cbranch_vccnz .LBB59_4
; %bb.3:
	s_sub_i32 s4, s22, s6
	s_add_i32 s5, s22, 1
	s_lshl_b32 s4, s4, 1
	v_mov_b32_e32 v1, s10
	s_or_b32 s4, s4, 1
	s_cmp_lt_u32 s22, s6
	s_cselect_b32 vcc_lo, -1, 0
	s_delay_alu instid0(VALU_DEP_1)
	v_cndmask_b32_e32 v3, s11, v1, vcc_lo
	s_and_b32 s6, vcc_lo, exec_lo
	s_cselect_b32 s4, s5, s4
	s_mov_b32 s5, 0x3e76c4e1
	v_cvt_f32_i32_e32 v1, s4
	v_cmp_neq_f32_e32 vcc_lo, 1.0, v3
	s_delay_alu instid0(VALU_DEP_2) | instskip(NEXT) | instid1(VALU_DEP_1)
	v_cndmask_b32_e32 v4, 1.0, v1, vcc_lo
	v_cmp_eq_f32_e32 vcc_lo, 0, v4
	v_cndmask_b32_e64 v5, |v3|, 1.0, vcc_lo
	s_delay_alu instid0(VALU_DEP_1) | instskip(NEXT) | instid1(VALU_DEP_1)
	v_frexp_mant_f32_e32 v1, v5
	v_cmp_gt_f32_e64 s4, 0x3f2aaaab, v1
	s_delay_alu instid0(VALU_DEP_1) | instskip(NEXT) | instid1(VALU_DEP_1)
	v_cndmask_b32_e64 v2, 1.0, 2.0, s4
	v_mul_f32_e32 v1, v1, v2
	s_delay_alu instid0(VALU_DEP_1) | instskip(SKIP_1) | instid1(VALU_DEP_2)
	v_add_f32_e32 v2, 1.0, v1
	v_add_f32_e32 v7, -1.0, v1
	v_rcp_f32_e32 v6, v2
	s_waitcnt_depctr 0xfff
	v_mul_f32_e32 v8, v7, v6
	s_delay_alu instid0(VALU_DEP_1) | instskip(NEXT) | instid1(VALU_DEP_1)
	v_dual_add_f32 v9, -1.0, v2 :: v_dual_mul_f32 v10, v2, v8
	v_sub_f32_e32 v1, v1, v9
	v_cndmask_b32_e64 v3, v3, 1.0, vcc_lo
	s_delay_alu instid0(VALU_DEP_3) | instskip(NEXT) | instid1(VALU_DEP_2)
	v_fma_f32 v2, v8, v2, -v10
	v_cmp_eq_f32_e64 s6, 0, v3
	s_delay_alu instid0(VALU_DEP_2) | instskip(NEXT) | instid1(VALU_DEP_1)
	v_fmac_f32_e32 v2, v8, v1
	v_add_f32_e32 v1, v10, v2
	s_delay_alu instid0(VALU_DEP_1) | instskip(NEXT) | instid1(VALU_DEP_1)
	v_dual_sub_f32 v10, v1, v10 :: v_dual_sub_f32 v9, v7, v1
	v_dual_sub_f32 v2, v10, v2 :: v_dual_sub_f32 v7, v7, v9
	s_delay_alu instid0(VALU_DEP_1) | instskip(NEXT) | instid1(VALU_DEP_1)
	v_sub_f32_e32 v1, v7, v1
	v_add_f32_e32 v1, v2, v1
	s_delay_alu instid0(VALU_DEP_1) | instskip(NEXT) | instid1(VALU_DEP_1)
	v_add_f32_e32 v1, v9, v1
	v_mul_f32_e32 v1, v6, v1
	s_delay_alu instid0(VALU_DEP_1) | instskip(NEXT) | instid1(VALU_DEP_1)
	v_add_f32_e32 v6, v8, v1
	v_sub_f32_e32 v2, v6, v8
	v_mul_f32_e32 v7, v6, v6
	s_delay_alu instid0(VALU_DEP_2) | instskip(NEXT) | instid1(VALU_DEP_2)
	v_sub_f32_e32 v8, v1, v2
	v_fma_f32 v9, v6, v6, -v7
	s_delay_alu instid0(VALU_DEP_2) | instskip(NEXT) | instid1(VALU_DEP_1)
	v_add_f32_e32 v1, v8, v8
	v_fmac_f32_e32 v9, v6, v1
	v_cvt_f64_f32_e32 v[1:2], v5
	s_delay_alu instid0(VALU_DEP_2) | instskip(NEXT) | instid1(VALU_DEP_1)
	v_add_f32_e32 v10, v7, v9
	v_fmaak_f32 v11, s5, v10, 0x3e91f4c4
	v_sub_f32_e32 v7, v10, v7
	v_mul_f32_e32 v14, v6, v10
	s_delay_alu instid0(VALU_DEP_3) | instskip(NEXT) | instid1(VALU_DEP_3)
	v_fmaak_f32 v11, v10, v11, 0x3ecccdef
	v_sub_f32_e32 v7, v9, v7
	s_delay_alu instid0(VALU_DEP_2) | instskip(NEXT) | instid1(VALU_DEP_1)
	v_mul_f32_e32 v12, v10, v11
	v_fma_f32 v9, v10, v11, -v12
	s_delay_alu instid0(VALU_DEP_1) | instskip(NEXT) | instid1(VALU_DEP_1)
	v_fmac_f32_e32 v9, v7, v11
	v_add_f32_e32 v11, v12, v9
	v_frexp_exp_i32_f64_e32 v1, v[1:2]
	s_delay_alu instid0(VALU_DEP_2) | instskip(NEXT) | instid1(VALU_DEP_1)
	v_sub_f32_e32 v12, v11, v12
	v_sub_f32_e32 v2, v9, v12
	v_fma_f32 v12, v10, v6, -v14
	s_delay_alu instid0(VALU_DEP_2) | instskip(NEXT) | instid1(VALU_DEP_2)
	v_add_f32_e32 v2, 0x31739010, v2
	v_dual_add_f32 v13, 0x3f2aaaaa, v11 :: v_dual_fmac_f32 v12, v10, v8
	v_ldexp_f32 v8, v8, 1
	s_delay_alu instid0(VALU_DEP_2) | instskip(NEXT) | instid1(VALU_DEP_1)
	v_dual_add_f32 v9, 0xbf2aaaaa, v13 :: v_dual_fmac_f32 v12, v7, v6
	v_sub_f32_e32 v9, v11, v9
	s_delay_alu instid0(VALU_DEP_1) | instskip(NEXT) | instid1(VALU_DEP_3)
	v_add_f32_e32 v2, v2, v9
	v_add_f32_e32 v9, v14, v12
	s_delay_alu instid0(VALU_DEP_2) | instskip(NEXT) | instid1(VALU_DEP_1)
	v_add_f32_e32 v7, v13, v2
	v_sub_f32_e32 v10, v13, v7
	s_delay_alu instid0(VALU_DEP_3) | instskip(SKIP_2) | instid1(VALU_DEP_4)
	v_mul_f32_e32 v11, v9, v7
	v_sub_f32_e32 v13, v9, v14
	v_subrev_co_ci_u32_e64 v1, s4, 0, v1, s4
	v_add_f32_e32 v2, v2, v10
	s_delay_alu instid0(VALU_DEP_4) | instskip(NEXT) | instid1(VALU_DEP_4)
	v_fma_f32 v10, v9, v7, -v11
	v_sub_f32_e32 v12, v12, v13
	s_delay_alu instid0(VALU_DEP_4) | instskip(NEXT) | instid1(VALU_DEP_3)
	v_cvt_f32_i32_e32 v1, v1
	v_fmac_f32_e32 v10, v9, v2
	v_ldexp_f32 v2, v6, 1
	s_delay_alu instid0(VALU_DEP_2) | instskip(NEXT) | instid1(VALU_DEP_1)
	v_fmac_f32_e32 v10, v12, v7
	v_add_f32_e32 v6, v11, v10
	s_delay_alu instid0(VALU_DEP_1) | instskip(NEXT) | instid1(VALU_DEP_1)
	v_add_f32_e32 v7, v2, v6
	v_dual_sub_f32 v2, v7, v2 :: v_dual_sub_f32 v9, v6, v11
	s_delay_alu instid0(VALU_DEP_1) | instskip(NEXT) | instid1(VALU_DEP_2)
	v_sub_f32_e32 v2, v6, v2
	v_sub_f32_e32 v9, v10, v9
	s_delay_alu instid0(VALU_DEP_1) | instskip(NEXT) | instid1(VALU_DEP_1)
	v_add_f32_e32 v6, v8, v9
	v_dual_mul_f32 v11, 0x3f317218, v1 :: v_dual_add_f32 v2, v6, v2
	s_delay_alu instid0(VALU_DEP_1) | instskip(NEXT) | instid1(VALU_DEP_2)
	v_fma_f32 v10, 0x3f317218, v1, -v11
	v_add_f32_e32 v8, v7, v2
	s_delay_alu instid0(VALU_DEP_1) | instskip(NEXT) | instid1(VALU_DEP_1)
	v_sub_f32_e32 v7, v8, v7
	v_dual_fmamk_f32 v1, v1, 0xb102e308, v10 :: v_dual_sub_f32 v2, v2, v7
	s_delay_alu instid0(VALU_DEP_1) | instskip(NEXT) | instid1(VALU_DEP_1)
	v_add_f32_e32 v6, v11, v1
	v_add_f32_e32 v9, v6, v8
	s_delay_alu instid0(VALU_DEP_1) | instskip(NEXT) | instid1(VALU_DEP_1)
	v_dual_sub_f32 v11, v6, v11 :: v_dual_sub_f32 v10, v9, v6
	v_sub_f32_e32 v12, v9, v10
	s_delay_alu instid0(VALU_DEP_2) | instskip(NEXT) | instid1(VALU_DEP_2)
	v_sub_f32_e32 v1, v1, v11
	v_dual_sub_f32 v7, v8, v10 :: v_dual_sub_f32 v6, v6, v12
	s_delay_alu instid0(VALU_DEP_2) | instskip(NEXT) | instid1(VALU_DEP_2)
	v_add_f32_e32 v8, v1, v2
	v_add_f32_e32 v6, v7, v6
	s_delay_alu instid0(VALU_DEP_1) | instskip(NEXT) | instid1(VALU_DEP_1)
	v_add_f32_e32 v6, v8, v6
	v_dual_sub_f32 v7, v8, v1 :: v_dual_add_f32 v10, v9, v6
	s_delay_alu instid0(VALU_DEP_1) | instskip(SKIP_1) | instid1(VALU_DEP_3)
	v_sub_f32_e32 v8, v8, v7
	v_sub_f32_e32 v2, v2, v7
	v_sub_f32_e32 v7, v10, v9
	s_delay_alu instid0(VALU_DEP_3) | instskip(NEXT) | instid1(VALU_DEP_1)
	v_sub_f32_e32 v1, v1, v8
	v_add_f32_e32 v1, v2, v1
	s_delay_alu instid0(VALU_DEP_3) | instskip(NEXT) | instid1(VALU_DEP_1)
	v_sub_f32_e32 v2, v6, v7
	v_add_f32_e32 v1, v1, v2
	s_delay_alu instid0(VALU_DEP_1) | instskip(NEXT) | instid1(VALU_DEP_1)
	v_add_f32_e32 v2, v10, v1
	v_mul_f32_e32 v7, v4, v2
	v_sub_f32_e32 v6, v2, v10
	s_delay_alu instid0(VALU_DEP_2) | instskip(NEXT) | instid1(VALU_DEP_2)
	v_fma_f32 v2, v4, v2, -v7
	v_sub_f32_e32 v1, v1, v6
	v_cmp_class_f32_e64 s4, v7, 0x204
	s_delay_alu instid0(VALU_DEP_2) | instskip(NEXT) | instid1(VALU_DEP_1)
	v_fmac_f32_e32 v2, v4, v1
	v_add_f32_e32 v1, v7, v2
	s_delay_alu instid0(VALU_DEP_1) | instskip(NEXT) | instid1(VALU_DEP_1)
	v_cndmask_b32_e64 v6, v1, v7, s4
	v_cmp_eq_f32_e64 s4, 0x42b17218, v6
	s_delay_alu instid0(VALU_DEP_1) | instskip(SKIP_1) | instid1(VALU_DEP_2)
	v_cndmask_b32_e64 v8, 0, 0x37000000, s4
	v_cmp_neq_f32_e64 s4, 0x7f800000, |v6|
	v_sub_f32_e32 v9, v6, v8
	v_trunc_f32_e32 v6, v4
	s_delay_alu instid0(VALU_DEP_2) | instskip(NEXT) | instid1(VALU_DEP_1)
	v_mul_f32_e32 v10, 0x3fb8aa3b, v9
	v_fma_f32 v11, 0x3fb8aa3b, v9, -v10
	v_rndne_f32_e32 v12, v10
	s_delay_alu instid0(VALU_DEP_1) | instskip(NEXT) | instid1(VALU_DEP_1)
	v_dual_fmamk_f32 v11, v9, 0x32a5705f, v11 :: v_dual_sub_f32 v10, v10, v12
	v_add_f32_e32 v10, v10, v11
	v_sub_f32_e32 v1, v1, v7
	v_cvt_i32_f32_e32 v7, v12
	s_delay_alu instid0(VALU_DEP_3) | instskip(NEXT) | instid1(VALU_DEP_2)
	v_exp_f32_e32 v10, v10
	v_sub_f32_e32 v1, v2, v1
	s_delay_alu instid0(VALU_DEP_1)
	v_cndmask_b32_e64 v1, 0, v1, s4
	v_cmp_ngt_f32_e64 s4, 0xc2ce8ed0, v9
	s_waitcnt_depctr 0xfff
	v_ldexp_f32 v2, v10, v7
	v_mul_f32_e32 v7, 0.5, v4
	v_add_f32_e32 v1, v8, v1
	s_delay_alu instid0(VALU_DEP_3) | instskip(NEXT) | instid1(VALU_DEP_3)
	v_cndmask_b32_e64 v2, 0, v2, s4
	v_trunc_f32_e32 v10, v7
	v_cmp_nlt_f32_e64 s4, 0x42b17218, v9
	s_delay_alu instid0(VALU_DEP_2) | instskip(NEXT) | instid1(VALU_DEP_2)
	v_cmp_neq_f32_e64 s5, v10, v7
	v_cndmask_b32_e64 v2, 0x7f800000, v2, s4
	v_cmp_eq_f32_e64 s4, v6, v4
	s_delay_alu instid0(VALU_DEP_2) | instskip(NEXT) | instid1(VALU_DEP_2)
	v_fma_f32 v1, v2, v1, v2
	s_and_b32 vcc_lo, s4, s5
	v_cmp_class_f32_e64 s5, v2, 0x204
	v_cndmask_b32_e32 v6, 1.0, v3, vcc_lo
	s_delay_alu instid0(VALU_DEP_2) | instskip(SKIP_1) | instid1(VALU_DEP_2)
	v_cndmask_b32_e64 v1, v1, v2, s5
	v_cmp_gt_f32_e64 s5, 0, v4
	v_bfi_b32 v1, 0x7fffffff, v1, v6
	s_delay_alu instid0(VALU_DEP_2)
	s_xor_b32 s5, s5, s6
	v_cndmask_b32_e32 v6, 0, v3, vcc_lo
	v_cndmask_b32_e64 v2, 0x7f800000, 0, s5
	v_cmp_eq_f32_e32 vcc_lo, 0x7f800000, v5
	v_cndmask_b32_e64 v4, 0x7fc00000, v1, s4
	v_cmp_gt_f32_e64 s4, 0, v3
	s_delay_alu instid0(VALU_DEP_4) | instskip(SKIP_1) | instid1(VALU_DEP_2)
	v_bfi_b32 v2, 0x7fffffff, v2, v6
	s_or_b32 vcc_lo, vcc_lo, s6
	v_cndmask_b32_e64 v1, v1, v4, s4
	s_delay_alu instid0(VALU_DEP_1) | instskip(SKIP_1) | instid1(VALU_DEP_2)
	v_cndmask_b32_e32 v1, v1, v2, vcc_lo
	v_cmp_o_f32_e32 vcc_lo, v3, v3
	v_cndmask_b32_e32 v74, 0x7fc00000, v1, vcc_lo
.LBB59_4:
	s_load_b128 s[44:47], s[2:3], 0x70
	v_and_b32_e32 v60, 0x3ff, v0
	v_bfe_u32 v70, v0, 10, 10
	s_abs_i32 s5, s22
	s_add_i32 s42, s42, s9
	s_lshl_b32 s15, s13, 4
	v_lshlrev_b32_e32 v1, 4, v60
	v_lshlrev_b32_e32 v63, 1, v70
	v_cmp_gt_u32_e64 s4, 20, v60
	v_lshlrev_b32_e32 v73, 1, v60
	s_delay_alu instid0(VALU_DEP_3)
	v_add_nc_u32_e32 v64, s15, v63
	s_waitcnt lgkmcnt(0)
	s_mul_i32 s6, s33, s46
	s_mul_i32 s9, s22, s45
	s_ashr_i32 s10, s6, 31
	s_add_u32 s6, s16, s6
	s_addc_u32 s10, s17, s10
	s_ashr_i32 s11, s9, 31
	s_add_u32 s6, s6, s9
	s_addc_u32 s9, s10, s11
	v_add_co_u32 v1, s6, s6, v1
	s_delay_alu instid0(VALU_DEP_1) | instskip(SKIP_1) | instid1(SALU_CYCLE_1)
	v_add_co_ci_u32_e64 v2, null, s9, 0, s6
	s_ashr_i32 s45, s44, 31
	s_lshr_b64 s[10:11], s[44:45], 2
	s_and_saveexec_b32 s6, s4
	s_cbranch_execz .LBB59_6
; %bb.5:
	v_mul_hi_u32 v3, v64, s36
	v_mul_u32_u24_e32 v9, 0x50, v70
	s_delay_alu instid0(VALU_DEP_2) | instskip(NEXT) | instid1(VALU_DEP_1)
	v_add_nc_u32_e32 v3, v64, v3
	v_lshrrev_b32_e32 v3, s37, v3
	s_delay_alu instid0(VALU_DEP_1) | instskip(NEXT) | instid1(VALU_DEP_1)
	v_mul_lo_u32 v3, v3, s38
	v_sub_nc_u32_e32 v7, v64, v3
	s_delay_alu instid0(VALU_DEP_1) | instskip(NEXT) | instid1(VALU_DEP_1)
	v_mad_u64_u32 v[3:4], null, s10, v7, 0
	v_mad_u64_u32 v[5:6], null, s11, v7, v[4:5]
	s_delay_alu instid0(VALU_DEP_1) | instskip(NEXT) | instid1(VALU_DEP_1)
	v_mov_b32_e32 v4, v5
	v_lshlrev_b64 v[3:4], 2, v[3:4]
	s_delay_alu instid0(VALU_DEP_1) | instskip(NEXT) | instid1(VALU_DEP_2)
	v_add_co_u32 v3, vcc_lo, v1, v3
	v_add_co_ci_u32_e32 v4, vcc_lo, v2, v4, vcc_lo
	global_load_b128 v[3:6], v[3:4], off
	s_waitcnt vmcnt(0)
	v_fma_mixlo_f16 v8, v5, s8, 0
	v_fma_mixlo_f16 v7, v3, s8, 0
	v_add_lshl_u32 v3, v9, v73, 2
	s_delay_alu instid0(VALU_DEP_3) | instskip(NEXT) | instid1(VALU_DEP_3)
	v_fma_mixhi_f16 v8, v6, s8, 0
	v_fma_mixhi_f16 v7, v4, s8, 0
	ds_store_b64 v3, v[7:8] offset:3264
.LBB59_6:
	s_or_b32 exec_lo, exec_lo, s6
	v_or_b32_e32 v61, 1, v63
	s_mul_hi_u32 s6, s5, s42
	s_delay_alu instid0(VALU_DEP_1)
	v_add_nc_u32_e32 v62, s15, v61
	s_and_saveexec_b32 s9, s4
	s_cbranch_execz .LBB59_8
; %bb.7:
	s_delay_alu instid0(VALU_DEP_1) | instskip(NEXT) | instid1(VALU_DEP_1)
	v_mul_hi_u32 v3, v62, s36
	v_add_nc_u32_e32 v3, v62, v3
	s_delay_alu instid0(VALU_DEP_1) | instskip(NEXT) | instid1(VALU_DEP_1)
	v_lshrrev_b32_e32 v3, s37, v3
	v_mul_lo_u32 v3, v3, s38
	s_delay_alu instid0(VALU_DEP_1) | instskip(NEXT) | instid1(VALU_DEP_1)
	v_sub_nc_u32_e32 v7, v62, v3
	v_mad_u64_u32 v[3:4], null, s10, v7, 0
	s_delay_alu instid0(VALU_DEP_1) | instskip(SKIP_1) | instid1(VALU_DEP_2)
	v_mad_u64_u32 v[5:6], null, s11, v7, v[4:5]
	v_mul_u32_u24_e32 v7, 40, v61
	v_mov_b32_e32 v4, v5
	s_delay_alu instid0(VALU_DEP_1) | instskip(NEXT) | instid1(VALU_DEP_1)
	v_lshlrev_b64 v[3:4], 2, v[3:4]
	v_add_co_u32 v1, vcc_lo, v1, v3
	s_delay_alu instid0(VALU_DEP_2)
	v_add_co_ci_u32_e32 v2, vcc_lo, v2, v4, vcc_lo
	global_load_b128 v[1:4], v[1:2], off
	s_waitcnt vmcnt(0)
	v_fma_mixlo_f16 v6, v3, s8, 0
	v_fma_mixlo_f16 v5, v1, s8, 0
	v_add_lshl_u32 v1, v7, v73, 2
	s_delay_alu instid0(VALU_DEP_3) | instskip(NEXT) | instid1(VALU_DEP_3)
	v_fma_mixhi_f16 v6, v4, s8, 0
	v_fma_mixhi_f16 v5, v2, s8, 0
	ds_store_b64 v1, v[5:6] offset:3264
.LBB59_8:
	s_or_b32 exec_lo, exec_lo, s9
	s_ashr_i32 s23, s22, 31
	s_ashr_i32 s16, s41, 31
	s_cmp_eq_u64 s[26:27], 0
	s_waitcnt lgkmcnt(0)
	s_barrier
	buffer_gl0_inv
	s_cbranch_scc1 .LBB59_10
; %bb.9:
	s_load_b32 s8, s[2:3], 0xd0
	s_mov_b32 s9, 0
	s_waitcnt lgkmcnt(0)
	s_mul_i32 s8, s8, s33
	s_delay_alu instid0(SALU_CYCLE_1) | instskip(NEXT) | instid1(SALU_CYCLE_1)
	s_add_i32 s8, s8, s13
	s_lshl_b64 s[8:9], s[8:9], 2
	s_delay_alu instid0(SALU_CYCLE_1)
	s_add_u32 s8, s26, s8
	s_addc_u32 s9, s27, s9
	s_load_b32 s40, s[8:9], 0x0
.LBB59_10:
	s_clause 0x1
	s_load_b64 s[42:43], s[2:3], 0x8c
	s_load_b128 s[8:11], s[2:3], 0x98
	s_ashr_i32 s26, s7, 1
	s_ashr_i32 s7, s33, 31
	s_load_b64 s[44:45], s[2:3], 0xa8
	s_mul_i32 s17, s6, s12
	v_lshlrev_b32_e32 v49, 2, v60
	v_mov_b32_e32 v79, 0
	v_dual_mov_b32 v71, 0 :: v_dual_lshlrev_b32 v66, 2, v73
	v_lshl_add_u32 v83, v70, 5, v60
	v_lshrrev_b32_e32 v85, 2, v60
	v_mul_u32_u24_e32 v82, 0x60, v60
	v_mul_u32_u24_e32 v81, 0x140, v70
	v_and_b32_e32 v84, 12, v49
	v_lshl_add_u32 v67, v70, 7, 0x16c0
	v_lshrrev_b32_e32 v78, 1, v60
	v_lshrrev_b32_e32 v76, 3, v60
	v_and_b32_e32 v77, 4, v49
	v_and_b32_e32 v75, 28, v49
	s_waitcnt lgkmcnt(0)
	s_ashr_i32 s27, s42, 2
	s_ashr_i32 s13, s10, 2
	s_mul_i32 s9, s33, s9
	s_mul_hi_u32 s10, s33, s8
	s_mul_i32 s41, s7, s8
	s_add_i32 s9, s10, s9
	s_mul_i32 s8, s33, s8
	s_add_i32 s9, s9, s41
	s_add_u32 s8, s18, s8
	s_addc_u32 s9, s19, s9
	s_sub_i32 s5, s5, s17
	s_xor_b32 s10, s23, s16
	s_add_i32 s16, s6, 1
	s_sub_i32 s17, s5, s12
	s_cmp_ge_u32 s5, s12
	s_mul_i32 s7, s7, s44
	s_cselect_b32 s6, s16, s6
	s_cselect_b32 s5, s17, s5
	s_add_i32 s16, s6, 1
	s_cmp_ge_u32 s5, s12
	s_mul_hi_u32 s12, s33, s44
	s_cselect_b32 s5, s16, s6
	s_mul_i32 s6, s33, s45
	s_xor_b32 s5, s5, s10
	s_mul_i32 s16, s33, s44
	s_sub_i32 s5, s5, s10
	v_mbcnt_lo_u32_b32 v65, -1, 0
	s_mul_i32 s10, s5, s43
	s_mul_i32 s5, s5, s11
	s_ashr_i32 s17, s10, 31
	s_add_u32 s41, s8, s10
	s_addc_u32 s42, s9, s17
	s_add_i32 s6, s12, s6
	s_mov_b32 s46, 0xfeffffff
	s_add_i32 s6, s6, s7
	s_add_u32 s7, s20, s16
	s_addc_u32 s6, s21, s6
	s_ashr_i32 s8, s5, 31
	s_add_u32 s18, s7, s5
	s_addc_u32 s19, s6, s8
	s_lshl_b32 s20, s14, 5
	s_sub_i32 s21, s40, 32
	s_delay_alu instid0(SALU_CYCLE_1)
	s_cmp_ge_i32 s20, s21
	s_cbranch_scc1 .LBB59_34
; %bb.11:
	v_or_b32_e32 v1, 1, v64
	v_mul_hi_u32 v4, s36, v64
	v_lshl_add_u32 v3, v70, 3, v85
	v_lshlrev_b32_e32 v6, 2, v84
	v_lshl_add_u32 v7, v70, 4, v78
	v_mul_hi_u32 v5, s36, v1
	v_mov_b32_e32 v68, 0
	v_lshl_add_u32 v9, v70, 2, v76
	v_dual_mov_b32 v69, 0 :: v_dual_add_nc_u32 v4, v64, v4
	v_mul_lo_u32 v2, s27, v83
	v_dual_mov_b32 v71, 0 :: v_dual_lshlrev_b32 v10, 2, v75
	v_add_nc_u32_e32 v5, v1, v5
	s_delay_alu instid0(VALU_DEP_4)
	v_lshrrev_b32_e32 v8, s37, v4
	v_mul_lo_u32 v4, s27, v3
	v_mul_u32_u24_e32 v12, 0xa0, v7
	v_cmp_gt_u32_e64 s6, 32, v3
	v_lshrrev_b32_e32 v5, s37, v5
	v_mul_lo_u32 v11, v8, s38
	v_mul_lo_u32 v8, s13, v9
	v_cmp_gt_u32_e64 s7, 16, v7
	v_cmp_gt_u32_e64 s8, 16, v9
	v_mul_lo_u32 v5, v5, s38
	v_mad_u32_u24 v92, 0xa0, v9, v10
	v_lshl_or_b32 v12, v77, 2, v12
	v_cmp_gt_u32_e64 s5, 32, v83
	v_sub_nc_u32_e32 v11, v64, v11
	v_ashrrev_i32_e32 v9, 31, v8
	v_mad_u32_u24 v86, 0x60, v83, 64
	s_cmp_lg_u64 s[34:35], 0
	v_sub_nc_u32_e32 v1, v1, v5
	v_ashrrev_i32_e32 v5, 31, v4
	v_mul_lo_u32 v90, v11, s26
	v_lshlrev_b64 v[58:59], 2, v[8:9]
	v_lshl_add_u32 v87, v73, 1, v67
	v_mul_lo_u32 v91, v1, s26
	v_mov_b32_e32 v1, 0xfeffffff
	v_mad_u32_u24 v88, 0x60, v3, v6
	v_mul_lo_u32 v6, s13, v7
	v_ashrrev_i32_e32 v3, 31, v2
	v_lshlrev_b64 v[54:55], 2, v[4:5]
	v_dual_mov_b32 v72, 0 :: v_dual_add_nc_u32 v89, 0x80, v12
	v_lshlrev_b32_e32 v93, 2, v84
	s_delay_alu instid0(VALU_DEP_4)
	v_lshlrev_b64 v[52:53], 2, v[2:3]
	v_mov_b32_e32 v2, 0xfeffffff
	v_ashrrev_i32_e32 v7, 31, v6
	v_mbcnt_lo_u32_b32 v94, -1, 0
	v_dual_mov_b32 v96, 0 :: v_dual_mov_b32 v95, 0
	s_cselect_b32 s43, -1, 0
	s_delay_alu instid0(VALU_DEP_3)
	v_lshlrev_b64 v[56:57], 2, v[6:7]
	s_add_u32 s16, s2, 0xd0
	s_addc_u32 s17, s3, 0
.LBB59_12:                              ; =>This Inner Loop Header: Depth=1
	s_mul_hi_i32 s11, s20, s27
	s_mul_i32 s10, s20, s27
	s_delay_alu instid0(SALU_CYCLE_1) | instskip(NEXT) | instid1(SALU_CYCLE_1)
	s_lshl_b64 s[10:11], s[10:11], 2
	s_add_u32 s9, s41, s10
	s_addc_u32 s10, s42, s11
	s_and_saveexec_b32 s11, s5
	s_cbranch_execz .LBB59_14
; %bb.13:                               ;   in Loop: Header=BB59_12 Depth=1
	v_add_co_u32 v3, vcc_lo, s9, v52
	v_add_co_ci_u32_e32 v4, vcc_lo, s10, v53, vcc_lo
	global_load_b128 v[3:6], v[3:4], off offset:64
	s_waitcnt vmcnt(0)
	ds_store_b128 v86, v[3:6]
.LBB59_14:                              ;   in Loop: Header=BB59_12 Depth=1
	s_or_b32 exec_lo, exec_lo, s11
	s_and_saveexec_b32 s11, s6
	s_cbranch_execz .LBB59_16
; %bb.15:                               ;   in Loop: Header=BB59_12 Depth=1
	v_add_co_u32 v3, vcc_lo, s9, v54
	v_add_co_ci_u32_e32 v4, vcc_lo, s10, v55, vcc_lo
	s_delay_alu instid0(VALU_DEP_2) | instskip(NEXT) | instid1(VALU_DEP_2)
	v_add_co_u32 v3, vcc_lo, v3, v93
	v_add_co_ci_u32_e32 v4, vcc_lo, 0, v4, vcc_lo
	global_load_b128 v[3:6], v[3:4], off
	s_waitcnt vmcnt(0)
	ds_store_b128 v88, v[3:6]
.LBB59_16:                              ;   in Loop: Header=BB59_12 Depth=1
	s_or_b32 exec_lo, exec_lo, s11
	s_waitcnt lgkmcnt(0)
	s_barrier
	buffer_gl0_inv
	ds_load_b128 v[5:8], v82
	ds_load_b128 v[9:12], v81 offset:3264
	ds_load_b128 v[13:16], v81 offset:3424
	v_dual_mov_b32 v4, 0 :: v_dual_mov_b32 v3, 0
	s_waitcnt lgkmcnt(1)
	;;#ASMSTART
	v_dot2_f32_f16 v4, v5, v9, v4
	;;#ASMEND
	;;#ASMSTART
	v_dot2_f32_f16 v4, v6, v10, v4
	;;#ASMEND
	;;#ASMSTART
	v_dot2_f32_f16 v4, v7, v11, v4
	;;#ASMEND
	;;#ASMSTART
	v_dot2_f32_f16 v4, v8, v12, v4
	;;#ASMEND
	s_waitcnt lgkmcnt(0)
	;;#ASMSTART
	v_dot2_f32_f16 v3, v5, v13, v3
	;;#ASMEND
	;;#ASMSTART
	v_dot2_f32_f16 v3, v6, v14, v3
	;;#ASMEND
	;;#ASMSTART
	v_dot2_f32_f16 v3, v7, v15, v3
	;;#ASMEND
	;;#ASMSTART
	v_dot2_f32_f16 v3, v8, v16, v3
	;;#ASMEND
	ds_load_b128 v[5:8], v82 offset:16
	ds_load_b128 v[9:12], v81 offset:3280
	ds_load_b128 v[13:16], v81 offset:3440
	s_waitcnt lgkmcnt(1)
	;;#ASMSTART
	v_dot2_f32_f16 v4, v5, v9, v4
	;;#ASMEND
	;;#ASMSTART
	v_dot2_f32_f16 v4, v6, v10, v4
	;;#ASMEND
	;;#ASMSTART
	v_dot2_f32_f16 v4, v7, v11, v4
	;;#ASMEND
	;;#ASMSTART
	v_dot2_f32_f16 v4, v8, v12, v4
	;;#ASMEND
	s_waitcnt lgkmcnt(0)
	;;#ASMSTART
	v_dot2_f32_f16 v3, v5, v13, v3
	;;#ASMEND
	;;#ASMSTART
	v_dot2_f32_f16 v3, v6, v14, v3
	;;#ASMEND
	;;#ASMSTART
	v_dot2_f32_f16 v3, v7, v15, v3
	;;#ASMEND
	;;#ASMSTART
	v_dot2_f32_f16 v3, v8, v16, v3
	;;#ASMEND
	ds_load_b128 v[5:8], v82 offset:32
	ds_load_b128 v[9:12], v81 offset:3296
	ds_load_b128 v[13:16], v81 offset:3456
	;; [unrolled: 29-line block ×4, first 2 shown]
	s_waitcnt lgkmcnt(1)
	;;#ASMSTART
	v_dot2_f32_f16 v4, v5, v9, v4
	;;#ASMEND
	;;#ASMSTART
	v_dot2_f32_f16 v4, v6, v10, v4
	;;#ASMEND
	;; [unrolled: 3-line block ×4, first 2 shown]
	s_waitcnt lgkmcnt(0)
	;;#ASMSTART
	v_dot2_f32_f16 v3, v5, v13, v3
	;;#ASMEND
	;;#ASMSTART
	v_dot2_f32_f16 v3, v6, v14, v3
	;;#ASMEND
	;; [unrolled: 3-line block ×4, first 2 shown]
	s_barrier
	buffer_gl0_inv
	s_and_saveexec_b32 s11, s5
	s_cbranch_execz .LBB59_18
; %bb.17:                               ;   in Loop: Header=BB59_12 Depth=1
	v_add_co_u32 v5, vcc_lo, s9, v52
	v_add_co_ci_u32_e32 v6, vcc_lo, s10, v53, vcc_lo
	global_load_b128 v[5:8], v[5:6], off offset:144
	s_waitcnt vmcnt(0)
	ds_store_b128 v86, v[5:8]
.LBB59_18:                              ;   in Loop: Header=BB59_12 Depth=1
	s_or_b32 exec_lo, exec_lo, s11
	s_and_saveexec_b32 s11, s6
	s_cbranch_execz .LBB59_20
; %bb.19:                               ;   in Loop: Header=BB59_12 Depth=1
	v_add_co_u32 v5, vcc_lo, s9, v54
	v_add_co_ci_u32_e32 v6, vcc_lo, s10, v55, vcc_lo
	s_delay_alu instid0(VALU_DEP_2) | instskip(NEXT) | instid1(VALU_DEP_2)
	v_add_co_u32 v5, vcc_lo, v5, v93
	v_add_co_ci_u32_e32 v6, vcc_lo, 0, v6, vcc_lo
	global_load_b128 v[5:8], v[5:6], off offset:80
	s_waitcnt vmcnt(0)
	ds_store_b128 v88, v[5:8]
.LBB59_20:                              ;   in Loop: Header=BB59_12 Depth=1
	s_or_b32 exec_lo, exec_lo, s11
	s_waitcnt lgkmcnt(0)
	s_barrier
	buffer_gl0_inv
	ds_load_b128 v[5:8], v82
	ds_load_b128 v[9:12], v81 offset:3344
	ds_load_b128 v[13:16], v81 offset:3504
	s_and_not1_b32 vcc_lo, exec_lo, s43
	s_waitcnt lgkmcnt(1)
	;;#ASMSTART
	v_dot2_f32_f16 v4, v5, v9, v4
	;;#ASMEND
	;;#ASMSTART
	v_dot2_f32_f16 v4, v6, v10, v4
	;;#ASMEND
	;;#ASMSTART
	v_dot2_f32_f16 v4, v7, v11, v4
	;;#ASMEND
	;;#ASMSTART
	v_dot2_f32_f16 v4, v8, v12, v4
	;;#ASMEND
	s_waitcnt lgkmcnt(0)
	;;#ASMSTART
	v_dot2_f32_f16 v3, v5, v13, v3
	;;#ASMEND
	;;#ASMSTART
	v_dot2_f32_f16 v3, v6, v14, v3
	;;#ASMEND
	;;#ASMSTART
	v_dot2_f32_f16 v3, v7, v15, v3
	;;#ASMEND
	;;#ASMSTART
	v_dot2_f32_f16 v3, v8, v16, v3
	;;#ASMEND
	ds_load_b128 v[5:8], v82 offset:16
	ds_load_b128 v[9:12], v81 offset:3360
	ds_load_b128 v[13:16], v81 offset:3520
	s_waitcnt lgkmcnt(1)
	;;#ASMSTART
	v_dot2_f32_f16 v4, v5, v9, v4
	;;#ASMEND
	;;#ASMSTART
	v_dot2_f32_f16 v4, v6, v10, v4
	;;#ASMEND
	;;#ASMSTART
	v_dot2_f32_f16 v4, v7, v11, v4
	;;#ASMEND
	;;#ASMSTART
	v_dot2_f32_f16 v4, v8, v12, v4
	;;#ASMEND
	s_waitcnt lgkmcnt(0)
	;;#ASMSTART
	v_dot2_f32_f16 v3, v5, v13, v3
	;;#ASMEND
	;;#ASMSTART
	v_dot2_f32_f16 v3, v6, v14, v3
	;;#ASMEND
	;;#ASMSTART
	v_dot2_f32_f16 v3, v7, v15, v3
	;;#ASMEND
	;;#ASMSTART
	v_dot2_f32_f16 v3, v8, v16, v3
	;;#ASMEND
	ds_load_b128 v[5:8], v82 offset:32
	ds_load_b128 v[9:12], v81 offset:3376
	ds_load_b128 v[13:16], v81 offset:3536
	;; [unrolled: 29-line block ×4, first 2 shown]
	v_dual_mov_b32 v5, 0 :: v_dual_add_nc_u32 v6, s20, v60
	v_mov_b32_e32 v7, 0
	s_waitcnt lgkmcnt(1)
	;;#ASMSTART
	v_dot2_f32_f16 v4, v8, v12, v4
	;;#ASMEND
	;;#ASMSTART
	v_dot2_f32_f16 v4, v9, v13, v4
	;;#ASMEND
	;; [unrolled: 3-line block ×4, first 2 shown]
	s_waitcnt lgkmcnt(0)
	;;#ASMSTART
	v_dot2_f32_f16 v3, v8, v16, v3
	;;#ASMEND
	;;#ASMSTART
	v_dot2_f32_f16 v3, v9, v17, v3
	;;#ASMEND
	;; [unrolled: 3-line block ×4, first 2 shown]
	s_cbranch_vccnz .LBB59_22
; %bb.21:                               ;   in Loop: Header=BB59_12 Depth=1
	v_add_nc_u32_e32 v7, v6, v90
	s_delay_alu instid0(VALU_DEP_1) | instskip(NEXT) | instid1(VALU_DEP_1)
	v_ashrrev_i32_e32 v8, 31, v7
	v_lshlrev_b64 v[7:8], 1, v[7:8]
	s_delay_alu instid0(VALU_DEP_1) | instskip(NEXT) | instid1(VALU_DEP_2)
	v_add_co_u32 v7, vcc_lo, s34, v7
	v_add_co_ci_u32_e32 v8, vcc_lo, s35, v8, vcc_lo
	flat_load_u16 v7, v[7:8]
	s_waitcnt vmcnt(0) lgkmcnt(0)
	v_cvt_f32_f16_e32 v7, v7
	s_delay_alu instid0(VALU_DEP_1)
	v_mul_f32_e32 v7, v74, v7
.LBB59_22:                              ;   in Loop: Header=BB59_12 Depth=1
	v_xor_b32_e32 v8, 16, v94
	s_delay_alu instid0(VALU_DEP_2) | instskip(SKIP_1) | instid1(VALU_DEP_3)
	v_dual_add_f32 v4, v4, v7 :: v_dual_max_f32 v9, v1, v1
	v_xor_b32_e32 v10, 8, v94
	v_cmp_gt_i32_e32 vcc_lo, 32, v8
	v_cndmask_b32_e32 v7, v94, v8, vcc_lo
	s_delay_alu instid0(VALU_DEP_4) | instskip(NEXT) | instid1(VALU_DEP_4)
	v_add_f32_e32 v8, 0x40051340, v4
	v_cmp_gt_i32_e32 vcc_lo, 32, v10
	s_delay_alu instid0(VALU_DEP_3) | instskip(NEXT) | instid1(VALU_DEP_3)
	v_lshlrev_b32_e32 v7, 2, v7
	v_dual_max_f32 v9, v9, v8 :: v_dual_cndmask_b32 v10, v94, v10
	ds_bpermute_b32 v8, v7, v9
	s_waitcnt lgkmcnt(0)
	v_dual_max_f32 v11, v8, v8 :: v_dual_lshlrev_b32 v8, 2, v10
	s_delay_alu instid0(VALU_DEP_1)
	v_max_f32_e32 v10, v9, v11
	v_xor_b32_e32 v11, 4, v94
	ds_bpermute_b32 v9, v8, v10
	v_cmp_gt_i32_e32 vcc_lo, 32, v11
	s_waitcnt lgkmcnt(0)
	v_dual_cndmask_b32 v11, v94, v11 :: v_dual_max_f32 v12, v9, v9
	s_delay_alu instid0(VALU_DEP_1) | instskip(NEXT) | instid1(VALU_DEP_2)
	v_lshlrev_b32_e32 v9, 2, v11
	v_max_f32_e32 v11, v10, v12
	v_xor_b32_e32 v12, 2, v94
	s_delay_alu instid0(VALU_DEP_1) | instskip(SKIP_4) | instid1(VALU_DEP_1)
	v_cmp_gt_i32_e32 vcc_lo, 32, v12
	v_cndmask_b32_e32 v12, v94, v12, vcc_lo
	ds_bpermute_b32 v10, v9, v11
	s_waitcnt lgkmcnt(0)
	v_dual_max_f32 v13, v10, v10 :: v_dual_lshlrev_b32 v10, 2, v12
	v_max_f32_e32 v11, v11, v13
	v_xor_b32_e32 v13, 1, v94
	ds_bpermute_b32 v12, v10, v11
	v_cmp_gt_i32_e32 vcc_lo, 32, v13
	v_cndmask_b32_e32 v13, v94, v13, vcc_lo
	s_and_not1_b32 vcc_lo, exec_lo, s43
	s_waitcnt lgkmcnt(0)
	v_max_f32_e32 v14, v12, v12
	s_delay_alu instid0(VALU_DEP_1)
	v_dual_max_f32 v11, v11, v14 :: v_dual_lshlrev_b32 v12, 2, v13
	ds_bpermute_b32 v13, v12, v11
	s_cbranch_vccnz .LBB59_24
; %bb.23:                               ;   in Loop: Header=BB59_12 Depth=1
	v_add_nc_u32_e32 v5, v6, v91
	s_delay_alu instid0(VALU_DEP_1) | instskip(NEXT) | instid1(VALU_DEP_1)
	v_ashrrev_i32_e32 v6, 31, v5
	v_lshlrev_b64 v[5:6], 1, v[5:6]
	s_delay_alu instid0(VALU_DEP_1) | instskip(NEXT) | instid1(VALU_DEP_2)
	v_add_co_u32 v5, vcc_lo, s34, v5
	v_add_co_ci_u32_e32 v6, vcc_lo, s35, v6, vcc_lo
	flat_load_u16 v5, v[5:6]
	s_waitcnt vmcnt(0) lgkmcnt(0)
	v_cvt_f32_f16_e32 v5, v5
	s_delay_alu instid0(VALU_DEP_1)
	v_mul_f32_e32 v5, v74, v5
.LBB59_24:                              ;   in Loop: Header=BB59_12 Depth=1
	s_delay_alu instid0(VALU_DEP_1) | instskip(SKIP_3) | instid1(VALU_DEP_2)
	v_add_f32_e32 v3, v3, v5
	v_max_f32_e32 v5, v2, v2
	s_mul_hi_i32 s45, s20, s13
	s_mul_i32 s44, s20, s13
	v_dual_add_f32 v6, 0x40051340, v3 :: v_dual_lshlrev_b32 v101, 2, v77
	s_lshl_b64 s[44:45], s[44:45], 2
	s_waitcnt lgkmcnt(0)
	s_add_u32 s44, s18, s44
	s_addc_u32 s45, s19, s45
	v_max_f32_e32 v5, v5, v6
	s_barrier
	buffer_gl0_inv
	ds_bpermute_b32 v6, v7, v5
	s_waitcnt lgkmcnt(0)
	v_dual_max_f32 v7, v13, v13 :: v_dual_max_f32 v6, v6, v6
	s_delay_alu instid0(VALU_DEP_1) | instskip(SKIP_2) | instid1(VALU_DEP_1)
	v_max_f32_e32 v5, v5, v6
	ds_bpermute_b32 v6, v8, v5
	v_max_f32_e32 v8, v11, v11
	v_max_f32_e32 v50, v8, v7
	s_delay_alu instid0(VALU_DEP_1) | instskip(SKIP_1) | instid1(VALU_DEP_1)
	v_sub_f32_e32 v4, v4, v50
	v_sub_f32_e32 v99, v1, v50
	v_cmp_ngt_f32_e64 s9, 0xc2ce8ed0, v99
	s_waitcnt lgkmcnt(0)
	v_max_f32_e32 v6, v6, v6
	s_delay_alu instid0(VALU_DEP_1) | instskip(SKIP_3) | instid1(VALU_DEP_1)
	v_max_f32_e32 v5, v5, v6
	ds_bpermute_b32 v6, v9, v5
	s_waitcnt lgkmcnt(0)
	v_max_f32_e32 v6, v6, v6
	v_max_f32_e32 v5, v5, v6
	ds_bpermute_b32 v6, v10, v5
	s_waitcnt lgkmcnt(0)
	v_max_f32_e32 v6, v6, v6
	s_delay_alu instid0(VALU_DEP_1) | instskip(SKIP_3) | instid1(VALU_DEP_1)
	v_max_f32_e32 v5, v5, v6
	ds_bpermute_b32 v6, v12, v5
	s_waitcnt lgkmcnt(0)
	v_max_f32_e32 v6, v6, v6
	v_max_f32_e32 v51, v5, v6
	v_mul_f32_e32 v5, 0x3fb8aa3b, v4
	s_delay_alu instid0(VALU_DEP_2) | instskip(NEXT) | instid1(VALU_DEP_2)
	v_sub_f32_e32 v3, v3, v51
	v_fma_f32 v7, 0x3fb8aa3b, v4, -v5
	v_rndne_f32_e32 v8, v5
	s_delay_alu instid0(VALU_DEP_1) | instskip(NEXT) | instid1(VALU_DEP_3)
	v_dual_mul_f32 v6, 0x3fb8aa3b, v3 :: v_dual_sub_f32 v5, v5, v8
	v_fmac_f32_e32 v7, 0x32a5705f, v4
	v_cmp_ngt_f32_e32 vcc_lo, 0xc2ce8ed0, v4
	s_delay_alu instid0(VALU_DEP_3) | instskip(SKIP_1) | instid1(VALU_DEP_4)
	v_fma_f32 v9, 0x3fb8aa3b, v3, -v6
	v_rndne_f32_e32 v10, v6
	v_add_f32_e32 v5, v5, v7
	v_cvt_i32_f32_e32 v7, v8
	s_delay_alu instid0(VALU_DEP_3) | instskip(SKIP_1) | instid1(VALU_DEP_4)
	v_dual_fmac_f32 v9, 0x32a5705f, v3 :: v_dual_sub_f32 v6, v6, v10
	v_cvt_i32_f32_e32 v8, v10
	v_exp_f32_e32 v5, v5
	s_delay_alu instid0(VALU_DEP_2) | instskip(NEXT) | instid1(VALU_DEP_1)
	v_add_f32_e32 v6, v6, v9
	v_exp_f32_e32 v6, v6
	s_waitcnt_depctr 0xfff
	v_ldexp_f32 v5, v5, v7
	s_delay_alu instid0(VALU_DEP_1) | instskip(SKIP_2) | instid1(VALU_DEP_1)
	v_cndmask_b32_e32 v5, 0, v5, vcc_lo
	v_cmp_ngt_f32_e32 vcc_lo, 0xc2ce8ed0, v3
	v_ldexp_f32 v6, v6, v8
	v_cndmask_b32_e32 v6, 0, v6, vcc_lo
	v_cmp_nlt_f32_e32 vcc_lo, 0x42b17218, v4
	v_cndmask_b32_e32 v80, 0x7f800000, v5, vcc_lo
	v_cmp_nlt_f32_e32 vcc_lo, 0x42b17218, v3
	v_sub_f32_e32 v100, v2, v51
	s_delay_alu instid0(VALU_DEP_3) | instskip(SKIP_2) | instid1(VALU_DEP_4)
	v_cvt_f16_f32_e32 v1, v80
	v_cndmask_b32_e32 v79, 0x7f800000, v6, vcc_lo
	v_cmp_nlt_f32_e32 vcc_lo, 0x42b17218, v99
	v_cmp_ngt_f32_e64 s11, 0xc2ce8ed0, v100
	v_cmp_nlt_f32_e64 s10, 0x42b17218, v100
	s_delay_alu instid0(VALU_DEP_4) | instskip(NEXT) | instid1(VALU_DEP_1)
	v_cvt_f16_f32_e32 v2, v79
	v_pack_b32_f16 v1, v1, v2
	ds_store_b32 v87, v1
	s_and_saveexec_b32 s46, s7
	s_cbranch_execz .LBB59_26
; %bb.25:                               ;   in Loop: Header=BB59_12 Depth=1
	v_add_co_u32 v1, s12, s44, v56
	s_delay_alu instid0(VALU_DEP_1) | instskip(NEXT) | instid1(VALU_DEP_2)
	v_add_co_ci_u32_e64 v2, s12, s45, v57, s12
	v_add_co_u32 v1, s12, v1, v101
	s_delay_alu instid0(VALU_DEP_1)
	v_add_co_ci_u32_e64 v2, s12, 0, v2, s12
	global_load_b128 v[1:4], v[1:2], off offset:128
	s_waitcnt vmcnt(0)
	ds_store_b128 v89, v[1:4]
.LBB59_26:                              ;   in Loop: Header=BB59_12 Depth=1
	s_or_b32 exec_lo, exec_lo, s46
	v_lshlrev_b32_e32 v102, 2, v75
	s_and_saveexec_b32 s46, s8
	s_cbranch_execz .LBB59_28
; %bb.27:                               ;   in Loop: Header=BB59_12 Depth=1
	v_add_co_u32 v1, s12, s44, v58
	s_delay_alu instid0(VALU_DEP_1) | instskip(NEXT) | instid1(VALU_DEP_2)
	v_add_co_ci_u32_e64 v2, s12, s45, v59, s12
	v_add_co_u32 v1, s12, v1, v102
	s_delay_alu instid0(VALU_DEP_1)
	v_add_co_ci_u32_e64 v2, s12, 0, v2, s12
	global_load_b128 v[1:4], v[1:2], off
	s_waitcnt vmcnt(0)
	ds_store_b128 v92, v[1:4]
.LBB59_28:                              ;   in Loop: Header=BB59_12 Depth=1
	s_or_b32 exec_lo, exec_lo, s46
	s_waitcnt lgkmcnt(0)
	s_barrier
	buffer_gl0_inv
	ds_load_2addr_b64 v[41:44], v66 offset1:20
	ds_load_b128 v[33:36], v67
	ds_load_b128 v[25:28], v67 offset:16
	ds_load_b128 v[9:12], v67 offset:32
	;; [unrolled: 1-line block ×3, first 2 shown]
	ds_load_2addr_b64 v[37:40], v66 offset0:40 offset1:60
	ds_load_2addr_b64 v[29:32], v66 offset0:80 offset1:100
	v_add_nc_u32_e32 v98, 0x400, v66
	v_add_nc_u32_e32 v97, 0x800, v66
	ds_load_2addr_b64 v[45:48], v66 offset0:120 offset1:140
	ds_load_2addr_b64 v[21:24], v66 offset0:160 offset1:180
	;; [unrolled: 1-line block ×5, first 2 shown]
	s_or_b32 s12, s20, 16
	s_waitcnt lgkmcnt(0)
	s_mul_hi_i32 s45, s12, s13
	s_mul_i32 s44, s12, s13
	s_barrier
	s_lshl_b64 s[44:45], s[44:45], 2
	buffer_gl0_inv
	s_add_u32 s44, s18, s44
	s_addc_u32 s45, s19, s45
	s_and_saveexec_b32 s46, s7
	s_cbranch_execz .LBB59_30
; %bb.29:                               ;   in Loop: Header=BB59_12 Depth=1
	v_add_co_u32 v103, s12, s44, v56
	s_delay_alu instid0(VALU_DEP_1) | instskip(NEXT) | instid1(VALU_DEP_2)
	v_add_co_ci_u32_e64 v104, s12, s45, v57, s12
	v_add_co_u32 v103, s12, v103, v101
	s_delay_alu instid0(VALU_DEP_1)
	v_add_co_ci_u32_e64 v104, s12, 0, v104, s12
	global_load_b128 v[103:106], v[103:104], off offset:128
	s_waitcnt vmcnt(0)
	ds_store_b128 v89, v[103:106]
.LBB59_30:                              ;   in Loop: Header=BB59_12 Depth=1
	s_or_b32 exec_lo, exec_lo, s46
	s_and_saveexec_b32 s46, s8
	s_cbranch_execz .LBB59_32
; %bb.31:                               ;   in Loop: Header=BB59_12 Depth=1
	v_add_co_u32 v101, s12, s44, v58
	s_delay_alu instid0(VALU_DEP_1) | instskip(NEXT) | instid1(VALU_DEP_2)
	v_add_co_ci_u32_e64 v103, s12, s45, v59, s12
	v_add_co_u32 v101, s12, v101, v102
	s_delay_alu instid0(VALU_DEP_1)
	v_add_co_ci_u32_e64 v102, s12, 0, v103, s12
	global_load_b128 v[101:104], v[101:102], off
	s_waitcnt vmcnt(0)
	ds_store_b128 v92, v[101:104]
.LBB59_32:                              ;   in Loop: Header=BB59_12 Depth=1
	s_or_b32 exec_lo, exec_lo, s46
	v_dual_mul_f32 v101, 0x3fb8aa3b, v99 :: v_dual_mul_f32 v102, 0x3fb8aa3b, v100
	s_waitcnt lgkmcnt(0)
	s_barrier
	buffer_gl0_inv
	v_fma_f32 v103, 0x3fb8aa3b, v99, -v101
	v_fma_f32 v104, 0x3fb8aa3b, v100, -v102
	v_rndne_f32_e32 v105, v102
	v_rndne_f32_e32 v106, v101
	s_delay_alu instid0(VALU_DEP_3) | instskip(NEXT) | instid1(VALU_DEP_2)
	v_dual_fmac_f32 v103, 0x32a5705f, v99 :: v_dual_fmac_f32 v104, 0x32a5705f, v100
	v_dual_sub_f32 v99, v102, v105 :: v_dual_sub_f32 v100, v101, v106
	v_cvt_i32_f32_e32 v101, v105
	v_cvt_i32_f32_e32 v102, v106
	s_delay_alu instid0(VALU_DEP_3) | instskip(SKIP_1) | instid1(VALU_DEP_2)
	v_dual_add_f32 v99, v99, v104 :: v_dual_add_f32 v100, v100, v103
	v_pk_mul_f16 v104, v42, v33 op_sel_hi:[1,0]
	v_exp_f32_e32 v99, v99
	s_delay_alu instid0(VALU_DEP_2)
	v_exp_f32_e32 v100, v100
	s_waitcnt_depctr 0xfff
	v_ldexp_f32 v99, v99, v101
	v_ldexp_f32 v100, v100, v102
	v_pk_mul_f16 v101, v41, v33 op_sel_hi:[1,0]
	v_pk_mul_f16 v41, v41, v33 op_sel:[0,1]
	s_delay_alu instid0(VALU_DEP_4) | instskip(NEXT) | instid1(VALU_DEP_4)
	v_cndmask_b32_e64 v99, 0, v99, s11
	v_cndmask_b32_e64 v100, 0, v100, s9
	s_delay_alu instid0(VALU_DEP_2) | instskip(NEXT) | instid1(VALU_DEP_1)
	v_cndmask_b32_e64 v99, 0x7f800000, v99, s10
	v_dual_cndmask_b32 v100, 0x7f800000, v100 :: v_dual_fmac_f32 v79, v95, v99
	v_cvt_f16_f32_e32 v102, v99
	s_delay_alu instid0(VALU_DEP_2) | instskip(SKIP_1) | instid1(VALU_DEP_3)
	v_cvt_f16_f32_e32 v103, v100
	v_fmac_f32_e32 v80, v96, v100
	v_pk_mul_f16 v68, v102, v68 op_sel_hi:[0,1]
	s_delay_alu instid0(VALU_DEP_3) | instskip(SKIP_2) | instid1(VALU_DEP_4)
	v_pk_fma_f16 v71, v103, v71, v101 op_sel_hi:[0,1,1]
	v_pk_fma_f16 v41, v102, v69, v41 op_sel_hi:[0,1,1]
	;; [unrolled: 1-line block ×3, first 2 shown]
	v_pk_fma_f16 v33, v42, v33, v68 op_sel:[0,1,0]
	s_delay_alu instid0(VALU_DEP_4) | instskip(NEXT) | instid1(VALU_DEP_4)
	v_pk_fma_f16 v42, v43, v34, v71 op_sel_hi:[1,0,1]
	v_pk_fma_f16 v41, v43, v34, v41 op_sel:[0,1,0]
	s_delay_alu instid0(VALU_DEP_4) | instskip(NEXT) | instid1(VALU_DEP_4)
	v_pk_fma_f16 v43, v44, v34, v69 op_sel_hi:[1,0,1]
	;; [unrolled: 3-line block ×19, first 2 shown]
	v_pk_fma_f16 v17, v17, v11, v21 op_sel:[0,1,0]
	s_delay_alu instid0(VALU_DEP_4)
	v_pk_fma_f16 v25, v18, v11, v23 op_sel_hi:[1,0,1]
	ds_load_2addr_b64 v[21:24], v66 offset1:20
	v_pk_fma_f16 v9, v18, v11, v9 op_sel:[0,1,0]
	v_pk_fma_f16 v10, v19, v12, v10 op_sel_hi:[1,0,1]
	v_pk_fma_f16 v11, v19, v12, v17 op_sel:[0,1,0]
	v_pk_fma_f16 v17, v20, v12, v25 op_sel_hi:[1,0,1]
	s_delay_alu instid0(VALU_DEP_4) | instskip(NEXT) | instid1(VALU_DEP_4)
	v_pk_fma_f16 v18, v20, v12, v9 op_sel:[0,1,0]
	v_pk_fma_f16 v25, v13, v1, v10 op_sel_hi:[1,0,1]
	s_delay_alu instid0(VALU_DEP_4)
	v_pk_fma_f16 v13, v13, v1, v11 op_sel:[0,1,0]
	ds_load_b128 v[9:12], v67 offset:64
	v_pk_fma_f16 v26, v14, v1, v17 op_sel_hi:[1,0,1]
	v_pk_fma_f16 v1, v14, v1, v18 op_sel:[0,1,0]
	ds_load_b128 v[17:20], v67 offset:80
	v_pk_fma_f16 v25, v15, v2, v25 op_sel_hi:[1,0,1]
	v_pk_fma_f16 v27, v15, v2, v13 op_sel:[0,1,0]
	v_pk_fma_f16 v26, v16, v2, v26 op_sel_hi:[1,0,1]
	v_pk_fma_f16 v1, v16, v2, v1 op_sel:[0,1,0]
	ds_load_2addr_b64 v[13:16], v66 offset0:40 offset1:60
	v_pk_fma_f16 v2, v5, v3, v25 op_sel_hi:[1,0,1]
	v_pk_fma_f16 v5, v5, v3, v27 op_sel:[0,1,0]
	v_pk_fma_f16 v33, v6, v3, v26 op_sel_hi:[1,0,1]
	v_pk_fma_f16 v1, v6, v3, v1 op_sel:[0,1,0]
	ds_load_b128 v[25:28], v67 offset:96
	ds_load_b128 v[29:32], v67 offset:112
	v_pk_fma_f16 v6, v7, v4, v2 op_sel_hi:[1,0,1]
	v_pk_fma_f16 v5, v7, v4, v5 op_sel:[0,1,0]
	v_pk_fma_f16 v7, v8, v4, v33 op_sel_hi:[1,0,1]
	v_pk_fma_f16 v8, v8, v4, v1 op_sel:[0,1,0]
	ds_load_2addr_b64 v[1:4], v66 offset0:80 offset1:100
	s_waitcnt lgkmcnt(5)
	v_pk_fma_f16 v33, v21, v9, v6 op_sel_hi:[1,0,1]
	v_pk_fma_f16 v21, v21, v9, v5 op_sel:[0,1,0]
	v_pk_fma_f16 v34, v22, v9, v7 op_sel_hi:[1,0,1]
	v_pk_fma_f16 v9, v22, v9, v8 op_sel:[0,1,0]
	ds_load_2addr_b64 v[5:8], v66 offset0:120 offset1:140
	v_pk_fma_f16 v33, v23, v10, v33 op_sel_hi:[1,0,1]
	v_pk_fma_f16 v35, v23, v10, v21 op_sel:[0,1,0]
	v_pk_fma_f16 v34, v24, v10, v34 op_sel_hi:[1,0,1]
	v_pk_fma_f16 v9, v24, v10, v9 op_sel:[0,1,0]
	ds_load_2addr_b64 v[21:24], v66 offset0:160 offset1:180
	s_waitcnt lgkmcnt(5)
	v_pk_fma_f16 v10, v13, v11, v33 op_sel_hi:[1,0,1]
	v_pk_fma_f16 v13, v13, v11, v35 op_sel:[0,1,0]
	v_pk_fma_f16 v37, v14, v11, v34 op_sel_hi:[1,0,1]
	v_pk_fma_f16 v9, v14, v11, v9 op_sel:[0,1,0]
	ds_load_2addr_b64 v[33:36], v66 offset0:200 offset1:220
	;; [unrolled: 11-line block ×3, first 2 shown]
	v_pk_fma_f16 v17, v3, v18, v37 op_sel_hi:[1,0,1]
	v_pk_fma_f16 v1, v3, v18, v1 op_sel:[0,1,0]
	v_pk_fma_f16 v3, v4, v18, v38 op_sel_hi:[1,0,1]
	v_pk_fma_f16 v2, v4, v18, v2 op_sel:[0,1,0]
	s_waitcnt lgkmcnt(0)
	v_pk_fma_f16 v4, v5, v19, v17 op_sel_hi:[1,0,1]
	v_pk_fma_f16 v1, v5, v19, v1 op_sel:[0,1,0]
	v_pk_fma_f16 v3, v6, v19, v3 op_sel_hi:[1,0,1]
	v_pk_fma_f16 v2, v6, v19, v2 op_sel:[0,1,0]
	s_barrier
	v_pk_fma_f16 v4, v7, v20, v4 op_sel_hi:[1,0,1]
	v_pk_fma_f16 v1, v7, v20, v1 op_sel:[0,1,0]
	v_pk_fma_f16 v3, v8, v20, v3 op_sel_hi:[1,0,1]
	v_pk_fma_f16 v2, v8, v20, v2 op_sel:[0,1,0]
	buffer_gl0_inv
	v_pk_fma_f16 v4, v21, v25, v4 op_sel_hi:[1,0,1]
	v_pk_fma_f16 v1, v21, v25, v1 op_sel:[0,1,0]
	v_pk_fma_f16 v3, v22, v25, v3 op_sel_hi:[1,0,1]
	v_pk_fma_f16 v2, v22, v25, v2 op_sel:[0,1,0]
	s_load_b32 s9, s[16:17], 0x4
	v_pk_fma_f16 v4, v23, v26, v4 op_sel_hi:[1,0,1]
	v_pk_fma_f16 v1, v23, v26, v1 op_sel:[0,1,0]
	v_pk_fma_f16 v3, v24, v26, v3 op_sel_hi:[1,0,1]
	v_pk_fma_f16 v2, v24, v26, v2 op_sel:[0,1,0]
	s_delay_alu instid0(VALU_DEP_4) | instskip(NEXT) | instid1(VALU_DEP_4)
	v_pk_fma_f16 v4, v33, v27, v4 op_sel_hi:[1,0,1]
	v_pk_fma_f16 v1, v33, v27, v1 op_sel:[0,1,0]
	s_delay_alu instid0(VALU_DEP_4) | instskip(NEXT) | instid1(VALU_DEP_4)
	;; [unrolled: 3-line block ×6, first 2 shown]
	v_pk_fma_f16 v3, v10, v29, v3 op_sel_hi:[1,0,1]
	v_pk_fma_f16 v2, v10, v29, v2 op_sel:[0,1,0]
	s_waitcnt lgkmcnt(0)
	s_lshl_b32 s9, s9, 5
	v_pk_fma_f16 v4, v11, v30, v4 op_sel_hi:[1,0,1]
	v_pk_fma_f16 v1, v11, v30, v1 op_sel:[0,1,0]
	v_pk_fma_f16 v3, v12, v30, v3 op_sel_hi:[1,0,1]
	v_pk_fma_f16 v2, v12, v30, v2 op_sel:[0,1,0]
	s_add_i32 s20, s9, s20
	v_pk_fma_f16 v4, v13, v31, v4 op_sel_hi:[1,0,1]
	v_pk_fma_f16 v1, v13, v31, v1 op_sel:[0,1,0]
	v_pk_fma_f16 v3, v14, v31, v3 op_sel_hi:[1,0,1]
	v_pk_fma_f16 v2, v14, v31, v2 op_sel:[0,1,0]
	s_cmp_lt_i32 s20, s21
	v_pk_fma_f16 v71, v15, v32, v4 op_sel_hi:[1,0,1]
	v_pk_fma_f16 v69, v15, v32, v1 op_sel:[0,1,0]
	v_pk_fma_f16 v72, v16, v32, v3 op_sel_hi:[1,0,1]
	v_pk_fma_f16 v68, v16, v32, v2 op_sel:[0,1,0]
	s_cbranch_scc0 .LBB59_35
; %bb.33:                               ;   in Loop: Header=BB59_12 Depth=1
	v_dual_mov_b32 v1, v50 :: v_dual_mov_b32 v2, v51
	v_dual_mov_b32 v96, v80 :: v_dual_mov_b32 v95, v79
	s_branch .LBB59_12
.LBB59_34:
	s_mov_b32 s47, s46
	v_dual_mov_b32 v80, 0 :: v_dual_mov_b32 v69, 0
	v_dual_mov_b32 v51, s47 :: v_dual_mov_b32 v50, s46
	v_mov_b32_e32 v72, 0
	v_mov_b32_e32 v68, 0
.LBB59_35:
	s_cmp_gt_i32 s40, s20
	s_cbranch_scc1 .LBB59_37
; %bb.36:
	v_mbcnt_lo_u32_b32 v1, -1, 0
	v_mov_b32_e32 v87, 32
	s_delay_alu instid0(VALU_DEP_2)
	v_xor_b32_e32 v58, 16, v1
	v_xor_b32_e32 v48, 8, v1
	;; [unrolled: 1-line block ×5, first 2 shown]
	s_cbranch_execz .LBB59_38
	s_branch .LBB59_65
.LBB59_37:
                                        ; implicit-def: $vgpr1
                                        ; implicit-def: $vgpr87
                                        ; implicit-def: $vgpr58
                                        ; implicit-def: $vgpr48
                                        ; implicit-def: $vgpr59
                                        ; implicit-def: $vgpr86
                                        ; implicit-def: $vgpr88
.LBB59_38:
	v_mul_lo_u32 v1, s27, v83
	s_mul_hi_i32 s7, s20, s27
	s_mul_i32 s6, s20, s27
	s_sub_i32 s10, s40, s20
	s_lshl_b64 s[6:7], s[6:7], 2
	v_cmp_gt_u32_e64 s5, 32, v83
	v_mad_u32_u24 v8, 0x60, v83, 64
	v_cmp_gt_i32_e32 vcc_lo, s10, v83
	v_ashrrev_i32_e32 v2, 31, v1
	s_add_u32 s11, s41, s6
	s_addc_u32 s12, s42, s7
	s_mov_b64 s[8:9], src_private_base
	s_delay_alu instid0(VALU_DEP_1)
	v_lshlrev_b64 v[4:5], 2, v[1:2]
	s_and_saveexec_b32 s7, s5
	s_cbranch_execz .LBB59_40
; %bb.39:
	s_delay_alu instid0(VALU_DEP_1) | instskip(NEXT) | instid1(VALU_DEP_1)
	v_add_co_u32 v2, s6, s11, v4
	v_add_co_ci_u32_e64 v3, s6, s12, v5, s6
	s_delay_alu instid0(VALU_DEP_2) | instskip(SKIP_1) | instid1(VALU_DEP_3)
	v_add_co_u32 v6, s6, v2, 64
	v_mov_b32_e32 v1, 0
	v_add_co_ci_u32_e64 v7, s6, 0, v3, s6
	s_delay_alu instid0(VALU_DEP_3) | instskip(NEXT) | instid1(VALU_DEP_2)
	v_cndmask_b32_e32 v6, 0, v6, vcc_lo
	v_dual_mov_b32 v2, v1 :: v_dual_cndmask_b32 v7, s9, v7
	v_mov_b32_e32 v3, v1
	s_clause 0x1
	scratch_store_b32 off, v1, off
	scratch_store_b96 off, v[1:3], off offset:4
	flat_load_b128 v[9:12], v[6:7]
	s_waitcnt vmcnt(0) lgkmcnt(0)
	ds_store_b128 v8, v[9:12]
.LBB59_40:
	s_or_b32 exec_lo, exec_lo, s7
	v_lshl_add_u32 v1, v70, 3, v85
	v_lshlrev_b32_e32 v10, 2, v84
	v_mov_b32_e32 v2, 0
	s_delay_alu instid0(VALU_DEP_3) | instskip(SKIP_1) | instid1(VALU_DEP_4)
	v_mul_lo_u32 v6, s27, v1
	v_cmp_gt_u32_e64 s7, 32, v1
	v_mad_u32_u24 v9, 0x60, v1, v10
	v_cmp_gt_i32_e64 s6, s10, v1
	s_delay_alu instid0(VALU_DEP_4) | instskip(NEXT) | instid1(VALU_DEP_1)
	v_ashrrev_i32_e32 v7, 31, v6
	v_lshlrev_b64 v[6:7], 2, v[6:7]
	s_and_saveexec_b32 s16, s7
	s_cbranch_execz .LBB59_42
; %bb.41:
	s_delay_alu instid0(VALU_DEP_1) | instskip(NEXT) | instid1(VALU_DEP_1)
	v_add_co_u32 v1, s8, s11, v6
	v_add_co_ci_u32_e64 v3, s8, s12, v7, s8
	s_delay_alu instid0(VALU_DEP_2) | instskip(NEXT) | instid1(VALU_DEP_1)
	v_add_co_u32 v11, s8, v1, v10
	v_add_co_ci_u32_e64 v12, s8, 0, v3, s8
	v_mov_b32_e32 v1, v2
	v_mov_b32_e32 v3, v2
	s_delay_alu instid0(VALU_DEP_4) | instskip(NEXT) | instid1(VALU_DEP_4)
	v_cndmask_b32_e64 v11, 0, v11, s6
	v_cndmask_b32_e64 v12, s9, v12, s6
	s_clause 0x1
	scratch_store_b32 off, v2, off
	scratch_store_b96 off, v[1:3], off offset:4
	flat_load_b128 v[11:14], v[11:12]
	s_waitcnt vmcnt(0) lgkmcnt(0)
	ds_store_b128 v9, v[11:14]
.LBB59_42:
	s_or_b32 exec_lo, exec_lo, s16
	s_waitcnt lgkmcnt(0)
	s_waitcnt_vscnt null, 0x0
	s_barrier
	buffer_gl0_inv
	ds_load_b128 v[11:14], v82
	ds_load_b128 v[15:18], v81 offset:3264
	ds_load_b128 v[19:22], v81 offset:3424
	v_mov_b32_e32 v3, 0
	s_waitcnt lgkmcnt(1)
	;;#ASMSTART
	v_dot2_f32_f16 v3, v11, v15, v3
	;;#ASMEND
	;;#ASMSTART
	v_dot2_f32_f16 v3, v12, v16, v3
	;;#ASMEND
	;;#ASMSTART
	v_dot2_f32_f16 v3, v13, v17, v3
	;;#ASMEND
	;;#ASMSTART
	v_dot2_f32_f16 v3, v14, v18, v3
	;;#ASMEND
	s_waitcnt lgkmcnt(0)
	;;#ASMSTART
	v_dot2_f32_f16 v2, v11, v19, v2
	;;#ASMEND
	;;#ASMSTART
	v_dot2_f32_f16 v2, v12, v20, v2
	;;#ASMEND
	;;#ASMSTART
	v_dot2_f32_f16 v2, v13, v21, v2
	;;#ASMEND
	;;#ASMSTART
	v_dot2_f32_f16 v2, v14, v22, v2
	;;#ASMEND
	ds_load_b128 v[11:14], v82 offset:16
	ds_load_b128 v[15:18], v81 offset:3280
	ds_load_b128 v[19:22], v81 offset:3440
	s_waitcnt lgkmcnt(1)
	;;#ASMSTART
	v_dot2_f32_f16 v3, v11, v15, v3
	;;#ASMEND
	;;#ASMSTART
	v_dot2_f32_f16 v3, v12, v16, v3
	;;#ASMEND
	;;#ASMSTART
	v_dot2_f32_f16 v3, v13, v17, v3
	;;#ASMEND
	;;#ASMSTART
	v_dot2_f32_f16 v3, v14, v18, v3
	;;#ASMEND
	s_waitcnt lgkmcnt(0)
	;;#ASMSTART
	v_dot2_f32_f16 v2, v11, v19, v2
	;;#ASMEND
	;;#ASMSTART
	v_dot2_f32_f16 v2, v12, v20, v2
	;;#ASMEND
	;;#ASMSTART
	v_dot2_f32_f16 v2, v13, v21, v2
	;;#ASMEND
	;;#ASMSTART
	v_dot2_f32_f16 v2, v14, v22, v2
	;;#ASMEND
	ds_load_b128 v[11:14], v82 offset:32
	ds_load_b128 v[15:18], v81 offset:3296
	ds_load_b128 v[19:22], v81 offset:3456
	;; [unrolled: 29-line block ×4, first 2 shown]
	s_waitcnt lgkmcnt(1)
	;;#ASMSTART
	v_dot2_f32_f16 v3, v11, v15, v3
	;;#ASMEND
	;;#ASMSTART
	v_dot2_f32_f16 v3, v12, v16, v3
	;;#ASMEND
	;; [unrolled: 3-line block ×4, first 2 shown]
	s_waitcnt lgkmcnt(0)
	;;#ASMSTART
	v_dot2_f32_f16 v2, v11, v19, v2
	;;#ASMEND
	;;#ASMSTART
	v_dot2_f32_f16 v2, v12, v20, v2
	;;#ASMEND
	;; [unrolled: 3-line block ×4, first 2 shown]
	s_barrier
	buffer_gl0_inv
	s_and_saveexec_b32 s8, s5
	s_cbranch_execz .LBB59_44
; %bb.43:
	v_add_co_u32 v1, s5, s11, v4
	s_delay_alu instid0(VALU_DEP_1) | instskip(NEXT) | instid1(VALU_DEP_2)
	v_add_co_ci_u32_e64 v4, s5, s12, v5, s5
	v_add_co_u32 v1, s5, 0x90, v1
	v_mov_b32_e32 v11, 0
	s_delay_alu instid0(VALU_DEP_3) | instskip(NEXT) | instid1(VALU_DEP_1)
	v_add_co_ci_u32_e64 v4, s5, 0, v4, s5
	v_cndmask_b32_e32 v5, s9, v4, vcc_lo
	s_delay_alu instid0(VALU_DEP_4) | instskip(NEXT) | instid1(VALU_DEP_4)
	v_cndmask_b32_e32 v4, 0, v1, vcc_lo
	v_mov_b32_e32 v12, v11
	v_mov_b32_e32 v13, v11
	s_clause 0x1
	scratch_store_b32 off, v11, off
	scratch_store_b96 off, v[11:13], off offset:4
	flat_load_b128 v[11:14], v[4:5]
	s_waitcnt vmcnt(0) lgkmcnt(0)
	ds_store_b128 v8, v[11:14]
.LBB59_44:
	s_or_b32 exec_lo, exec_lo, s8
	s_and_saveexec_b32 s5, s7
	s_cbranch_execz .LBB59_46
; %bb.45:
	v_add_co_u32 v1, vcc_lo, s11, v6
	v_add_co_ci_u32_e32 v4, vcc_lo, s12, v7, vcc_lo
	s_delay_alu instid0(VALU_DEP_2) | instskip(NEXT) | instid1(VALU_DEP_2)
	v_add_co_u32 v1, vcc_lo, v1, v10
	v_add_co_ci_u32_e32 v5, vcc_lo, 0, v4, vcc_lo
	v_mov_b32_e32 v4, 0
	s_delay_alu instid0(VALU_DEP_3) | instskip(NEXT) | instid1(VALU_DEP_3)
	v_add_co_u32 v1, vcc_lo, 0x50, v1
	v_add_co_ci_u32_e32 v7, vcc_lo, 0, v5, vcc_lo
	s_delay_alu instid0(VALU_DEP_3)
	v_mov_b32_e32 v5, v4
	v_mov_b32_e32 v6, v4
	s_clause 0x1
	scratch_store_b32 off, v4, off
	scratch_store_b96 off, v[4:6], off offset:4
	v_cndmask_b32_e64 v8, s9, v7, s6
	v_cndmask_b32_e64 v7, 0, v1, s6
	flat_load_b128 v[4:7], v[7:8]
	s_waitcnt vmcnt(0) lgkmcnt(0)
	ds_store_b128 v9, v[4:7]
.LBB59_46:
	s_or_b32 exec_lo, exec_lo, s5
	s_waitcnt lgkmcnt(0)
	s_waitcnt_vscnt null, 0x0
	s_barrier
	buffer_gl0_inv
	ds_load_b128 v[4:7], v82
	ds_load_b128 v[8:11], v81 offset:3344
	ds_load_b128 v[12:15], v81 offset:3504
	s_cmp_lg_u64 s[34:35], 0
	v_cmp_gt_i32_e64 s5, s10, v60
	s_cselect_b32 s7, -1, 0
	v_add_nc_u32_e32 v1, s20, v60
	s_waitcnt lgkmcnt(1)
	;;#ASMSTART
	v_dot2_f32_f16 v3, v4, v8, v3
	;;#ASMEND
	;;#ASMSTART
	v_dot2_f32_f16 v3, v5, v9, v3
	;;#ASMEND
	;;#ASMSTART
	v_dot2_f32_f16 v3, v6, v10, v3
	;;#ASMEND
	;;#ASMSTART
	v_dot2_f32_f16 v3, v7, v11, v3
	;;#ASMEND
	s_waitcnt lgkmcnt(0)
	;;#ASMSTART
	v_dot2_f32_f16 v2, v4, v12, v2
	;;#ASMEND
	;;#ASMSTART
	v_dot2_f32_f16 v2, v5, v13, v2
	;;#ASMEND
	;;#ASMSTART
	v_dot2_f32_f16 v2, v6, v14, v2
	;;#ASMEND
	;;#ASMSTART
	v_dot2_f32_f16 v2, v7, v15, v2
	;;#ASMEND
	ds_load_b128 v[4:7], v82 offset:16
	ds_load_b128 v[8:11], v81 offset:3360
	ds_load_b128 v[12:15], v81 offset:3520
	s_waitcnt lgkmcnt(1)
	;;#ASMSTART
	v_dot2_f32_f16 v3, v4, v8, v3
	;;#ASMEND
	;;#ASMSTART
	v_dot2_f32_f16 v3, v5, v9, v3
	;;#ASMEND
	;;#ASMSTART
	v_dot2_f32_f16 v3, v6, v10, v3
	;;#ASMEND
	;;#ASMSTART
	v_dot2_f32_f16 v3, v7, v11, v3
	;;#ASMEND
	s_waitcnt lgkmcnt(0)
	;;#ASMSTART
	v_dot2_f32_f16 v2, v4, v12, v2
	;;#ASMEND
	;;#ASMSTART
	v_dot2_f32_f16 v2, v5, v13, v2
	;;#ASMEND
	;;#ASMSTART
	v_dot2_f32_f16 v2, v6, v14, v2
	;;#ASMEND
	;;#ASMSTART
	v_dot2_f32_f16 v2, v7, v15, v2
	;;#ASMEND
	ds_load_b128 v[4:7], v82 offset:32
	ds_load_b128 v[8:11], v81 offset:3376
	ds_load_b128 v[12:15], v81 offset:3536
	s_waitcnt lgkmcnt(1)
	;;#ASMSTART
	v_dot2_f32_f16 v3, v4, v8, v3
	;;#ASMEND
	;;#ASMSTART
	v_dot2_f32_f16 v3, v5, v9, v3
	;;#ASMEND
	;;#ASMSTART
	v_dot2_f32_f16 v3, v6, v10, v3
	;;#ASMEND
	;;#ASMSTART
	v_dot2_f32_f16 v3, v7, v11, v3
	;;#ASMEND
	s_waitcnt lgkmcnt(0)
	;;#ASMSTART
	v_dot2_f32_f16 v2, v4, v12, v2
	;;#ASMEND
	;;#ASMSTART
	v_dot2_f32_f16 v2, v5, v13, v2
	;;#ASMEND
	;;#ASMSTART
	v_dot2_f32_f16 v2, v6, v14, v2
	;;#ASMEND
	;;#ASMSTART
	v_dot2_f32_f16 v2, v7, v15, v2
	;;#ASMEND
	ds_load_b128 v[4:7], v82 offset:48
	ds_load_b128 v[8:11], v81 offset:3392
	ds_load_b128 v[12:15], v81 offset:3552
	s_waitcnt lgkmcnt(1)
	;;#ASMSTART
	v_dot2_f32_f16 v3, v4, v8, v3
	;;#ASMEND
	;;#ASMSTART
	v_dot2_f32_f16 v3, v5, v9, v3
	;;#ASMEND
	;; [unrolled: 3-line block ×4, first 2 shown]
	s_waitcnt lgkmcnt(0)
	;;#ASMSTART
	v_dot2_f32_f16 v2, v4, v12, v2
	;;#ASMEND
	;;#ASMSTART
	v_dot2_f32_f16 v2, v5, v13, v2
	;;#ASMEND
	;; [unrolled: 3-line block ×3, first 2 shown]
	v_mov_b32_e32 v6, v50
	;;#ASMSTART
	v_dot2_f32_f16 v2, v7, v15, v2
	;;#ASMEND
	ds_load_b128 v[7:10], v82 offset:64
	ds_load_b128 v[11:14], v81 offset:3408
	;; [unrolled: 1-line block ×3, first 2 shown]
	v_cndmask_b32_e64 v4, 0, 1, s7
	s_waitcnt lgkmcnt(1)
	;;#ASMSTART
	v_dot2_f32_f16 v3, v7, v11, v3
	;;#ASMEND
	;;#ASMSTART
	v_dot2_f32_f16 v3, v8, v12, v3
	;;#ASMEND
	;;#ASMSTART
	v_dot2_f32_f16 v3, v9, v13, v3
	;;#ASMEND
	;;#ASMSTART
	v_dot2_f32_f16 v3, v10, v14, v3
	;;#ASMEND
	s_waitcnt lgkmcnt(0)
	;;#ASMSTART
	v_dot2_f32_f16 v2, v7, v15, v2
	;;#ASMEND
	;;#ASMSTART
	v_dot2_f32_f16 v2, v8, v16, v2
	;;#ASMEND
	;; [unrolled: 3-line block ×4, first 2 shown]
	s_and_saveexec_b32 s6, s5
	s_cbranch_execz .LBB59_51
; %bb.47:
	s_and_not1_b32 vcc_lo, exec_lo, s7
	s_cbranch_vccnz .LBB59_49
; %bb.48:
	v_mul_hi_u32 v5, s36, v64
	s_delay_alu instid0(VALU_DEP_1) | instskip(NEXT) | instid1(VALU_DEP_1)
	v_add_nc_u32_e32 v5, v64, v5
	v_lshrrev_b32_e32 v5, s37, v5
	s_delay_alu instid0(VALU_DEP_1) | instskip(NEXT) | instid1(VALU_DEP_1)
	v_mul_lo_u32 v5, v5, s38
	v_sub_nc_u32_e32 v7, v64, v5
	s_delay_alu instid0(VALU_DEP_1) | instskip(NEXT) | instid1(VALU_DEP_1)
	v_mad_u64_u32 v[5:6], null, v7, s26, v[1:2]
	v_ashrrev_i32_e32 v6, 31, v5
	s_delay_alu instid0(VALU_DEP_1) | instskip(NEXT) | instid1(VALU_DEP_1)
	v_lshlrev_b64 v[5:6], 1, v[5:6]
	v_add_co_u32 v5, vcc_lo, s34, v5
	s_delay_alu instid0(VALU_DEP_2) | instskip(SKIP_3) | instid1(VALU_DEP_1)
	v_add_co_ci_u32_e32 v6, vcc_lo, s35, v6, vcc_lo
	flat_load_u16 v5, v[5:6]
	s_waitcnt vmcnt(0) lgkmcnt(0)
	v_cvt_f32_f16_e32 v5, v5
	v_mul_f32_e32 v5, v74, v5
	s_branch .LBB59_50
.LBB59_49:
	v_mov_b32_e32 v5, 0
.LBB59_50:
	s_delay_alu instid0(VALU_DEP_1) | instskip(NEXT) | instid1(VALU_DEP_1)
	v_dual_add_f32 v3, v3, v5 :: v_dual_max_f32 v6, v50, v50
	v_add_f32_e32 v5, 0x40051340, v3
	s_delay_alu instid0(VALU_DEP_1)
	v_max_f32_e32 v6, v6, v5
.LBB59_51:
	s_or_b32 exec_lo, exec_lo, s6
	v_xor_b32_e32 v58, 16, v65
	v_xor_b32_e32 v48, 8, v65
	s_delay_alu instid0(VALU_DEP_3)
	v_max_f32_e32 v8, v6, v6
	v_xor_b32_e32 v59, 4, v65
	v_xor_b32_e32 v86, 2, v65
	v_cmp_gt_i32_e32 vcc_lo, 32, v58
	v_xor_b32_e32 v88, 1, v65
	v_mov_b32_e32 v87, 32
	v_cndmask_b32_e32 v5, v65, v58, vcc_lo
	v_cmp_gt_i32_e32 vcc_lo, 32, v48
	s_delay_alu instid0(VALU_DEP_2) | instskip(SKIP_3) | instid1(VALU_DEP_2)
	v_lshlrev_b32_e32 v5, 2, v5
	ds_bpermute_b32 v7, v5, v6
	v_cndmask_b32_e32 v6, v65, v48, vcc_lo
	v_cmp_gt_i32_e32 vcc_lo, 32, v59
	v_dual_cndmask_b32 v9, v65, v59 :: v_dual_lshlrev_b32 v6, 2, v6
	v_cmp_gt_i32_e32 vcc_lo, 32, v86
	s_waitcnt lgkmcnt(0)
	v_max_f32_e32 v7, v7, v7
	s_delay_alu instid0(VALU_DEP_1) | instskip(SKIP_3) | instid1(VALU_DEP_1)
	v_max_f32_e32 v8, v8, v7
	ds_bpermute_b32 v7, v6, v8
	s_waitcnt lgkmcnt(0)
	v_dual_max_f32 v10, v7, v7 :: v_dual_lshlrev_b32 v7, 2, v9
	v_max_f32_e32 v9, v8, v10
	ds_bpermute_b32 v8, v7, v9
	v_cndmask_b32_e32 v10, v65, v86, vcc_lo
	v_cmp_gt_i32_e32 vcc_lo, 32, v88
	s_waitcnt lgkmcnt(0)
	s_delay_alu instid0(VALU_DEP_2) | instskip(NEXT) | instid1(VALU_DEP_1)
	v_dual_max_f32 v11, v8, v8 :: v_dual_lshlrev_b32 v8, 2, v10
	v_max_f32_e32 v10, v9, v11
	v_cndmask_b32_e32 v11, v65, v88, vcc_lo
	ds_bpermute_b32 v9, v8, v10
	s_waitcnt lgkmcnt(0)
	v_dual_max_f32 v12, v9, v9 :: v_dual_lshlrev_b32 v9, 2, v11
	s_delay_alu instid0(VALU_DEP_1) | instskip(SKIP_3) | instid1(VALU_DEP_1)
	v_max_f32_e32 v10, v10, v12
	ds_bpermute_b32 v11, v9, v10
	s_waitcnt lgkmcnt(0)
	v_max_f32_e32 v11, v11, v11
	v_max_f32_e32 v52, v10, v11
	v_mov_b32_e32 v10, v51
	s_and_saveexec_b32 s6, s5
	s_cbranch_execz .LBB59_56
; %bb.52:
	v_cmp_ne_u32_e32 vcc_lo, 1, v4
	s_cbranch_vccnz .LBB59_54
; %bb.53:
	v_or_b32_e32 v4, 1, v64
	s_delay_alu instid0(VALU_DEP_1) | instskip(NEXT) | instid1(VALU_DEP_1)
	v_mul_hi_u32 v10, s36, v4
	v_add_nc_u32_e32 v10, v4, v10
	s_delay_alu instid0(VALU_DEP_1) | instskip(NEXT) | instid1(VALU_DEP_1)
	v_lshrrev_b32_e32 v10, s37, v10
	v_mul_lo_u32 v10, v10, s38
	s_delay_alu instid0(VALU_DEP_1) | instskip(NEXT) | instid1(VALU_DEP_1)
	v_sub_nc_u32_e32 v4, v4, v10
	v_mad_u64_u32 v[10:11], null, v4, s26, v[1:2]
	s_delay_alu instid0(VALU_DEP_1) | instskip(NEXT) | instid1(VALU_DEP_1)
	v_ashrrev_i32_e32 v11, 31, v10
	v_lshlrev_b64 v[10:11], 1, v[10:11]
	s_delay_alu instid0(VALU_DEP_1) | instskip(NEXT) | instid1(VALU_DEP_2)
	v_add_co_u32 v10, vcc_lo, s34, v10
	v_add_co_ci_u32_e32 v11, vcc_lo, s35, v11, vcc_lo
	flat_load_u16 v1, v[10:11]
	s_waitcnt vmcnt(0) lgkmcnt(0)
	v_cvt_f32_f16_e32 v1, v1
	s_delay_alu instid0(VALU_DEP_1)
	v_mul_f32_e32 v1, v74, v1
	s_branch .LBB59_55
.LBB59_54:
	v_mov_b32_e32 v1, 0
.LBB59_55:
	s_delay_alu instid0(VALU_DEP_1) | instskip(NEXT) | instid1(VALU_DEP_1)
	v_add_f32_e32 v2, v2, v1
	v_dual_max_f32 v4, v51, v51 :: v_dual_add_f32 v1, 0x40051340, v2
	s_delay_alu instid0(VALU_DEP_1)
	v_max_f32_e32 v10, v4, v1
.LBB59_56:
	s_or_b32 exec_lo, exec_lo, s6
	ds_bpermute_b32 v1, v5, v10
	v_max_f32_e32 v4, v10, v10
	s_load_b64 s[0:1], s[0:1], 0x4
	v_lshl_add_u32 v78, v70, 4, v78
	v_bfe_u32 v0, v0, 20, 10
	s_mul_hi_i32 s7, s20, s13
	s_mul_i32 s6, s20, s13
	s_waitcnt lgkmcnt(0)
	s_lshl_b64 s[8:9], s[6:7], 2
	s_mov_b64 s[6:7], src_shared_base
	s_barrier
	buffer_gl0_inv
	v_max_f32_e32 v1, v1, v1
	s_lshr_b32 s0, s0, 16
	s_delay_alu instid0(SALU_CYCLE_1) | instskip(NEXT) | instid1(VALU_DEP_1)
	s_mul_i32 s0, s0, s1
	v_max_f32_e32 v1, v4, v1
	ds_bpermute_b32 v4, v6, v1
	s_waitcnt lgkmcnt(0)
	v_max_f32_e32 v4, v4, v4
	s_delay_alu instid0(VALU_DEP_1) | instskip(SKIP_3) | instid1(VALU_DEP_1)
	v_max_f32_e32 v1, v1, v4
	ds_bpermute_b32 v4, v7, v1
	s_waitcnt lgkmcnt(0)
	v_max_f32_e32 v4, v4, v4
	v_max_f32_e32 v1, v1, v4
	ds_bpermute_b32 v4, v8, v1
	s_waitcnt lgkmcnt(0)
	v_max_f32_e32 v4, v4, v4
	s_delay_alu instid0(VALU_DEP_1) | instskip(SKIP_3) | instid1(VALU_DEP_1)
	v_max_f32_e32 v1, v1, v4
	ds_bpermute_b32 v4, v9, v1
	s_waitcnt lgkmcnt(0)
	v_max_f32_e32 v4, v4, v4
	v_max_f32_e32 v53, v1, v4
	s_delay_alu instid0(VALU_DEP_1) | instskip(NEXT) | instid1(VALU_DEP_1)
	v_dual_sub_f32 v1, v3, v52 :: v_dual_sub_f32 v2, v2, v53
	v_mul_f32_e32 v3, 0x3fb8aa3b, v1
	v_cmp_ngt_f32_e32 vcc_lo, 0xc2ce8ed0, v1
	s_delay_alu instid0(VALU_DEP_3) | instskip(NEXT) | instid1(VALU_DEP_3)
	v_mul_f32_e32 v4, 0x3fb8aa3b, v2
	v_fma_f32 v5, 0x3fb8aa3b, v1, -v3
	v_rndne_f32_e32 v6, v3
	s_delay_alu instid0(VALU_DEP_3) | instskip(SKIP_1) | instid1(VALU_DEP_4)
	v_fma_f32 v7, 0x3fb8aa3b, v2, -v4
	v_rndne_f32_e32 v8, v4
	v_fmac_f32_e32 v5, 0x32a5705f, v1
	s_delay_alu instid0(VALU_DEP_4) | instskip(SKIP_1) | instid1(VALU_DEP_4)
	v_sub_f32_e32 v3, v3, v6
	v_cvt_i32_f32_e32 v6, v6
	v_dual_fmac_f32 v7, 0x32a5705f, v2 :: v_dual_sub_f32 v4, v4, v8
	s_delay_alu instid0(VALU_DEP_3) | instskip(SKIP_1) | instid1(VALU_DEP_3)
	v_add_f32_e32 v3, v3, v5
	v_lshl_add_u32 v5, v73, 1, v67
	v_add_f32_e32 v4, v4, v7
	v_cvt_i32_f32_e32 v7, v8
	s_delay_alu instid0(VALU_DEP_4) | instskip(NEXT) | instid1(VALU_DEP_2)
	v_exp_f32_e32 v3, v3
	v_exp_f32_e32 v4, v4
	s_waitcnt_depctr 0xfff
	v_ldexp_f32 v3, v3, v6
	v_mul_lo_u32 v6, s0, v60
	v_ldexp_f32 v4, v4, v7
	v_mul_u32_u24_e32 v7, s1, v70
	s_delay_alu instid0(VALU_DEP_4)
	v_cndmask_b32_e32 v3, 0, v3, vcc_lo
	v_cmp_ngt_f32_e32 vcc_lo, 0xc2ce8ed0, v2
	s_add_u32 s1, s18, s8
	s_addc_u32 s5, s19, s9
	v_add3_u32 v0, v6, v7, v0
	v_cndmask_b32_e32 v4, 0, v4, vcc_lo
	v_cmp_nlt_f32_e32 vcc_lo, 0x42b17218, v1
	v_mul_lo_u32 v1, s13, v78
	s_delay_alu instid0(VALU_DEP_4)
	v_lshl_add_u32 v82, v0, 4, 0x1ac0
	v_cndmask_b32_e32 v3, 0x7f800000, v3, vcc_lo
	v_cmp_nlt_f32_e32 vcc_lo, 0x42b17218, v2
	v_cndmask_b32_e32 v2, 0x7f800000, v4, vcc_lo
	v_cmp_gt_u32_e32 vcc_lo, s10, v60
	v_mul_u32_u24_e32 v4, 0xa0, v78
	v_cndmask_b32_e32 v73, 0, v3, vcc_lo
	s_delay_alu instid0(VALU_DEP_2) | instskip(SKIP_2) | instid1(VALU_DEP_4)
	v_lshl_or_b32 v3, v77, 2, v4
	v_dual_cndmask_b32 v74, 0, v2 :: v_dual_lshlrev_b32 v77, 2, v77
	v_ashrrev_i32_e32 v2, 31, v1
	v_cvt_f16_f32_e32 v4, v73
	v_cmp_gt_u32_e32 vcc_lo, 16, v78
	v_add_nc_u32_e32 v81, 0x80, v3
	v_cvt_f16_f32_e32 v6, v74
	v_lshlrev_b64 v[54:55], 2, v[1:2]
	s_delay_alu instid0(VALU_DEP_2)
	v_pack_b32_f16 v3, v4, v6
	ds_store_b32 v5, v3
	s_and_saveexec_b32 s6, vcc_lo
	s_cbranch_execz .LBB59_58
; %bb.57:
	v_add_co_u32 v1, s0, s1, v54
	s_delay_alu instid0(VALU_DEP_1) | instskip(SKIP_1) | instid1(VALU_DEP_3)
	v_add_co_ci_u32_e64 v2, s0, s5, v55, s0
	v_mov_b32_e32 v3, 0
	v_add_co_u32 v1, s0, v1, v77
	s_delay_alu instid0(VALU_DEP_1) | instskip(SKIP_3) | instid1(VALU_DEP_1)
	v_add_co_ci_u32_e64 v2, s0, 0, v2, s0
	ds_store_2addr_b32 v82, v3, v3 offset0:1 offset1:2
	ds_store_2addr_b32 v82, v3, v3 offset1:3
	v_add_co_u32 v1, s0, 0x80, v1
	v_add_co_ci_u32_e64 v2, s0, 0, v2, s0
	v_cmp_gt_i32_e64 s0, s10, v78
	s_delay_alu instid0(VALU_DEP_1) | instskip(NEXT) | instid1(VALU_DEP_4)
	v_cndmask_b32_e64 v2, s7, v2, s0
	v_cndmask_b32_e64 v1, v82, v1, s0
	flat_load_b128 v[1:4], v[1:2]
	s_waitcnt vmcnt(0) lgkmcnt(0)
	ds_store_b128 v81, v[1:4]
.LBB59_58:
	s_or_b32 exec_lo, exec_lo, s6
	v_lshl_add_u32 v70, v70, 2, v76
	v_lshlrev_b32_e32 v83, 2, v75
	v_lshl_add_u32 v75, v0, 4, 0x2ac0
	s_delay_alu instid0(VALU_DEP_3) | instskip(SKIP_1) | instid1(VALU_DEP_4)
	v_mul_lo_u32 v1, s13, v70
	v_cmp_gt_u32_e64 s0, 16, v70
	v_mad_u32_u24 v76, 0xa0, v70, v83
	s_delay_alu instid0(VALU_DEP_3) | instskip(NEXT) | instid1(VALU_DEP_1)
	v_ashrrev_i32_e32 v2, 31, v1
	v_lshlrev_b64 v[56:57], 2, v[1:2]
	s_delay_alu instid0(VALU_DEP_4)
	s_and_saveexec_b32 s6, s0
	s_cbranch_execz .LBB59_60
; %bb.59:
	s_delay_alu instid0(VALU_DEP_1) | instskip(NEXT) | instid1(VALU_DEP_1)
	v_add_co_u32 v0, s1, s1, v56
	v_add_co_ci_u32_e64 v1, s1, s5, v57, s1
	v_mov_b32_e32 v2, 0
	s_delay_alu instid0(VALU_DEP_3) | instskip(NEXT) | instid1(VALU_DEP_1)
	v_add_co_u32 v0, s1, v0, v83
	v_add_co_ci_u32_e64 v1, s1, 0, v1, s1
	v_cmp_gt_i32_e64 s1, s10, v70
	ds_store_2addr_b32 v75, v2, v2 offset0:1 offset1:2
	ds_store_2addr_b32 v75, v2, v2 offset1:3
	v_cndmask_b32_e64 v1, s7, v1, s1
	v_cndmask_b32_e64 v0, v75, v0, s1
	flat_load_b128 v[0:3], v[0:1]
	s_waitcnt vmcnt(0) lgkmcnt(0)
	ds_store_b128 v76, v[0:3]
.LBB59_60:
	s_or_b32 exec_lo, exec_lo, s6
	v_dual_sub_f32 v50, v50, v52 :: v_dual_sub_f32 v51, v51, v53
	s_waitcnt lgkmcnt(0)
	s_barrier
	buffer_gl0_inv
	v_dual_mul_f32 v0, 0x3fb8aa3b, v50 :: v_dual_mul_f32 v1, 0x3fb8aa3b, v51
	ds_load_2addr_b64 v[36:39], v66 offset1:20
	ds_load_b128 v[28:31], v67
	ds_load_b128 v[24:27], v67 offset:16
	v_cmp_ngt_f32_e64 s5, 0xc2ce8ed0, v50
	v_fma_f32 v4, 0x3fb8aa3b, v50, -v0
	v_rndne_f32_e32 v5, v0
	v_fma_f32 v6, 0x3fb8aa3b, v51, -v1
	v_rndne_f32_e32 v7, v1
	v_cmp_nlt_f32_e64 s1, 0x42b17218, v50
	v_fmac_f32_e32 v4, 0x32a5705f, v50
	v_sub_f32_e32 v12, v0, v5
	v_fmac_f32_e32 v6, 0x32a5705f, v51
	v_sub_f32_e32 v13, v1, v7
	ds_load_b128 v[8:11], v67 offset:32
	ds_load_b128 v[0:3], v67 offset:48
	ds_load_2addr_b64 v[44:47], v66 offset0:40 offset1:60
	v_add_f32_e32 v4, v12, v4
	ds_load_2addr_b64 v[40:43], v66 offset0:80 offset1:100
	ds_load_2addr_b64 v[32:35], v66 offset0:120 offset1:140
	v_add_f32_e32 v6, v13, v6
	ds_load_2addr_b64 v[16:19], v66 offset0:160 offset1:180
	v_cvt_i32_f32_e32 v89, v5
	v_exp_f32_e32 v84, v4
	v_add_nc_u32_e32 v4, 0x400, v66
	v_exp_f32_e32 v85, v6
	v_add_nc_u32_e32 v6, 0x800, v66
	ds_load_2addr_b64 v[20:23], v66 offset0:200 offset1:220
	v_cvt_i32_f32_e32 v90, v7
	ds_load_2addr_b64 v[12:15], v4 offset0:112 offset1:132
	ds_load_2addr_b64 v[4:7], v6 offset0:24 offset1:44
	s_or_b32 s6, s20, 16
	s_waitcnt lgkmcnt(0)
	v_ldexp_f32 v84, v84, v89
	s_mul_hi_i32 s9, s6, s13
	v_ldexp_f32 v85, v85, v90
	s_mul_i32 s8, s6, s13
	s_barrier
	v_cndmask_b32_e64 v50, 0, v84, s5
	v_cmp_ngt_f32_e64 s5, 0xc2ce8ed0, v51
	s_lshl_b64 s[8:9], s[8:9], 2
	buffer_gl0_inv
	s_add_u32 s6, s18, s8
	s_addc_u32 s8, s19, s9
	v_cndmask_b32_e64 v84, 0, v85, s5
	v_cmp_nlt_f32_e64 s5, 0x42b17218, v51
	s_add_i32 s10, s10, -16
	s_and_saveexec_b32 s9, vcc_lo
	s_cbranch_execz .LBB59_62
; %bb.61:
	v_add_co_u32 v51, vcc_lo, s6, v54
	v_add_co_ci_u32_e32 v54, vcc_lo, s8, v55, vcc_lo
	s_delay_alu instid0(VALU_DEP_2) | instskip(NEXT) | instid1(VALU_DEP_2)
	v_add_co_u32 v51, vcc_lo, v51, v77
	v_add_co_ci_u32_e32 v54, vcc_lo, 0, v54, vcc_lo
	s_delay_alu instid0(VALU_DEP_2) | instskip(NEXT) | instid1(VALU_DEP_2)
	v_add_co_u32 v51, vcc_lo, 0x80, v51
	v_add_co_ci_u32_e32 v54, vcc_lo, 0, v54, vcc_lo
	v_cmp_gt_i32_e32 vcc_lo, s10, v78
	v_mov_b32_e32 v77, 0
	s_delay_alu instid0(VALU_DEP_3)
	v_cndmask_b32_e32 v55, s7, v54, vcc_lo
	v_cndmask_b32_e32 v54, v82, v51, vcc_lo
	ds_store_2addr_b32 v82, v77, v77 offset0:1 offset1:2
	ds_store_2addr_b32 v82, v77, v77 offset1:3
	flat_load_b128 v[89:92], v[54:55]
	s_waitcnt vmcnt(0) lgkmcnt(0)
	ds_store_b128 v81, v[89:92]
.LBB59_62:
	s_or_b32 exec_lo, exec_lo, s9
	v_cndmask_b32_e64 v51, 0x7f800000, v50, s1
	v_cndmask_b32_e64 v50, 0x7f800000, v84, s5
	s_and_saveexec_b32 s1, s0
	s_cbranch_execz .LBB59_64
; %bb.63:
	v_add_co_u32 v54, vcc_lo, s6, v56
	v_add_co_ci_u32_e32 v55, vcc_lo, s8, v57, vcc_lo
	s_delay_alu instid0(VALU_DEP_2) | instskip(NEXT) | instid1(VALU_DEP_2)
	v_add_co_u32 v54, vcc_lo, v54, v83
	v_add_co_ci_u32_e32 v55, vcc_lo, 0, v55, vcc_lo
	v_cmp_gt_i32_e32 vcc_lo, s10, v70
	s_delay_alu instid0(VALU_DEP_2) | instskip(NEXT) | instid1(VALU_DEP_4)
	v_dual_mov_b32 v56, 0 :: v_dual_cndmask_b32 v55, s7, v55
	v_cndmask_b32_e32 v54, v75, v54, vcc_lo
	ds_store_2addr_b32 v75, v56, v56 offset0:1 offset1:2
	ds_store_2addr_b32 v75, v56, v56 offset1:3
	flat_load_b128 v[54:57], v[54:55]
	s_waitcnt vmcnt(0) lgkmcnt(0)
	ds_store_b128 v76, v[54:57]
.LBB59_64:
	s_or_b32 exec_lo, exec_lo, s1
	s_delay_alu instid0(VALU_DEP_1)
	v_cvt_f16_f32_e32 v55, v50
	v_cvt_f16_f32_e32 v54, v51
	v_pk_mul_f16 v56, v36, v28 op_sel_hi:[1,0]
	v_pk_mul_f16 v36, v36, v28 op_sel:[0,1]
	v_pk_mul_f16 v57, v37, v28 op_sel_hi:[1,0]
	v_pk_mul_f16 v68, v55, v68 op_sel_hi:[0,1]
	s_waitcnt lgkmcnt(0)
	v_pk_fma_f16 v56, v54, v71, v56 op_sel_hi:[0,1,1]
	v_pk_fma_f16 v36, v55, v69, v36 op_sel_hi:[0,1,1]
	;; [unrolled: 1-line block ×3, first 2 shown]
	v_pk_fma_f16 v28, v37, v28, v68 op_sel:[0,1,0]
	s_barrier
	v_pk_fma_f16 v37, v38, v29, v56 op_sel_hi:[1,0,1]
	v_pk_fma_f16 v36, v38, v29, v36 op_sel:[0,1,0]
	v_pk_fma_f16 v38, v39, v29, v54 op_sel_hi:[1,0,1]
	v_pk_fma_f16 v28, v39, v29, v28 op_sel:[0,1,0]
	buffer_gl0_inv
	v_pk_fma_f16 v29, v44, v30, v37 op_sel_hi:[1,0,1]
	v_pk_fma_f16 v36, v44, v30, v36 op_sel:[0,1,0]
	v_pk_fma_f16 v37, v45, v30, v38 op_sel_hi:[1,0,1]
	v_pk_fma_f16 v28, v45, v30, v28 op_sel:[0,1,0]
	v_fmac_f32_e32 v74, v79, v50
	v_pk_fma_f16 v29, v46, v31, v29 op_sel_hi:[1,0,1]
	v_pk_fma_f16 v30, v46, v31, v36 op_sel:[0,1,0]
	v_pk_fma_f16 v36, v47, v31, v37 op_sel_hi:[1,0,1]
	v_pk_fma_f16 v28, v47, v31, v28 op_sel:[0,1,0]
	v_fmac_f32_e32 v73, v80, v51
	v_pk_fma_f16 v29, v40, v24, v29 op_sel_hi:[1,0,1]
	v_pk_fma_f16 v30, v40, v24, v30 op_sel:[0,1,0]
	v_pk_fma_f16 v31, v41, v24, v36 op_sel_hi:[1,0,1]
	v_pk_fma_f16 v24, v41, v24, v28 op_sel:[0,1,0]
	v_mov_b32_e32 v50, v52
	v_pk_fma_f16 v28, v42, v25, v29 op_sel_hi:[1,0,1]
	v_pk_fma_f16 v29, v42, v25, v30 op_sel:[0,1,0]
	v_pk_fma_f16 v30, v43, v25, v31 op_sel_hi:[1,0,1]
	v_pk_fma_f16 v24, v43, v25, v24 op_sel:[0,1,0]
	v_mov_b32_e32 v80, v73
	;; [unrolled: 5-line block ×3, first 2 shown]
	v_pk_fma_f16 v25, v34, v27, v25 op_sel_hi:[1,0,1]
	v_pk_fma_f16 v26, v34, v27, v28 op_sel:[0,1,0]
	v_pk_fma_f16 v28, v35, v27, v29 op_sel_hi:[1,0,1]
	v_pk_fma_f16 v24, v35, v27, v24 op_sel:[0,1,0]
	s_delay_alu instid0(VALU_DEP_4) | instskip(NEXT) | instid1(VALU_DEP_4)
	v_pk_fma_f16 v25, v16, v8, v25 op_sel_hi:[1,0,1]
	v_pk_fma_f16 v16, v16, v8, v26 op_sel:[0,1,0]
	s_delay_alu instid0(VALU_DEP_4) | instskip(NEXT) | instid1(VALU_DEP_4)
	;; [unrolled: 3-line block ×6, first 2 shown]
	v_pk_fma_f16 v24, v21, v10, v18 op_sel_hi:[1,0,1]
	v_pk_fma_f16 v8, v21, v10, v8 op_sel:[0,1,0]
	ds_load_2addr_b64 v[16:19], v66 offset1:20
	v_pk_fma_f16 v9, v22, v11, v9 op_sel_hi:[1,0,1]
	v_pk_fma_f16 v20, v22, v11, v20 op_sel:[0,1,0]
	v_pk_fma_f16 v21, v23, v11, v24 op_sel_hi:[1,0,1]
	v_pk_fma_f16 v22, v23, v11, v8 op_sel:[0,1,0]
	s_delay_alu instid0(VALU_DEP_4)
	v_pk_fma_f16 v23, v12, v0, v9 op_sel_hi:[1,0,1]
	ds_load_b128 v[8:11], v67 offset:64
	v_pk_fma_f16 v12, v12, v0, v20 op_sel:[0,1,0]
	v_pk_fma_f16 v24, v13, v0, v21 op_sel_hi:[1,0,1]
	v_pk_fma_f16 v0, v13, v0, v22 op_sel:[0,1,0]
	v_pk_fma_f16 v13, v14, v1, v23 op_sel_hi:[1,0,1]
	ds_load_2addr_b64 v[20:23], v66 offset0:40 offset1:60
	v_pk_fma_f16 v25, v14, v1, v12 op_sel:[0,1,0]
	v_pk_fma_f16 v24, v15, v1, v24 op_sel_hi:[1,0,1]
	v_pk_fma_f16 v0, v15, v1, v0 op_sel:[0,1,0]
	v_pk_fma_f16 v1, v4, v2, v13 op_sel_hi:[1,0,1]
	ds_load_b128 v[12:15], v67 offset:80
	v_pk_fma_f16 v4, v4, v2, v25 op_sel:[0,1,0]
	v_pk_fma_f16 v28, v5, v2, v24 op_sel_hi:[1,0,1]
	v_pk_fma_f16 v0, v5, v2, v0 op_sel:[0,1,0]
	v_pk_fma_f16 v1, v6, v3, v1 op_sel_hi:[1,0,1]
	ds_load_2addr_b64 v[24:27], v66 offset0:80 offset1:100
	v_pk_fma_f16 v2, v6, v3, v4 op_sel:[0,1,0]
	v_pk_fma_f16 v4, v7, v3, v28 op_sel_hi:[1,0,1]
	v_pk_fma_f16 v0, v7, v3, v0 op_sel:[0,1,0]
	s_waitcnt lgkmcnt(3)
	v_pk_fma_f16 v1, v16, v8, v1 op_sel_hi:[1,0,1]
	v_pk_fma_f16 v2, v16, v8, v2 op_sel:[0,1,0]
	v_pk_fma_f16 v3, v17, v8, v4 op_sel_hi:[1,0,1]
	v_pk_fma_f16 v0, v17, v8, v0 op_sel:[0,1,0]
	s_delay_alu instid0(VALU_DEP_4) | instskip(NEXT) | instid1(VALU_DEP_4)
	v_pk_fma_f16 v1, v18, v9, v1 op_sel_hi:[1,0,1]
	v_pk_fma_f16 v4, v18, v9, v2 op_sel:[0,1,0]
	s_delay_alu instid0(VALU_DEP_4) | instskip(NEXT) | instid1(VALU_DEP_4)
	v_pk_fma_f16 v5, v19, v9, v3 op_sel_hi:[1,0,1]
	v_pk_fma_f16 v6, v19, v9, v0 op_sel:[0,1,0]
	s_waitcnt lgkmcnt(2)
	v_pk_fma_f16 v7, v20, v10, v1 op_sel_hi:[1,0,1]
	ds_load_2addr_b64 v[0:3], v66 offset0:120 offset1:140
	v_pk_fma_f16 v8, v20, v10, v4 op_sel:[0,1,0]
	v_pk_fma_f16 v9, v21, v10, v5 op_sel_hi:[1,0,1]
	v_pk_fma_f16 v10, v21, v10, v6 op_sel:[0,1,0]
	v_pk_fma_f16 v16, v22, v11, v7 op_sel_hi:[1,0,1]
	ds_load_2addr_b64 v[4:7], v66 offset0:160 offset1:180
	v_pk_fma_f16 v17, v22, v11, v8 op_sel:[0,1,0]
	v_pk_fma_f16 v18, v23, v11, v9 op_sel_hi:[1,0,1]
	v_pk_fma_f16 v19, v23, v11, v10 op_sel:[0,1,0]
	s_waitcnt lgkmcnt(2)
	v_pk_fma_f16 v20, v24, v12, v16 op_sel_hi:[1,0,1]
	ds_load_b128 v[8:11], v67 offset:96
	v_pk_fma_f16 v21, v24, v12, v17 op_sel:[0,1,0]
	v_pk_fma_f16 v22, v25, v12, v18 op_sel_hi:[1,0,1]
	v_pk_fma_f16 v12, v25, v12, v19 op_sel:[0,1,0]
	ds_load_b128 v[16:19], v67 offset:112
	v_pk_fma_f16 v24, v26, v13, v20 op_sel_hi:[1,0,1]
	v_pk_fma_f16 v25, v26, v13, v21 op_sel:[0,1,0]
	v_pk_fma_f16 v26, v27, v13, v22 op_sel_hi:[1,0,1]
	v_pk_fma_f16 v12, v27, v13, v12 op_sel:[0,1,0]
	ds_load_2addr_b64 v[20:23], v66 offset0:200 offset1:220
	s_waitcnt lgkmcnt(4)
	v_pk_fma_f16 v13, v0, v14, v24 op_sel_hi:[1,0,1]
	v_pk_fma_f16 v0, v0, v14, v25 op_sel:[0,1,0]
	v_pk_fma_f16 v24, v1, v14, v26 op_sel_hi:[1,0,1]
	v_pk_fma_f16 v1, v1, v14, v12 op_sel:[0,1,0]
	v_add_nc_u32_e32 v12, 0x400, v66
	v_pk_fma_f16 v13, v2, v15, v13 op_sel_hi:[1,0,1]
	v_pk_fma_f16 v14, v2, v15, v0 op_sel:[0,1,0]
	v_pk_fma_f16 v24, v3, v15, v24 op_sel_hi:[1,0,1]
	v_pk_fma_f16 v15, v3, v15, v1 op_sel:[0,1,0]
	ds_load_2addr_b64 v[0:3], v12 offset0:112 offset1:132
	s_waitcnt lgkmcnt(3)
	v_pk_fma_f16 v12, v4, v8, v13 op_sel_hi:[1,0,1]
	v_pk_fma_f16 v4, v4, v8, v14 op_sel:[0,1,0]
	v_pk_fma_f16 v13, v5, v8, v24 op_sel_hi:[1,0,1]
	v_pk_fma_f16 v5, v5, v8, v15 op_sel:[0,1,0]
	v_add_nc_u32_e32 v8, 0x800, v66
	v_pk_fma_f16 v12, v6, v9, v12 op_sel_hi:[1,0,1]
	v_pk_fma_f16 v14, v6, v9, v4 op_sel:[0,1,0]
	v_pk_fma_f16 v13, v7, v9, v13 op_sel_hi:[1,0,1]
	v_pk_fma_f16 v9, v7, v9, v5 op_sel:[0,1,0]
	ds_load_2addr_b64 v[4:7], v8 offset0:24 offset1:44
	s_waitcnt lgkmcnt(2)
	v_pk_fma_f16 v8, v20, v10, v12 op_sel_hi:[1,0,1]
	v_pk_fma_f16 v12, v20, v10, v14 op_sel:[0,1,0]
	v_pk_fma_f16 v13, v21, v10, v13 op_sel_hi:[1,0,1]
	v_pk_fma_f16 v9, v21, v10, v9 op_sel:[0,1,0]
	s_waitcnt lgkmcnt(0)
	v_pk_fma_f16 v8, v22, v11, v8 op_sel_hi:[1,0,1]
	v_pk_fma_f16 v10, v22, v11, v12 op_sel:[0,1,0]
	v_pk_fma_f16 v12, v23, v11, v13 op_sel_hi:[1,0,1]
	v_pk_fma_f16 v9, v23, v11, v9 op_sel:[0,1,0]
	s_barrier
	v_pk_fma_f16 v8, v0, v16, v8 op_sel_hi:[1,0,1]
	v_pk_fma_f16 v0, v0, v16, v10 op_sel:[0,1,0]
	v_pk_fma_f16 v10, v1, v16, v12 op_sel_hi:[1,0,1]
	v_pk_fma_f16 v1, v1, v16, v9 op_sel:[0,1,0]
	buffer_gl0_inv
	v_pk_fma_f16 v8, v2, v17, v8 op_sel_hi:[1,0,1]
	v_pk_fma_f16 v0, v2, v17, v0 op_sel:[0,1,0]
	v_pk_fma_f16 v2, v3, v17, v10 op_sel_hi:[1,0,1]
	v_pk_fma_f16 v1, v3, v17, v1 op_sel:[0,1,0]
	s_delay_alu instid0(VALU_DEP_4) | instskip(NEXT) | instid1(VALU_DEP_4)
	v_pk_fma_f16 v3, v4, v18, v8 op_sel_hi:[1,0,1]
	v_pk_fma_f16 v0, v4, v18, v0 op_sel:[0,1,0]
	s_delay_alu instid0(VALU_DEP_4) | instskip(NEXT) | instid1(VALU_DEP_4)
	;; [unrolled: 3-line block ×4, first 2 shown]
	v_pk_fma_f16 v72, v7, v19, v2 op_sel_hi:[1,0,1]
	v_pk_fma_f16 v68, v7, v19, v1 op_sel:[0,1,0]
	v_mov_b32_e32 v1, v65
	v_mov_b32_e32 v79, v74
.LBB59_65:
	v_cmp_lt_i32_e32 vcc_lo, v58, v87
	s_cmp_eq_u64 s[24:25], 0
	s_cselect_b32 s0, -1, 0
	s_cmp_lg_u32 s14, 0
	v_cndmask_b32_e32 v0, v1, v58, vcc_lo
	v_cmp_lt_i32_e32 vcc_lo, v48, v87
	s_cselect_b32 s1, -1, 0
	s_delay_alu instid0(SALU_CYCLE_1) | instskip(SKIP_2) | instid1(VALU_DEP_2)
	s_or_b32 s0, s1, s0
	v_cndmask_b32_e32 v3, v1, v48, vcc_lo
	v_cmp_lt_i32_e32 vcc_lo, v59, v87
	v_lshlrev_b32_e32 v3, 2, v3
	v_dual_cndmask_b32 v5, v1, v59 :: v_dual_lshlrev_b32 v0, 2, v0
	v_cmp_lt_i32_e32 vcc_lo, v86, v87
	ds_bpermute_b32 v2, v0, v80
	ds_bpermute_b32 v0, v0, v79
	s_waitcnt lgkmcnt(1)
	v_dual_add_f32 v2, v80, v2 :: v_dual_lshlrev_b32 v5, 2, v5
	s_waitcnt lgkmcnt(0)
	v_add_f32_e32 v0, v79, v0
	ds_bpermute_b32 v4, v3, v2
	ds_bpermute_b32 v3, v3, v0
	s_waitcnt lgkmcnt(1)
	v_add_f32_e32 v2, v2, v4
	s_waitcnt lgkmcnt(0)
	v_add_f32_e32 v0, v0, v3
	ds_bpermute_b32 v3, v5, v2
	ds_bpermute_b32 v4, v5, v0
	v_cndmask_b32_e32 v5, v1, v86, vcc_lo
	v_cmp_lt_i32_e32 vcc_lo, v88, v87
	s_delay_alu instid0(VALU_DEP_2) | instskip(SKIP_3) | instid1(VALU_DEP_1)
	v_lshlrev_b32_e32 v5, 2, v5
	v_cndmask_b32_e32 v1, v1, v88, vcc_lo
	s_and_b32 vcc_lo, exec_lo, s0
	s_waitcnt lgkmcnt(1)
	v_dual_add_f32 v2, v2, v3 :: v_dual_lshlrev_b32 v1, 2, v1
	s_waitcnt lgkmcnt(0)
	v_add_f32_e32 v0, v0, v4
	ds_bpermute_b32 v3, v5, v2
	ds_bpermute_b32 v4, v5, v0
	s_waitcnt lgkmcnt(0)
	v_dual_add_f32 v2, v2, v3 :: v_dual_add_f32 v3, v0, v4
	ds_bpermute_b32 v0, v1, v2
	ds_bpermute_b32 v1, v1, v3
	s_waitcnt lgkmcnt(0)
	v_dual_add_f32 v0, v2, v0 :: v_dual_add_f32 v1, v3, v1
	s_cbranch_vccnz .LBB59_68
; %bb.66:
	s_lshl_b64 s[0:1], s[22:23], 2
	v_dual_mov_b32 v2, 0 :: v_dual_max_f32 v3, v50, v50
	s_add_u32 s0, s24, s0
	s_addc_u32 s1, s25, s1
	v_max_f32_e32 v6, v51, v51
	global_load_b32 v2, v2, s[0:1]
	s_waitcnt vmcnt(0)
	v_max_f32_e32 v5, v2, v2
	s_delay_alu instid0(VALU_DEP_1) | instskip(SKIP_1) | instid1(VALU_DEP_2)
	v_max_f32_e32 v4, v3, v5
	v_max_f32_e32 v5, v6, v5
	v_sub_f32_e32 v6, v2, v4
	s_delay_alu instid0(VALU_DEP_1) | instskip(SKIP_1) | instid1(VALU_DEP_2)
	v_mul_f32_e32 v9, 0x3fb8aa3b, v6
	v_sub_f32_e32 v3, v50, v4
	v_rndne_f32_e32 v15, v9
	v_sub_f32_e32 v8, v2, v5
	s_delay_alu instid0(VALU_DEP_3) | instskip(SKIP_1) | instid1(VALU_DEP_4)
	v_dual_mul_f32 v2, 0x3fb8aa3b, v3 :: v_dual_sub_f32 v7, v51, v5
	v_fma_f32 v14, 0x3fb8aa3b, v6, -v9
	v_sub_f32_e32 v9, v9, v15
	v_mov_b32_e32 v51, v5
	s_delay_alu instid0(VALU_DEP_4) | instskip(SKIP_3) | instid1(VALU_DEP_4)
	v_rndne_f32_e32 v13, v2
	v_dual_mul_f32 v11, 0x3fb8aa3b, v8 :: v_dual_mul_f32 v10, 0x3fb8aa3b, v7
	v_fma_f32 v12, 0x3fb8aa3b, v3, -v2
	v_cmp_ngt_f32_e32 vcc_lo, 0xc2ce8ed0, v3
	v_sub_f32_e32 v2, v2, v13
	s_delay_alu instid0(VALU_DEP_4)
	v_rndne_f32_e32 v19, v11
	v_fma_f32 v18, 0x3fb8aa3b, v8, -v11
	v_fmac_f32_e32 v14, 0x32a5705f, v6
	v_fma_f32 v16, 0x3fb8aa3b, v7, -v10
	v_rndne_f32_e32 v17, v10
	v_sub_f32_e32 v11, v11, v19
	s_delay_alu instid0(VALU_DEP_4) | instskip(SKIP_1) | instid1(VALU_DEP_4)
	v_dual_fmac_f32 v12, 0x32a5705f, v3 :: v_dual_add_f32 v9, v9, v14
	v_mov_b32_e32 v50, v4
	v_cvt_i32_f32_e32 v14, v17
	s_delay_alu instid0(VALU_DEP_3) | instskip(NEXT) | instid1(VALU_DEP_4)
	v_add_f32_e32 v2, v2, v12
	v_exp_f32_e32 v9, v9
	v_cvt_i32_f32_e32 v12, v13
	v_cvt_i32_f32_e32 v13, v15
	;; [unrolled: 1-line block ×3, first 2 shown]
	v_exp_f32_e32 v2, v2
	s_waitcnt_depctr 0xfff
	v_ldexp_f32 v9, v9, v13
	v_ldexp_f32 v2, v2, v12
	s_delay_alu instid0(VALU_DEP_1) | instskip(SKIP_1) | instid1(VALU_DEP_4)
	v_cndmask_b32_e32 v2, 0, v2, vcc_lo
	v_cmp_ngt_f32_e32 vcc_lo, 0xc2ce8ed0, v6
	v_dual_fmac_f32 v18, 0x32a5705f, v8 :: v_dual_cndmask_b32 v9, 0, v9
	s_delay_alu instid0(VALU_DEP_1) | instskip(SKIP_1) | instid1(VALU_DEP_2)
	v_dual_fmac_f32 v16, 0x32a5705f, v7 :: v_dual_add_f32 v11, v11, v18
	v_cmp_ngt_f32_e32 vcc_lo, 0xc2ce8ed0, v7
	v_exp_f32_e32 v11, v11
	s_waitcnt_depctr 0xfff
	v_ldexp_f32 v11, v11, v15
	v_sub_f32_e32 v10, v10, v17
	s_delay_alu instid0(VALU_DEP_1) | instskip(NEXT) | instid1(VALU_DEP_1)
	v_add_f32_e32 v10, v10, v16
	v_exp_f32_e32 v10, v10
	s_waitcnt_depctr 0xfff
	v_ldexp_f32 v10, v10, v14
	s_delay_alu instid0(VALU_DEP_1)
	v_cndmask_b32_e32 v10, 0, v10, vcc_lo
	v_cmp_ngt_f32_e32 vcc_lo, 0xc2ce8ed0, v8
	v_cndmask_b32_e32 v11, 0, v11, vcc_lo
	v_cmp_nlt_f32_e32 vcc_lo, 0x42b17218, v3
	v_cndmask_b32_e32 v12, 0x7f800000, v2, vcc_lo
	v_cmp_nlt_f32_e32 vcc_lo, 0x42b17218, v6
	;; [unrolled: 2-line block ×3, first 2 shown]
	s_delay_alu instid0(VALU_DEP_4) | instskip(NEXT) | instid1(VALU_DEP_3)
	v_cvt_f16_f32_e32 v7, v12
	v_fmac_f32_e32 v2, v0, v12
	v_cndmask_b32_e32 v6, 0x7f800000, v10, vcc_lo
	v_cmp_nlt_f32_e32 vcc_lo, 0x42b17218, v8
	s_delay_alu instid0(VALU_DEP_4) | instskip(SKIP_1) | instid1(VALU_DEP_4)
	v_pk_mul_f16 v71, v7, v71 op_sel_hi:[0,1]
	v_pk_mul_f16 v72, v7, v72 op_sel_hi:[0,1]
	v_cvt_f16_f32_e32 v8, v6
	v_cndmask_b32_e32 v3, 0x7f800000, v11, vcc_lo
	s_delay_alu instid0(VALU_DEP_2) | instskip(NEXT) | instid1(VALU_DEP_2)
	v_pk_mul_f16 v69, v8, v69 op_sel_hi:[0,1]
	v_fmac_f32_e32 v3, v1, v6
	v_mov_b32_e32 v0, v2
	v_pk_mul_f16 v68, v8, v68 op_sel_hi:[0,1]
	s_delay_alu instid0(VALU_DEP_3)
	v_mov_b32_e32 v1, v3
	s_mov_b32 s0, exec_lo
	v_cmpx_gt_i32_e64 s38, v64
	s_cbranch_execnz .LBB59_69
.LBB59_67:
	s_nop 0
	s_sendmsg sendmsg(MSG_DEALLOC_VGPRS)
	s_endpgm
.LBB59_68:
	s_delay_alu instid0(VALU_DEP_1)
	v_dual_mov_b32 v2, v0 :: v_dual_mov_b32 v3, v1
	s_mov_b32 s0, exec_lo
	v_cmpx_gt_i32_e64 s38, v64
	s_cbranch_execz .LBB59_67
.LBB59_69:
	s_load_b32 s0, s[2:3], 0xd4
	v_mov_b32_e32 v6, 1.0
	s_waitcnt lgkmcnt(0)
	s_cmp_lg_u32 s0, 1
	s_cselect_b32 s3, -1, 0
	s_cmp_eq_u32 s0, 1
	s_cselect_b32 s1, -1, 0
	s_and_b32 vcc_lo, exec_lo, s3
	s_cbranch_vccnz .LBB59_71
; %bb.70:
	v_div_scale_f32 v4, null, v2, v2, 1.0
	s_delay_alu instid0(VALU_DEP_1) | instskip(SKIP_2) | instid1(VALU_DEP_1)
	v_rcp_f32_e32 v5, v4
	s_waitcnt_depctr 0xfff
	v_fma_f32 v6, -v4, v5, 1.0
	v_fmac_f32_e32 v5, v6, v5
	v_div_scale_f32 v6, vcc_lo, 1.0, v2, 1.0
	s_delay_alu instid0(VALU_DEP_1) | instskip(NEXT) | instid1(VALU_DEP_1)
	v_mul_f32_e32 v7, v6, v5
	v_fma_f32 v8, -v4, v7, v6
	s_delay_alu instid0(VALU_DEP_1) | instskip(NEXT) | instid1(VALU_DEP_1)
	v_fmac_f32_e32 v7, v8, v5
	v_fma_f32 v4, -v4, v7, v6
	s_delay_alu instid0(VALU_DEP_1) | instskip(NEXT) | instid1(VALU_DEP_1)
	v_div_fmas_f32 v4, v4, v5, v7
	v_div_fixup_f32 v6, v4, v2, 1.0
.LBB59_71:
	s_mul_i32 s2, s33, s38
	s_delay_alu instid0(SALU_CYCLE_1) | instskip(NEXT) | instid1(SALU_CYCLE_1)
	s_add_i32 s2, s2, s15
	v_add_nc_u32_e32 v2, s2, v63
	s_delay_alu instid0(VALU_DEP_1) | instskip(NEXT) | instid1(VALU_DEP_1)
	v_mad_u64_u32 v[7:8], null, v2, s39, s[22:23]
	v_mad_u64_u32 v[4:5], null, s0, v7, s[14:15]
	s_and_saveexec_b32 s5, s4
	s_cbranch_execz .LBB59_73
; %bb.72:
	v_lshrrev_b32_e32 v2, 16, v72
	s_delay_alu instid0(VALU_DEP_2) | instskip(SKIP_2) | instid1(VALU_DEP_4)
	v_mad_u64_u32 v[7:8], null, 0x50, v4, v[49:50]
	v_lshrrev_b32_e32 v5, 16, v71
	v_cvt_f32_f16_e32 v12, v72
	v_cvt_f32_f16_e32 v2, v2
	v_mov_b32_e32 v8, 0
	v_cvt_f32_f16_e32 v13, v71
	v_cvt_f32_f16_e32 v5, v5
	s_delay_alu instid0(VALU_DEP_4) | instskip(NEXT) | instid1(VALU_DEP_4)
	v_mul_f32_e32 v9, v6, v2
	v_lshlrev_b64 v[10:11], 2, v[7:8]
	v_mul_f32_e32 v8, v6, v12
	s_delay_alu instid0(VALU_DEP_4) | instskip(SKIP_1) | instid1(VALU_DEP_4)
	v_mul_f32_e32 v7, v6, v5
	v_mul_f32_e32 v6, v6, v13
	v_add_co_u32 v10, vcc_lo, s28, v10
	v_add_co_ci_u32_e32 v11, vcc_lo, s29, v11, vcc_lo
	global_store_b128 v[10:11], v[6:9], off
.LBB59_73:
	s_or_b32 exec_lo, exec_lo, s5
	v_cmp_eq_u32_e32 vcc_lo, 0, v60
	s_and_b32 s3, vcc_lo, s3
	s_delay_alu instid0(SALU_CYCLE_1)
	s_and_saveexec_b32 s5, s3
	s_cbranch_execz .LBB59_75
; %bb.74:
	v_ashrrev_i32_e32 v5, 31, v4
	v_dual_mov_b32 v6, v50 :: v_dual_mov_b32 v7, v0
	s_delay_alu instid0(VALU_DEP_2) | instskip(NEXT) | instid1(VALU_DEP_1)
	v_lshlrev_b64 v[4:5], 3, v[4:5]
	v_add_co_u32 v4, vcc_lo, s30, v4
	s_delay_alu instid0(VALU_DEP_2)
	v_add_co_ci_u32_e32 v5, vcc_lo, s31, v5, vcc_lo
	global_store_b64 v[4:5], v[6:7], off
.LBB59_75:
	s_or_b32 exec_lo, exec_lo, s5
	v_cmp_gt_i32_e32 vcc_lo, s38, v62
	s_and_b32 exec_lo, exec_lo, vcc_lo
	s_cbranch_execz .LBB59_67
; %bb.76:
	v_mov_b32_e32 v0, 1.0
	s_and_not1_b32 vcc_lo, exec_lo, s1
	s_cbranch_vccnz .LBB59_78
; %bb.77:
	v_div_scale_f32 v0, null, v3, v3, 1.0
	s_delay_alu instid0(VALU_DEP_1) | instskip(SKIP_2) | instid1(VALU_DEP_1)
	v_rcp_f32_e32 v2, v0
	s_waitcnt_depctr 0xfff
	v_fma_f32 v4, -v0, v2, 1.0
	v_fmac_f32_e32 v2, v4, v2
	v_div_scale_f32 v4, vcc_lo, 1.0, v3, 1.0
	s_delay_alu instid0(VALU_DEP_1) | instskip(NEXT) | instid1(VALU_DEP_1)
	v_mul_f32_e32 v5, v4, v2
	v_fma_f32 v6, -v0, v5, v4
	s_delay_alu instid0(VALU_DEP_1) | instskip(NEXT) | instid1(VALU_DEP_1)
	v_fmac_f32_e32 v5, v6, v2
	v_fma_f32 v0, -v0, v5, v4
	s_delay_alu instid0(VALU_DEP_1) | instskip(NEXT) | instid1(VALU_DEP_1)
	v_div_fmas_f32 v0, v0, v2, v5
	v_div_fixup_f32 v0, v0, v3, 1.0
.LBB59_78:
	v_add_nc_u32_e32 v2, s2, v61
	s_delay_alu instid0(VALU_DEP_1) | instskip(NEXT) | instid1(VALU_DEP_1)
	v_mad_u64_u32 v[4:5], null, v2, s39, s[22:23]
	v_mad_u64_u32 v[2:3], null, s0, v4, s[14:15]
	s_and_saveexec_b32 s0, s4
	s_cbranch_execz .LBB59_80
; %bb.79:
	v_lshrrev_b32_e32 v5, 16, v68
	s_delay_alu instid0(VALU_DEP_2)
	v_mad_u64_u32 v[3:4], null, 0x50, v2, v[49:50]
	v_lshrrev_b32_e32 v6, 16, v69
	v_cvt_f32_f16_e32 v9, v68
	v_mov_b32_e32 v4, 0
	v_cvt_f32_f16_e32 v5, v5
	v_cvt_f32_f16_e32 v11, v69
	;; [unrolled: 1-line block ×3, first 2 shown]
	s_delay_alu instid0(VALU_DEP_3) | instskip(SKIP_2) | instid1(VALU_DEP_4)
	v_mul_f32_e32 v6, v0, v5
	v_mul_f32_e32 v5, v0, v9
	v_lshlrev_b64 v[7:8], 2, v[3:4]
	v_mul_f32_e32 v4, v0, v10
	v_mul_f32_e32 v3, v0, v11
	s_delay_alu instid0(VALU_DEP_3) | instskip(NEXT) | instid1(VALU_DEP_4)
	v_add_co_u32 v7, vcc_lo, s28, v7
	v_add_co_ci_u32_e32 v8, vcc_lo, s29, v8, vcc_lo
	global_store_b128 v[7:8], v[3:6], off
.LBB59_80:
	s_or_b32 exec_lo, exec_lo, s0
	s_delay_alu instid0(SALU_CYCLE_1)
	s_and_b32 exec_lo, exec_lo, s3
	s_cbranch_execz .LBB59_67
; %bb.81:
	s_delay_alu instid0(VALU_DEP_1) | instskip(SKIP_1) | instid1(VALU_DEP_2)
	v_ashrrev_i32_e32 v3, 31, v2
	v_mov_b32_e32 v0, v51
	v_lshlrev_b64 v[2:3], 3, v[2:3]
	s_delay_alu instid0(VALU_DEP_1) | instskip(NEXT) | instid1(VALU_DEP_2)
	v_add_co_u32 v2, vcc_lo, s30, v2
	v_add_co_ci_u32_e32 v3, vcc_lo, s31, v3, vcc_lo
	global_store_b64 v[2:3], v[0:1], off
	s_nop 0
	s_sendmsg sendmsg(MSG_DEALLOC_VGPRS)
	s_endpgm
	.section	.rodata,"a",@progbits
	.p2align	6, 0x0
	.amdhsa_kernel _ZL15flash_attn_tileILi80ELi80ELi16ELi1ELb0EEvPKcS1_S1_S1_S1_PKiPfP15HIP_vector_typeIfLj2EEffffjfiS5_IjLj3EEiiiiiiiiiiiliiliiiiil
		.amdhsa_group_segment_fixed_size 15040
		.amdhsa_private_segment_fixed_size 32
		.amdhsa_kernarg_size 464
		.amdhsa_user_sgpr_count 13
		.amdhsa_user_sgpr_dispatch_ptr 1
		.amdhsa_user_sgpr_queue_ptr 0
		.amdhsa_user_sgpr_kernarg_segment_ptr 1
		.amdhsa_user_sgpr_dispatch_id 0
		.amdhsa_user_sgpr_private_segment_size 0
		.amdhsa_wavefront_size32 1
		.amdhsa_uses_dynamic_stack 0
		.amdhsa_enable_private_segment 1
		.amdhsa_system_sgpr_workgroup_id_x 1
		.amdhsa_system_sgpr_workgroup_id_y 1
		.amdhsa_system_sgpr_workgroup_id_z 1
		.amdhsa_system_sgpr_workgroup_info 0
		.amdhsa_system_vgpr_workitem_id 2
		.amdhsa_next_free_vgpr 107
		.amdhsa_next_free_sgpr 48
		.amdhsa_reserve_vcc 1
		.amdhsa_float_round_mode_32 0
		.amdhsa_float_round_mode_16_64 0
		.amdhsa_float_denorm_mode_32 3
		.amdhsa_float_denorm_mode_16_64 3
		.amdhsa_dx10_clamp 1
		.amdhsa_ieee_mode 1
		.amdhsa_fp16_overflow 0
		.amdhsa_workgroup_processor_mode 1
		.amdhsa_memory_ordered 1
		.amdhsa_forward_progress 0
		.amdhsa_shared_vgpr_count 0
		.amdhsa_exception_fp_ieee_invalid_op 0
		.amdhsa_exception_fp_denorm_src 0
		.amdhsa_exception_fp_ieee_div_zero 0
		.amdhsa_exception_fp_ieee_overflow 0
		.amdhsa_exception_fp_ieee_underflow 0
		.amdhsa_exception_fp_ieee_inexact 0
		.amdhsa_exception_int_div_zero 0
	.end_amdhsa_kernel
	.section	.text._ZL15flash_attn_tileILi80ELi80ELi16ELi1ELb0EEvPKcS1_S1_S1_S1_PKiPfP15HIP_vector_typeIfLj2EEffffjfiS5_IjLj3EEiiiiiiiiiiiliiliiiiil,"axG",@progbits,_ZL15flash_attn_tileILi80ELi80ELi16ELi1ELb0EEvPKcS1_S1_S1_S1_PKiPfP15HIP_vector_typeIfLj2EEffffjfiS5_IjLj3EEiiiiiiiiiiiliiliiiiil,comdat
.Lfunc_end59:
	.size	_ZL15flash_attn_tileILi80ELi80ELi16ELi1ELb0EEvPKcS1_S1_S1_S1_PKiPfP15HIP_vector_typeIfLj2EEffffjfiS5_IjLj3EEiiiiiiiiiiiliiliiiiil, .Lfunc_end59-_ZL15flash_attn_tileILi80ELi80ELi16ELi1ELb0EEvPKcS1_S1_S1_S1_PKiPfP15HIP_vector_typeIfLj2EEffffjfiS5_IjLj3EEiiiiiiiiiiiliiliiiiil
                                        ; -- End function
	.section	.AMDGPU.csdata,"",@progbits
; Kernel info:
; codeLenInByte = 15588
; NumSgprs: 50
; NumVgprs: 107
; ScratchSize: 32
; MemoryBound: 0
; FloatMode: 240
; IeeeMode: 1
; LDSByteSize: 15040 bytes/workgroup (compile time only)
; SGPRBlocks: 6
; VGPRBlocks: 13
; NumSGPRsForWavesPerEU: 50
; NumVGPRsForWavesPerEU: 107
; Occupancy: 12
; WaveLimiterHint : 1
; COMPUTE_PGM_RSRC2:SCRATCH_EN: 1
; COMPUTE_PGM_RSRC2:USER_SGPR: 13
; COMPUTE_PGM_RSRC2:TRAP_HANDLER: 0
; COMPUTE_PGM_RSRC2:TGID_X_EN: 1
; COMPUTE_PGM_RSRC2:TGID_Y_EN: 1
; COMPUTE_PGM_RSRC2:TGID_Z_EN: 1
; COMPUTE_PGM_RSRC2:TIDIG_COMP_CNT: 2
	.section	.text._ZL33flash_attn_stream_k_fixup_uniformILi80ELi16ELi1EEvPfPK15HIP_vector_typeIfLj2EEiiiiiiS1_IjLj3EES5_S5_,"axG",@progbits,_ZL33flash_attn_stream_k_fixup_uniformILi80ELi16ELi1EEvPfPK15HIP_vector_typeIfLj2EEiiiiiiS1_IjLj3EES5_S5_,comdat
	.globl	_ZL33flash_attn_stream_k_fixup_uniformILi80ELi16ELi1EEvPfPK15HIP_vector_typeIfLj2EEiiiiiiS1_IjLj3EES5_S5_ ; -- Begin function _ZL33flash_attn_stream_k_fixup_uniformILi80ELi16ELi1EEvPfPK15HIP_vector_typeIfLj2EEiiiiiiS1_IjLj3EES5_S5_
	.p2align	8
	.type	_ZL33flash_attn_stream_k_fixup_uniformILi80ELi16ELi1EEvPfPK15HIP_vector_typeIfLj2EEiiiiiiS1_IjLj3EES5_S5_,@function
_ZL33flash_attn_stream_k_fixup_uniformILi80ELi16ELi1EEvPfPK15HIP_vector_typeIfLj2EEiiiiiiS1_IjLj3EES5_S5_: ; @_ZL33flash_attn_stream_k_fixup_uniformILi80ELi16ELi1EEvPfPK15HIP_vector_typeIfLj2EEiiiiiiS1_IjLj3EES5_S5_
; %bb.0:
	s_clause 0x1
	s_load_b256 s[4:11], s[0:1], 0x1c
	s_load_b128 s[16:19], s[0:1], 0x3c
	s_waitcnt lgkmcnt(0)
	s_mul_hi_u32 s2, s7, s13
	s_delay_alu instid0(SALU_CYCLE_1) | instskip(NEXT) | instid1(SALU_CYCLE_1)
	s_add_i32 s2, s13, s2
	s_lshr_b32 s2, s2, s8
	s_delay_alu instid0(SALU_CYCLE_1) | instskip(SKIP_2) | instid1(SALU_CYCLE_1)
	s_mul_i32 s3, s2, s9
	s_load_b64 s[8:9], s[0:1], 0x10
	s_sub_i32 s3, s13, s3
	s_mul_hi_u32 s7, s3, s10
	s_delay_alu instid0(SALU_CYCLE_1) | instskip(NEXT) | instid1(SALU_CYCLE_1)
	s_add_i32 s7, s3, s7
	s_lshr_b32 s7, s7, s11
	s_delay_alu instid0(SALU_CYCLE_1) | instskip(NEXT) | instid1(SALU_CYCLE_1)
	s_mul_i32 s10, s7, s16
	s_sub_i32 s3, s3, s10
	s_delay_alu instid0(SALU_CYCLE_1) | instskip(NEXT) | instid1(SALU_CYCLE_1)
	s_mul_hi_u32 s10, s3, s17
	s_add_i32 s10, s3, s10
	s_delay_alu instid0(SALU_CYCLE_1) | instskip(NEXT) | instid1(SALU_CYCLE_1)
	s_lshr_b32 s11, s10, s18
	s_mul_i32 s10, s11, s19
	s_delay_alu instid0(SALU_CYCLE_1) | instskip(NEXT) | instid1(SALU_CYCLE_1)
	s_sub_i32 s10, s3, s10
	s_lshl_b32 s3, s10, 4
	s_delay_alu instid0(SALU_CYCLE_1) | instskip(SKIP_4) | instid1(SALU_CYCLE_1)
	s_add_i32 s3, s3, s14
	s_waitcnt lgkmcnt(0)
	s_cmp_lt_i32 s3, s8
	s_cselect_b32 s3, -1, 0
	s_add_i32 s11, s11, s15
	s_cmp_lt_i32 s11, s5
	s_cselect_b32 s12, -1, 0
	s_delay_alu instid0(SALU_CYCLE_1) | instskip(NEXT) | instid1(SALU_CYCLE_1)
	s_and_b32 s3, s3, s12
	s_and_not1_b32 vcc_lo, exec_lo, s3
	s_cbranch_vccnz .LBB60_6
; %bb.1:
	s_mul_i32 s8, s2, s8
	s_mul_i32 s7, s7, s5
	s_add_i32 s8, s8, s14
	s_add_i32 s5, s11, s7
	s_mul_i32 s8, s8, s9
	s_load_b128 s[0:3], s[0:1], 0x0
	s_mul_i32 s7, s9, s10
	s_add_i32 s5, s5, s8
	s_mulk_i32 s7, 0x500
	s_mulk_i32 s5, 0x50
	s_add_i32 s10, s14, s15
	v_add3_u32 v1, s5, s7, v0
	s_mul_i32 s5, s13, s6
	s_delay_alu instid0(SALU_CYCLE_1) | instskip(NEXT) | instid1(VALU_DEP_1)
	s_add_i32 s9, s5, s6
	v_ashrrev_i32_e32 v2, 31, v1
	s_delay_alu instid0(VALU_DEP_1) | instskip(SKIP_1) | instid1(VALU_DEP_1)
	v_lshlrev_b64 v[1:2], 2, v[1:2]
	s_waitcnt lgkmcnt(0)
	v_add_co_u32 v1, vcc_lo, s0, v1
	s_delay_alu instid0(VALU_DEP_2) | instskip(SKIP_1) | instid1(SALU_CYCLE_1)
	v_add_co_ci_u32_e32 v2, vcc_lo, s1, v2, vcc_lo
	s_lshl_b32 s0, s9, 4
	s_add_i32 s0, s10, s0
	global_load_b32 v5, v[1:2], off
	s_add_i32 s0, s0, -16
	s_delay_alu instid0(SALU_CYCLE_1) | instskip(NEXT) | instid1(SALU_CYCLE_1)
	s_ashr_i32 s1, s0, 31
	s_lshl_b64 s[0:1], s[0:1], 3
	s_delay_alu instid0(SALU_CYCLE_1)
	s_add_u32 s0, s2, s0
	s_addc_u32 s1, s3, s1
	s_add_i32 s7, s9, -2
	s_load_b32 s11, s[0:1], 0x4
	s_cmp_lt_i32 s7, s5
	s_cbranch_scc1 .LBB60_4
; %bb.2:
	s_load_b32 s12, s[0:1], 0x0
	s_lshl_b32 s0, s4, 6
	s_waitcnt lgkmcnt(0)
	v_mov_b32_e32 v6, s11
	s_ashr_i32 s1, s0, 31
	s_delay_alu instid0(SALU_CYCLE_1) | instskip(NEXT) | instid1(SALU_CYCLE_1)
	s_lshl_b64 s[0:1], s[0:1], 2
	s_add_u32 s7, s2, s0
	s_addc_u32 s8, s3, s1
	s_add_i32 s13, s13, 1
	s_mul_i32 s1, s10, 0x50
	s_mul_i32 s0, s6, s13
	s_delay_alu instid0(SALU_CYCLE_1)
	s_lshl_b32 s6, s0, 4
	s_mulk_i32 s0, 0x500
	s_add_i32 s6, s10, s6
	s_add_i32 s1, s1, s0
	s_lshl_b32 s0, s4, 4
	v_add3_u32 v3, s1, v0, 0xfffff600
	s_add_i32 s6, s6, s0
	v_mov_b32_e32 v0, s12
	s_add_i32 s4, s9, -1
	s_sub_i32 s0, s6, 32
.LBB60_3:                               ; =>This Inner Loop Header: Depth=1
	s_delay_alu instid0(VALU_DEP_2) | instskip(SKIP_1) | instid1(SALU_CYCLE_1)
	v_ashrrev_i32_e32 v4, 31, v3
	s_ashr_i32 s1, s0, 31
	s_lshl_b64 s[10:11], s[0:1], 3
	s_delay_alu instid0(SALU_CYCLE_1) | instskip(NEXT) | instid1(VALU_DEP_1)
	s_add_u32 s10, s2, s10
	v_lshlrev_b64 v[7:8], 2, v[3:4]
	s_addc_u32 s11, s3, s11
	s_add_i32 s4, s4, -1
	s_add_i32 s0, s0, -16
	s_cmp_le_i32 s4, s5
	s_load_b64 s[10:11], s[10:11], 0x0
	v_add_co_u32 v7, vcc_lo, s7, v7
	v_add_co_ci_u32_e32 v8, vcc_lo, s8, v8, vcc_lo
	global_load_b32 v4, v[7:8], off
	v_max_f32_e32 v7, v0, v0
	s_waitcnt lgkmcnt(0)
	v_max_f32_e64 v8, s10, s10
	s_delay_alu instid0(VALU_DEP_1) | instskip(NEXT) | instid1(VALU_DEP_1)
	v_max_f32_e32 v7, v7, v8
	v_sub_f32_e32 v8, s10, v7
	s_delay_alu instid0(VALU_DEP_1) | instskip(NEXT) | instid1(VALU_DEP_1)
	v_dual_sub_f32 v0, v0, v7 :: v_dual_mul_f32 v9, 0x3fb8aa3b, v8
	v_fma_f32 v10, 0x3fb8aa3b, v8, -v9
	v_rndne_f32_e32 v11, v9
	s_delay_alu instid0(VALU_DEP_3) | instskip(NEXT) | instid1(VALU_DEP_2)
	v_mul_f32_e32 v12, 0x3fb8aa3b, v0
	v_dual_fmac_f32 v10, 0x32a5705f, v8 :: v_dual_sub_f32 v9, v9, v11
	v_cvt_i32_f32_e32 v11, v11
	s_delay_alu instid0(VALU_DEP_3) | instskip(SKIP_1) | instid1(VALU_DEP_4)
	v_fma_f32 v13, 0x3fb8aa3b, v0, -v12
	v_rndne_f32_e32 v14, v12
	v_add_f32_e32 v9, v9, v10
	v_cmp_ngt_f32_e32 vcc_lo, 0xc2ce8ed0, v8
	s_delay_alu instid0(VALU_DEP_3) | instskip(NEXT) | instid1(VALU_DEP_3)
	v_sub_f32_e32 v10, v12, v14
	v_exp_f32_e32 v9, v9
	s_waitcnt_depctr 0xfff
	v_ldexp_f32 v9, v9, v11
	v_cvt_i32_f32_e32 v11, v14
	s_delay_alu instid0(VALU_DEP_2) | instskip(SKIP_1) | instid1(VALU_DEP_2)
	v_cndmask_b32_e32 v9, 0, v9, vcc_lo
	v_cmp_nlt_f32_e32 vcc_lo, 0x42b17218, v8
	v_cndmask_b32_e32 v9, 0x7f800000, v9, vcc_lo
	v_cmp_ngt_f32_e32 vcc_lo, 0xc2ce8ed0, v0
	v_fmac_f32_e32 v13, 0x32a5705f, v0
	s_delay_alu instid0(VALU_DEP_1) | instskip(NEXT) | instid1(VALU_DEP_1)
	v_add_f32_e32 v10, v10, v13
	v_exp_f32_e32 v10, v10
	s_waitcnt_depctr 0xfff
	v_ldexp_f32 v10, v10, v11
	s_delay_alu instid0(VALU_DEP_1)
	v_dual_mov_b32 v11, v6 :: v_dual_cndmask_b32 v10, 0, v10
	v_cmp_le_f32_e32 vcc_lo, 0xc1a00000, v8
	s_waitcnt vmcnt(1)
	v_dual_cndmask_b32 v8, 0, v9 :: v_dual_mov_b32 v9, v5
	v_cmp_nlt_f32_e32 vcc_lo, 0x42b17218, v0
	v_cndmask_b32_e32 v5, 0x7f800000, v10, vcc_lo
	s_delay_alu instid0(VALU_DEP_3) | instskip(SKIP_2) | instid1(VALU_DEP_3)
	v_mul_f32_e32 v10, s11, v8
	v_cmp_le_f32_e32 vcc_lo, 0xc1a00000, v0
	v_mov_b32_e32 v0, v7
	v_mov_b32_e32 v6, v10
	s_waitcnt vmcnt(0)
	v_dual_cndmask_b32 v12, 0, v5 :: v_dual_mul_f32 v5, v4, v8
	s_delay_alu instid0(VALU_DEP_1) | instskip(NEXT) | instid1(VALU_DEP_2)
	v_dual_fmac_f32 v6, v11, v12 :: v_dual_add_nc_u32 v3, 0xfffffb00, v3
	v_fmac_f32_e32 v5, v9, v12
	s_cbranch_scc0 .LBB60_3
	s_branch .LBB60_5
.LBB60_4:
	s_waitcnt lgkmcnt(0)
	v_mov_b32_e32 v6, s11
.LBB60_5:
	s_waitcnt vmcnt(0)
	s_delay_alu instid0(VALU_DEP_1) | instskip(NEXT) | instid1(VALU_DEP_1)
	v_div_scale_f32 v0, null, v6, v6, v5
	v_rcp_f32_e32 v3, v0
	s_waitcnt_depctr 0xfff
	v_fma_f32 v4, -v0, v3, 1.0
	s_delay_alu instid0(VALU_DEP_1) | instskip(SKIP_1) | instid1(VALU_DEP_1)
	v_fmac_f32_e32 v3, v4, v3
	v_div_scale_f32 v4, vcc_lo, v5, v6, v5
	v_mul_f32_e32 v7, v4, v3
	s_delay_alu instid0(VALU_DEP_1) | instskip(NEXT) | instid1(VALU_DEP_1)
	v_fma_f32 v8, -v0, v7, v4
	v_fmac_f32_e32 v7, v8, v3
	s_delay_alu instid0(VALU_DEP_1) | instskip(NEXT) | instid1(VALU_DEP_1)
	v_fma_f32 v0, -v0, v7, v4
	v_div_fmas_f32 v0, v0, v3, v7
	s_delay_alu instid0(VALU_DEP_1)
	v_div_fixup_f32 v0, v0, v6, v5
	global_store_b32 v[1:2], v0, off
.LBB60_6:
	s_nop 0
	s_sendmsg sendmsg(MSG_DEALLOC_VGPRS)
	s_endpgm
	.section	.rodata,"a",@progbits
	.p2align	6, 0x0
	.amdhsa_kernel _ZL33flash_attn_stream_k_fixup_uniformILi80ELi16ELi1EEvPfPK15HIP_vector_typeIfLj2EEiiiiiiS1_IjLj3EES5_S5_
		.amdhsa_group_segment_fixed_size 0
		.amdhsa_private_segment_fixed_size 0
		.amdhsa_kernarg_size 76
		.amdhsa_user_sgpr_count 13
		.amdhsa_user_sgpr_dispatch_ptr 0
		.amdhsa_user_sgpr_queue_ptr 0
		.amdhsa_user_sgpr_kernarg_segment_ptr 1
		.amdhsa_user_sgpr_dispatch_id 0
		.amdhsa_user_sgpr_private_segment_size 0
		.amdhsa_wavefront_size32 1
		.amdhsa_uses_dynamic_stack 0
		.amdhsa_enable_private_segment 0
		.amdhsa_system_sgpr_workgroup_id_x 1
		.amdhsa_system_sgpr_workgroup_id_y 1
		.amdhsa_system_sgpr_workgroup_id_z 1
		.amdhsa_system_sgpr_workgroup_info 0
		.amdhsa_system_vgpr_workitem_id 0
		.amdhsa_next_free_vgpr 15
		.amdhsa_next_free_sgpr 20
		.amdhsa_reserve_vcc 1
		.amdhsa_float_round_mode_32 0
		.amdhsa_float_round_mode_16_64 0
		.amdhsa_float_denorm_mode_32 3
		.amdhsa_float_denorm_mode_16_64 3
		.amdhsa_dx10_clamp 1
		.amdhsa_ieee_mode 1
		.amdhsa_fp16_overflow 0
		.amdhsa_workgroup_processor_mode 1
		.amdhsa_memory_ordered 1
		.amdhsa_forward_progress 0
		.amdhsa_shared_vgpr_count 0
		.amdhsa_exception_fp_ieee_invalid_op 0
		.amdhsa_exception_fp_denorm_src 0
		.amdhsa_exception_fp_ieee_div_zero 0
		.amdhsa_exception_fp_ieee_overflow 0
		.amdhsa_exception_fp_ieee_underflow 0
		.amdhsa_exception_fp_ieee_inexact 0
		.amdhsa_exception_int_div_zero 0
	.end_amdhsa_kernel
	.section	.text._ZL33flash_attn_stream_k_fixup_uniformILi80ELi16ELi1EEvPfPK15HIP_vector_typeIfLj2EEiiiiiiS1_IjLj3EES5_S5_,"axG",@progbits,_ZL33flash_attn_stream_k_fixup_uniformILi80ELi16ELi1EEvPfPK15HIP_vector_typeIfLj2EEiiiiiiS1_IjLj3EES5_S5_,comdat
.Lfunc_end60:
	.size	_ZL33flash_attn_stream_k_fixup_uniformILi80ELi16ELi1EEvPfPK15HIP_vector_typeIfLj2EEiiiiiiS1_IjLj3EES5_S5_, .Lfunc_end60-_ZL33flash_attn_stream_k_fixup_uniformILi80ELi16ELi1EEvPfPK15HIP_vector_typeIfLj2EEiiiiiiS1_IjLj3EES5_S5_
                                        ; -- End function
	.section	.AMDGPU.csdata,"",@progbits
; Kernel info:
; codeLenInByte = 976
; NumSgprs: 22
; NumVgprs: 15
; ScratchSize: 0
; MemoryBound: 0
; FloatMode: 240
; IeeeMode: 1
; LDSByteSize: 0 bytes/workgroup (compile time only)
; SGPRBlocks: 2
; VGPRBlocks: 1
; NumSGPRsForWavesPerEU: 22
; NumVGPRsForWavesPerEU: 15
; Occupancy: 16
; WaveLimiterHint : 0
; COMPUTE_PGM_RSRC2:SCRATCH_EN: 0
; COMPUTE_PGM_RSRC2:USER_SGPR: 13
; COMPUTE_PGM_RSRC2:TRAP_HANDLER: 0
; COMPUTE_PGM_RSRC2:TGID_X_EN: 1
; COMPUTE_PGM_RSRC2:TGID_Y_EN: 1
; COMPUTE_PGM_RSRC2:TGID_Z_EN: 1
; COMPUTE_PGM_RSRC2:TIDIG_COMP_CNT: 0
	.section	.text._ZL33flash_attn_stream_k_fixup_generalILi80ELi16ELi1EEvPfPK15HIP_vector_typeIfLj2EEiiiiS1_IjLj3EES5_S5_S5_,"axG",@progbits,_ZL33flash_attn_stream_k_fixup_generalILi80ELi16ELi1EEvPfPK15HIP_vector_typeIfLj2EEiiiiS1_IjLj3EES5_S5_S5_,comdat
	.globl	_ZL33flash_attn_stream_k_fixup_generalILi80ELi16ELi1EEvPfPK15HIP_vector_typeIfLj2EEiiiiS1_IjLj3EES5_S5_S5_ ; -- Begin function _ZL33flash_attn_stream_k_fixup_generalILi80ELi16ELi1EEvPfPK15HIP_vector_typeIfLj2EEiiiiS1_IjLj3EES5_S5_S5_
	.p2align	8
	.type	_ZL33flash_attn_stream_k_fixup_generalILi80ELi16ELi1EEvPfPK15HIP_vector_typeIfLj2EEiiiiS1_IjLj3EES5_S5_S5_,@function
_ZL33flash_attn_stream_k_fixup_generalILi80ELi16ELi1EEvPfPK15HIP_vector_typeIfLj2EEiiiiS1_IjLj3EES5_S5_S5_: ; @_ZL33flash_attn_stream_k_fixup_generalILi80ELi16ELi1EEvPfPK15HIP_vector_typeIfLj2EEiiiiS1_IjLj3EES5_S5_S5_
; %bb.0:
	s_clause 0x1
	s_load_b128 s[4:7], s[0:1], 0x10
	s_load_b32 s20, s[0:1], 0x50
	s_mov_b32 s2, 0
	s_waitcnt lgkmcnt(0)
	s_mul_hi_i32 s3, s7, s13
	s_mul_i32 s12, s7, s13
	s_cmp_lg_u64 s[2:3], 0
	s_cbranch_scc0 .LBB61_21
; %bb.1:
	v_cvt_f32_ubyte0_e32 v1, 0
	v_cvt_f32_u32_e32 v2, s20
	s_sub_u32 s10, 0, s20
	s_subb_u32 s11, 0, 0
	s_delay_alu instid0(VALU_DEP_1) | instskip(NEXT) | instid1(VALU_DEP_1)
	v_fmamk_f32 v1, v1, 0x4f800000, v2
	v_rcp_f32_e32 v1, v1
	s_waitcnt_depctr 0xfff
	v_mul_f32_e32 v1, 0x5f7ffffc, v1
	s_delay_alu instid0(VALU_DEP_1) | instskip(NEXT) | instid1(VALU_DEP_1)
	v_mul_f32_e32 v2, 0x2f800000, v1
	v_trunc_f32_e32 v2, v2
	s_delay_alu instid0(VALU_DEP_1) | instskip(SKIP_1) | instid1(VALU_DEP_2)
	v_fmamk_f32 v1, v2, 0xcf800000, v1
	v_cvt_u32_f32_e32 v2, v2
	v_cvt_u32_f32_e32 v1, v1
	s_delay_alu instid0(VALU_DEP_2) | instskip(NEXT) | instid1(VALU_DEP_2)
	v_readfirstlane_b32 s8, v2
	v_readfirstlane_b32 s9, v1
	s_delay_alu instid0(VALU_DEP_2) | instskip(NEXT) | instid1(VALU_DEP_1)
	s_mul_i32 s16, s10, s8
	s_mul_hi_u32 s18, s10, s9
	s_mul_i32 s17, s11, s9
	s_add_i32 s16, s18, s16
	s_mul_i32 s19, s10, s9
	s_add_i32 s16, s16, s17
	s_mul_hi_u32 s18, s9, s19
	s_mul_hi_u32 s21, s8, s19
	s_mul_i32 s17, s8, s19
	s_mul_hi_u32 s19, s9, s16
	s_mul_i32 s9, s9, s16
	s_mul_hi_u32 s22, s8, s16
	s_add_u32 s9, s18, s9
	s_addc_u32 s18, 0, s19
	s_add_u32 s9, s9, s17
	s_mul_i32 s16, s8, s16
	s_addc_u32 s9, s18, s21
	s_addc_u32 s17, s22, 0
	s_add_u32 s9, s9, s16
	s_addc_u32 s16, 0, s17
	v_add_co_u32 v1, s9, v1, s9
	s_delay_alu instid0(VALU_DEP_1) | instskip(SKIP_1) | instid1(VALU_DEP_1)
	s_cmp_lg_u32 s9, 0
	s_addc_u32 s8, s8, s16
	v_readfirstlane_b32 s9, v1
	s_mul_i32 s16, s10, s8
	s_delay_alu instid0(VALU_DEP_1)
	s_mul_hi_u32 s17, s10, s9
	s_mul_i32 s11, s11, s9
	s_add_i32 s16, s17, s16
	s_mul_i32 s10, s10, s9
	s_add_i32 s16, s16, s11
	s_mul_hi_u32 s17, s8, s10
	s_mul_i32 s18, s8, s10
	s_mul_hi_u32 s10, s9, s10
	s_mul_hi_u32 s19, s9, s16
	s_mul_i32 s9, s9, s16
	s_mul_hi_u32 s11, s8, s16
	s_add_u32 s9, s10, s9
	s_addc_u32 s10, 0, s19
	s_add_u32 s9, s9, s18
	s_mul_i32 s16, s8, s16
	s_addc_u32 s9, s10, s17
	s_addc_u32 s10, s11, 0
	s_add_u32 s9, s9, s16
	s_addc_u32 s10, 0, s10
	v_add_co_u32 v1, s9, v1, s9
	s_delay_alu instid0(VALU_DEP_1) | instskip(SKIP_2) | instid1(SALU_CYCLE_1)
	s_cmp_lg_u32 s9, 0
	s_addc_u32 s16, s8, s10
	s_ashr_i32 s8, s3, 31
	s_add_u32 s10, s12, s8
	s_addc_u32 s11, s3, s8
	v_readfirstlane_b32 s3, v1
	s_mov_b32 s9, s8
	s_delay_alu instid0(SALU_CYCLE_1) | instskip(NEXT) | instid1(SALU_CYCLE_1)
	s_xor_b64 s[10:11], s[10:11], s[8:9]
	s_mul_i32 s18, s10, s16
	s_delay_alu instid0(VALU_DEP_1)
	s_mul_hi_u32 s19, s10, s3
	s_mul_hi_u32 s17, s10, s16
	;; [unrolled: 1-line block ×3, first 2 shown]
	s_mul_i32 s3, s11, s3
	s_add_u32 s18, s19, s18
	s_addc_u32 s17, 0, s17
	s_mul_hi_u32 s21, s11, s16
	s_add_u32 s3, s18, s3
	s_mul_i32 s16, s11, s16
	s_addc_u32 s3, s17, s22
	s_addc_u32 s17, s21, 0
	s_add_u32 s3, s3, s16
	s_addc_u32 s16, 0, s17
	s_mul_i32 s18, s20, s3
	s_add_u32 s17, s3, 1
	v_sub_co_u32 v1, s10, s10, s18
	s_mul_hi_u32 s18, s20, s3
	s_addc_u32 s19, s16, 0
	s_mul_i32 s21, s20, s16
	s_delay_alu instid0(VALU_DEP_1)
	v_sub_co_u32 v2, s22, v1, s20
	s_add_u32 s23, s3, 2
	s_addc_u32 s24, s16, 0
	s_add_i32 s18, s18, s21
	s_cmp_lg_u32 s10, 0
	v_readfirstlane_b32 s10, v2
	s_subb_u32 s11, s11, s18
	s_cmp_lg_u32 s22, 0
	s_subb_u32 s18, s11, 0
	s_delay_alu instid0(VALU_DEP_1) | instskip(SKIP_4) | instid1(SALU_CYCLE_1)
	s_cmp_ge_u32 s10, s20
	s_cselect_b32 s10, -1, 0
	s_cmp_eq_u32 s18, 0
	v_readfirstlane_b32 s18, v1
	s_cselect_b32 s10, s10, -1
	s_cmp_lg_u32 s10, 0
	s_cselect_b32 s10, s23, s17
	s_cselect_b32 s17, s24, s19
	s_cmp_ge_u32 s18, s20
	s_cselect_b32 s18, -1, 0
	s_cmp_eq_u32 s11, 0
	s_cselect_b32 s11, s18, -1
	s_delay_alu instid0(SALU_CYCLE_1) | instskip(SKIP_2) | instid1(SALU_CYCLE_1)
	s_cmp_lg_u32 s11, 0
	s_cselect_b32 s11, s17, s16
	s_cselect_b32 s10, s10, s3
	s_xor_b64 s[10:11], s[10:11], s[8:9]
	s_delay_alu instid0(SALU_CYCLE_1)
	s_sub_u32 s16, s10, s8
	s_load_b128 s[8:11], s[0:1], 0x44
	s_and_not1_b32 vcc_lo, exec_lo, s2
	s_cbranch_vccnz .LBB61_3
.LBB61_2:
	v_cvt_f32_u32_e32 v1, s20
	s_sub_i32 s3, 0, s20
	s_delay_alu instid0(VALU_DEP_1) | instskip(SKIP_2) | instid1(VALU_DEP_1)
	v_rcp_iflag_f32_e32 v1, v1
	s_waitcnt_depctr 0xfff
	v_mul_f32_e32 v1, 0x4f7ffffe, v1
	v_cvt_u32_f32_e32 v1, v1
	s_delay_alu instid0(VALU_DEP_1) | instskip(NEXT) | instid1(VALU_DEP_1)
	v_readfirstlane_b32 s2, v1
	s_mul_i32 s3, s3, s2
	s_delay_alu instid0(SALU_CYCLE_1) | instskip(NEXT) | instid1(SALU_CYCLE_1)
	s_mul_hi_u32 s3, s2, s3
	s_add_i32 s2, s2, s3
	s_delay_alu instid0(SALU_CYCLE_1) | instskip(NEXT) | instid1(SALU_CYCLE_1)
	s_mul_hi_u32 s2, s12, s2
	s_mul_i32 s3, s2, s20
	s_waitcnt lgkmcnt(0)
	s_add_i32 s11, s2, 1
	s_sub_i32 s3, s12, s3
	s_delay_alu instid0(SALU_CYCLE_1)
	s_sub_i32 s12, s3, s20
	s_cmp_ge_u32 s3, s20
	s_cselect_b32 s2, s11, s2
	s_cselect_b32 s3, s12, s3
	s_add_i32 s11, s2, 1
	s_cmp_ge_u32 s3, s20
	s_cselect_b32 s16, s11, s2
.LBB61_3:
	s_waitcnt lgkmcnt(0)
	s_add_i32 s11, s13, 1
	s_mov_b32 s2, 0
	s_mul_hi_i32 s3, s7, s11
	s_mul_i32 s11, s7, s11
	s_cmp_lg_u64 s[2:3], 0
	s_cbranch_scc0 .LBB61_22
; %bb.4:
	v_cvt_f32_ubyte0_e32 v1, 0
	v_cvt_f32_u32_e32 v2, s20
	s_sub_u32 s18, 0, s20
	s_subb_u32 s19, 0, 0
	s_delay_alu instid0(VALU_DEP_1) | instskip(NEXT) | instid1(VALU_DEP_1)
	v_fmamk_f32 v1, v1, 0x4f800000, v2
	v_rcp_f32_e32 v1, v1
	s_waitcnt_depctr 0xfff
	v_mul_f32_e32 v1, 0x5f7ffffc, v1
	s_delay_alu instid0(VALU_DEP_1) | instskip(NEXT) | instid1(VALU_DEP_1)
	v_mul_f32_e32 v2, 0x2f800000, v1
	v_trunc_f32_e32 v2, v2
	s_delay_alu instid0(VALU_DEP_1) | instskip(SKIP_1) | instid1(VALU_DEP_2)
	v_fmamk_f32 v1, v2, 0xcf800000, v1
	v_cvt_u32_f32_e32 v2, v2
	v_cvt_u32_f32_e32 v1, v1
	s_delay_alu instid0(VALU_DEP_2) | instskip(NEXT) | instid1(VALU_DEP_2)
	v_readfirstlane_b32 s12, v2
	v_readfirstlane_b32 s17, v1
	s_delay_alu instid0(VALU_DEP_2) | instskip(NEXT) | instid1(VALU_DEP_1)
	s_mul_i32 s21, s18, s12
	s_mul_hi_u32 s23, s18, s17
	s_mul_i32 s22, s19, s17
	s_add_i32 s21, s23, s21
	s_mul_i32 s24, s18, s17
	s_add_i32 s21, s21, s22
	s_mul_hi_u32 s23, s17, s24
	s_mul_hi_u32 s25, s12, s24
	s_mul_i32 s22, s12, s24
	s_mul_hi_u32 s24, s17, s21
	s_mul_i32 s17, s17, s21
	s_mul_hi_u32 s26, s12, s21
	s_add_u32 s17, s23, s17
	s_addc_u32 s23, 0, s24
	s_add_u32 s17, s17, s22
	s_mul_i32 s21, s12, s21
	s_addc_u32 s17, s23, s25
	s_addc_u32 s22, s26, 0
	s_add_u32 s17, s17, s21
	s_addc_u32 s21, 0, s22
	v_add_co_u32 v1, s17, v1, s17
	s_delay_alu instid0(VALU_DEP_1) | instskip(SKIP_1) | instid1(VALU_DEP_1)
	s_cmp_lg_u32 s17, 0
	s_addc_u32 s12, s12, s21
	v_readfirstlane_b32 s17, v1
	s_mul_i32 s21, s18, s12
	s_delay_alu instid0(VALU_DEP_1)
	s_mul_hi_u32 s22, s18, s17
	s_mul_i32 s19, s19, s17
	s_add_i32 s21, s22, s21
	s_mul_i32 s18, s18, s17
	s_add_i32 s21, s21, s19
	s_mul_hi_u32 s22, s12, s18
	s_mul_i32 s23, s12, s18
	s_mul_hi_u32 s18, s17, s18
	s_mul_hi_u32 s24, s17, s21
	s_mul_i32 s17, s17, s21
	s_mul_hi_u32 s19, s12, s21
	s_add_u32 s17, s18, s17
	s_addc_u32 s18, 0, s24
	s_add_u32 s17, s17, s23
	s_mul_i32 s21, s12, s21
	s_addc_u32 s17, s18, s22
	s_addc_u32 s18, s19, 0
	s_add_u32 s17, s17, s21
	s_addc_u32 s18, 0, s18
	v_add_co_u32 v1, s17, v1, s17
	s_delay_alu instid0(VALU_DEP_1) | instskip(SKIP_2) | instid1(SALU_CYCLE_1)
	s_cmp_lg_u32 s17, 0
	s_addc_u32 s12, s12, s18
	s_ashr_i32 s18, s3, 31
	s_add_u32 s22, s11, s18
	s_addc_u32 s23, s3, s18
	v_readfirstlane_b32 s3, v1
	s_mov_b32 s19, s18
	s_delay_alu instid0(SALU_CYCLE_1) | instskip(NEXT) | instid1(SALU_CYCLE_1)
	s_xor_b64 s[22:23], s[22:23], s[18:19]
	s_mul_i32 s21, s22, s12
	s_delay_alu instid0(VALU_DEP_1)
	s_mul_hi_u32 s24, s22, s3
	s_mul_hi_u32 s17, s22, s12
	;; [unrolled: 1-line block ×3, first 2 shown]
	s_mul_i32 s3, s23, s3
	s_add_u32 s21, s24, s21
	s_addc_u32 s17, 0, s17
	s_mul_hi_u32 s25, s23, s12
	s_add_u32 s3, s21, s3
	s_mul_i32 s12, s23, s12
	s_addc_u32 s3, s17, s26
	s_addc_u32 s17, s25, 0
	s_add_u32 s3, s3, s12
	s_addc_u32 s12, 0, s17
	s_mul_i32 s21, s20, s3
	s_add_u32 s17, s3, 1
	v_sub_co_u32 v1, s21, s22, s21
	s_mul_hi_u32 s22, s20, s3
	s_addc_u32 s24, s12, 0
	s_mul_i32 s25, s20, s12
	s_delay_alu instid0(VALU_DEP_1)
	v_sub_co_u32 v2, s26, v1, s20
	s_add_u32 s27, s3, 2
	s_addc_u32 s28, s12, 0
	s_add_i32 s22, s22, s25
	s_cmp_lg_u32 s21, 0
	v_readfirstlane_b32 s21, v2
	s_subb_u32 s22, s23, s22
	s_cmp_lg_u32 s26, 0
	s_subb_u32 s23, s22, 0
	s_delay_alu instid0(VALU_DEP_1) | instskip(SKIP_4) | instid1(SALU_CYCLE_1)
	s_cmp_ge_u32 s21, s20
	s_cselect_b32 s21, -1, 0
	s_cmp_eq_u32 s23, 0
	v_readfirstlane_b32 s23, v1
	s_cselect_b32 s21, s21, -1
	s_cmp_lg_u32 s21, 0
	s_cselect_b32 s17, s27, s17
	s_cselect_b32 s21, s28, s24
	s_cmp_ge_u32 s23, s20
	s_cselect_b32 s23, -1, 0
	s_cmp_eq_u32 s22, 0
	s_cselect_b32 s22, s23, -1
	s_delay_alu instid0(SALU_CYCLE_1) | instskip(SKIP_2) | instid1(SALU_CYCLE_1)
	s_cmp_lg_u32 s22, 0
	s_cselect_b32 s23, s21, s12
	s_cselect_b32 s22, s17, s3
	s_xor_b64 s[22:23], s[22:23], s[18:19]
	s_delay_alu instid0(SALU_CYCLE_1)
	s_sub_u32 s18, s22, s18
	s_and_not1_b32 vcc_lo, exec_lo, s2
	s_cbranch_vccnz .LBB61_6
.LBB61_5:
	v_cvt_f32_u32_e32 v1, s20
	s_sub_i32 s3, 0, s20
	s_delay_alu instid0(VALU_DEP_1) | instskip(SKIP_2) | instid1(VALU_DEP_1)
	v_rcp_iflag_f32_e32 v1, v1
	s_waitcnt_depctr 0xfff
	v_mul_f32_e32 v1, 0x4f7ffffe, v1
	v_cvt_u32_f32_e32 v1, v1
	s_delay_alu instid0(VALU_DEP_1) | instskip(NEXT) | instid1(VALU_DEP_1)
	v_readfirstlane_b32 s2, v1
	s_mul_i32 s3, s3, s2
	s_delay_alu instid0(SALU_CYCLE_1) | instskip(NEXT) | instid1(SALU_CYCLE_1)
	s_mul_hi_u32 s3, s2, s3
	s_add_i32 s2, s2, s3
	s_delay_alu instid0(SALU_CYCLE_1) | instskip(NEXT) | instid1(SALU_CYCLE_1)
	s_mul_hi_u32 s2, s11, s2
	s_mul_i32 s3, s2, s20
	s_delay_alu instid0(SALU_CYCLE_1)
	s_sub_i32 s3, s11, s3
	s_add_i32 s11, s2, 1
	s_sub_i32 s12, s3, s20
	s_cmp_ge_u32 s3, s20
	s_cselect_b32 s2, s11, s2
	s_cselect_b32 s3, s12, s3
	s_add_i32 s11, s2, 1
	s_cmp_ge_u32 s3, s20
	s_cselect_b32 s18, s11, s2
.LBB61_6:
	s_delay_alu instid0(SALU_CYCLE_1) | instskip(SKIP_3) | instid1(SALU_CYCLE_1)
	s_cmp_eq_u32 s16, s18
	s_mul_hi_u32 s2, s16, s8
	s_cselect_b32 s3, -1, 0
	s_add_i32 s2, s2, s16
	s_lshr_b32 s11, s2, s9
	s_delay_alu instid0(SALU_CYCLE_1) | instskip(NEXT) | instid1(SALU_CYCLE_1)
	s_mul_i32 s2, s11, s10
	s_cmp_eq_u32 s2, s16
	s_mul_hi_u32 s2, s18, s8
	s_cselect_b32 s12, -1, 0
	s_add_i32 s2, s2, s18
	s_delay_alu instid0(SALU_CYCLE_1) | instskip(NEXT) | instid1(SALU_CYCLE_1)
	s_lshr_b32 s2, s2, s9
	s_cmp_eq_u32 s11, s2
	s_mul_i32 s2, s2, s10
	s_cselect_b32 s17, -1, 0
	s_cmp_lg_u32 s2, s18
	s_cselect_b32 s2, -1, 0
	s_or_b32 s3, s3, s12
	s_and_b32 s2, s17, s2
	s_delay_alu instid0(SALU_CYCLE_1) | instskip(NEXT) | instid1(SALU_CYCLE_1)
	s_or_b32 s2, s3, s2
	s_and_b32 vcc_lo, exec_lo, s2
	s_cbranch_vccnz .LBB61_24
; %bb.7:
	s_load_b256 s[24:31], s[0:1], 0x20
	s_waitcnt lgkmcnt(0)
	s_mul_hi_u32 s2, s16, s24
	s_delay_alu instid0(SALU_CYCLE_1) | instskip(NEXT) | instid1(SALU_CYCLE_1)
	s_add_i32 s2, s2, s16
	s_lshr_b32 s17, s2, s25
	s_load_b32 s2, s[0:1], 0x40
	s_mul_i32 s3, s17, s26
	s_delay_alu instid0(SALU_CYCLE_1) | instskip(NEXT) | instid1(SALU_CYCLE_1)
	s_sub_i32 s3, s16, s3
	s_mul_hi_u32 s12, s3, s27
	s_delay_alu instid0(SALU_CYCLE_1) | instskip(NEXT) | instid1(SALU_CYCLE_1)
	s_add_i32 s12, s3, s12
	s_lshr_b32 s19, s12, s28
	s_delay_alu instid0(SALU_CYCLE_1) | instskip(NEXT) | instid1(SALU_CYCLE_1)
	s_mul_i32 s12, s19, s29
	s_sub_i32 s3, s3, s12
	s_delay_alu instid0(SALU_CYCLE_1) | instskip(NEXT) | instid1(SALU_CYCLE_1)
	s_mul_hi_u32 s12, s3, s30
	s_add_i32 s12, s3, s12
	s_delay_alu instid0(SALU_CYCLE_1) | instskip(SKIP_3) | instid1(SALU_CYCLE_1)
	s_lshr_b32 s21, s12, s31
	s_mov_b32 s12, 0
	s_waitcnt lgkmcnt(0)
	s_mul_i32 s2, s21, s2
	s_sub_i32 s2, s3, s2
	s_delay_alu instid0(SALU_CYCLE_1) | instskip(NEXT) | instid1(SALU_CYCLE_1)
	s_mul_hi_u32 s3, s2, s8
	s_add_i32 s2, s2, s3
	s_delay_alu instid0(SALU_CYCLE_1) | instskip(NEXT) | instid1(SALU_CYCLE_1)
	s_lshr_b32 s18, s2, s9
	s_lshl_b32 s2, s18, 4
	s_delay_alu instid0(SALU_CYCLE_1) | instskip(NEXT) | instid1(SALU_CYCLE_1)
	s_add_i32 s2, s2, s14
	s_cmp_lt_i32 s2, s4
	s_cselect_b32 s2, -1, 0
	s_add_i32 s21, s21, s15
	s_delay_alu instid0(SALU_CYCLE_1) | instskip(SKIP_1) | instid1(SALU_CYCLE_1)
	s_cmp_lt_i32 s21, s6
	s_cselect_b32 s3, -1, 0
	s_and_b32 s2, s2, s3
	s_delay_alu instid0(SALU_CYCLE_1)
	s_and_not1_b32 vcc_lo, exec_lo, s2
	s_cbranch_vccnz .LBB61_24
; %bb.8:
	s_load_b128 s[0:3], s[0:1], 0x0
	s_lshl_b32 s22, s20, 6
	s_mov_b32 s23, s12
	s_add_i32 s15, s14, s15
	s_lshl_b64 s[22:23], s[22:23], 2
	s_mul_i32 s4, s17, s4
	s_mul_i32 s19, s19, s6
	v_cvt_f32_ubyte0_e32 v3, 0
	v_cvt_f32_u32_e32 v4, s20
	s_waitcnt lgkmcnt(0)
	s_add_u32 s6, s2, s22
	s_addc_u32 s17, s3, s23
	s_add_i32 s4, s4, s14
	s_add_i32 s14, s21, s19
	s_mul_i32 s4, s4, s5
	s_mul_i32 s5, s5, s18
	s_add_i32 s4, s14, s4
	s_mulk_i32 s5, 0x500
	s_mulk_i32 s4, 0x50
	s_delay_alu instid0(SALU_CYCLE_1) | instskip(NEXT) | instid1(VALU_DEP_1)
	v_add3_u32 v1, s5, s4, v0
	v_ashrrev_i32_e32 v2, 31, v1
	s_delay_alu instid0(VALU_DEP_1) | instskip(NEXT) | instid1(VALU_DEP_1)
	v_lshlrev_b64 v[1:2], 2, v[1:2]
	v_add_co_u32 v1, vcc_lo, s0, v1
	s_delay_alu instid0(VALU_DEP_2) | instskip(SKIP_1) | instid1(SALU_CYCLE_1)
	v_add_co_ci_u32_e32 v2, vcc_lo, s1, v2, vcc_lo
	s_lshl_b32 s0, s13, 4
	s_add_i32 s0, s0, s15
	global_load_b32 v5, v[1:2], off
	s_ashr_i32 s1, s0, 31
	s_delay_alu instid0(SALU_CYCLE_1) | instskip(NEXT) | instid1(SALU_CYCLE_1)
	s_lshl_b64 s[0:1], s[0:1], 3
	s_add_u32 s0, s2, s0
	s_addc_u32 s1, s3, s1
	s_add_i32 s18, s13, -1
	s_load_b64 s[0:1], s[0:1], 0x0
	v_fmac_f32_e32 v4, 0x4f800000, v3
	s_sub_i32 s14, 0, s20
	s_delay_alu instid0(VALU_DEP_1)
	v_rcp_f32_e32 v3, v4
	s_waitcnt_depctr 0xfff
	v_mul_f32_e32 v6, 0x5f7ffffc, v3
	v_cvt_f32_u32_e32 v3, s20
	s_waitcnt lgkmcnt(0)
	v_mov_b32_e32 v8, s0
	s_delay_alu instid0(VALU_DEP_3) | instskip(NEXT) | instid1(VALU_DEP_3)
	v_mul_f32_e32 v4, 0x2f800000, v6
	v_rcp_iflag_f32_e32 v7, v3
	s_delay_alu instid0(VALU_DEP_1) | instskip(SKIP_1) | instid1(VALU_DEP_2)
	v_trunc_f32_e32 v9, v4
	v_mad_u64_u32 v[3:4], null, 0x50, s15, v[0:1]
	v_fmac_f32_e32 v6, 0xcf800000, v9
	s_waitcnt_depctr 0xfff
	v_dual_mul_f32 v10, 0x4f7ffffe, v7 :: v_dual_mov_b32 v7, s1
	v_cvt_u32_f32_e32 v4, v9
	v_cvt_u32_f32_e32 v0, v6
	s_delay_alu instid0(VALU_DEP_3)
	v_cvt_u32_f32_e32 v6, v10
.LBB61_9:                               ; =>This Inner Loop Header: Depth=1
	s_mul_hi_i32 s13, s18, s7
	s_mul_i32 s4, s18, s7
	s_cmp_lg_u64 s[12:13], 0
	s_mov_b32 s5, -1
                                        ; implicit-def: $sgpr0_sgpr1
	s_cbranch_scc0 .LBB61_11
; %bb.10:                               ;   in Loop: Header=BB61_9 Depth=1
	v_readfirstlane_b32 s0, v0
	v_readfirstlane_b32 s1, v4
	s_sub_u32 s5, 0, s20
	s_subb_u32 s19, 0, 0
	s_delay_alu instid0(VALU_DEP_2) | instskip(NEXT) | instid1(VALU_DEP_1)
	s_mul_hi_u32 s21, s5, s0
	s_mul_i32 s22, s5, s1
	s_mul_i32 s23, s19, s0
	s_add_i32 s21, s21, s22
	s_mul_i32 s22, s5, s0
	s_add_i32 s21, s21, s23
	s_mul_hi_u32 s23, s0, s22
	s_mul_i32 s24, s0, s21
	s_mul_hi_u32 s0, s0, s21
	s_add_u32 s23, s23, s24
	s_mul_i32 s25, s1, s22
	s_addc_u32 s0, 0, s0
	s_mul_hi_u32 s22, s1, s22
	s_mul_hi_u32 s24, s1, s21
	s_add_u32 s23, s23, s25
	s_addc_u32 s0, s0, s22
	s_mul_i32 s21, s1, s21
	s_addc_u32 s22, s24, 0
	s_add_u32 s0, s0, s21
	s_addc_u32 s21, 0, s22
	v_add_co_u32 v9, s0, v0, s0
	s_delay_alu instid0(VALU_DEP_1) | instskip(SKIP_1) | instid1(VALU_DEP_1)
	s_cmp_lg_u32 s0, 0
	s_addc_u32 s1, s1, s21
	v_readfirstlane_b32 s0, v9
	s_mul_i32 s21, s5, s1
	s_delay_alu instid0(VALU_DEP_1)
	s_mul_hi_u32 s22, s5, s0
	s_mul_i32 s19, s19, s0
	s_add_i32 s21, s22, s21
	s_mul_i32 s5, s5, s0
	s_add_i32 s21, s21, s19
	s_mul_hi_u32 s19, s1, s5
	s_mul_i32 s23, s1, s5
	s_mul_i32 s24, s0, s21
	s_mul_hi_u32 s5, s0, s5
	s_mul_hi_u32 s0, s0, s21
	s_add_u32 s5, s5, s24
	s_addc_u32 s0, 0, s0
	s_mul_hi_u32 s22, s1, s21
	s_add_u32 s5, s5, s23
	s_addc_u32 s0, s0, s19
	s_mul_i32 s5, s1, s21
	s_addc_u32 s19, s22, 0
	s_add_u32 s0, s0, s5
	s_addc_u32 s5, 0, s19
	v_add_co_u32 v9, s0, v9, s0
	s_delay_alu instid0(VALU_DEP_1) | instskip(SKIP_2) | instid1(SALU_CYCLE_1)
	s_cmp_lg_u32 s0, 0
	s_addc_u32 s5, s1, s5
	s_ashr_i32 s0, s13, 31
	s_add_u32 s22, s4, s0
	s_addc_u32 s23, s13, s0
	v_readfirstlane_b32 s13, v9
	s_mov_b32 s1, s0
	s_delay_alu instid0(SALU_CYCLE_1) | instskip(NEXT) | instid1(SALU_CYCLE_1)
	s_xor_b64 s[22:23], s[22:23], s[0:1]
	s_mul_i32 s19, s22, s5
	s_delay_alu instid0(VALU_DEP_1)
	s_mul_hi_u32 s21, s22, s13
	s_mul_hi_u32 s24, s22, s5
	s_add_u32 s19, s21, s19
	s_mul_i32 s25, s23, s13
	s_addc_u32 s21, 0, s24
	s_mul_hi_u32 s13, s23, s13
	s_mul_hi_u32 s24, s23, s5
	s_add_u32 s19, s19, s25
	s_addc_u32 s13, s21, s13
	s_mul_i32 s5, s23, s5
	s_addc_u32 s19, s24, 0
	s_add_u32 s5, s13, s5
	s_addc_u32 s13, 0, s19
	s_mul_i32 s21, s20, s5
	s_add_u32 s19, s5, 1
	v_sub_co_u32 v9, s21, s22, s21
	s_addc_u32 s22, s13, 0
	s_mul_i32 s25, s20, s13
	s_mul_hi_u32 s27, s20, s5
	s_delay_alu instid0(VALU_DEP_1)
	v_sub_co_u32 v10, s26, v9, s20
	s_add_u32 s24, s5, 2
	s_addc_u32 s28, s13, 0
	s_add_i32 s27, s27, s25
	s_cmp_lg_u32 s21, 0
	v_readfirstlane_b32 s21, v10
	s_subb_u32 s23, s23, s27
	s_cmp_lg_u32 s26, 0
	s_subb_u32 s25, s23, 0
	s_delay_alu instid0(VALU_DEP_1) | instskip(SKIP_4) | instid1(SALU_CYCLE_1)
	s_cmp_ge_u32 s21, s20
	s_cselect_b32 s21, -1, 0
	s_cmp_eq_u32 s25, 0
	v_readfirstlane_b32 s25, v9
	s_cselect_b32 s21, s21, -1
	s_cmp_lg_u32 s21, 0
	s_cselect_b32 s19, s24, s19
	s_cselect_b32 s21, s28, s22
	s_cmp_ge_u32 s25, s20
	s_cselect_b32 s22, -1, 0
	s_cmp_eq_u32 s23, 0
	s_cselect_b32 s22, s22, -1
	s_delay_alu instid0(SALU_CYCLE_1) | instskip(SKIP_4) | instid1(SALU_CYCLE_1)
	s_cmp_lg_u32 s22, 0
	s_cselect_b32 s23, s21, s13
	s_cselect_b32 s22, s19, s5
	s_mov_b32 s5, 0
	s_xor_b64 s[22:23], s[22:23], s[0:1]
	s_sub_u32 s0, s22, s0
.LBB61_11:                              ;   in Loop: Header=BB61_9 Depth=1
	s_and_not1_b32 vcc_lo, exec_lo, s5
	s_cbranch_vccnz .LBB61_13
; %bb.12:                               ;   in Loop: Header=BB61_9 Depth=1
	v_readfirstlane_b32 s0, v6
	s_delay_alu instid0(VALU_DEP_1) | instskip(NEXT) | instid1(SALU_CYCLE_1)
	s_mul_i32 s1, s14, s0
	s_mul_hi_u32 s1, s0, s1
	s_delay_alu instid0(SALU_CYCLE_1) | instskip(NEXT) | instid1(SALU_CYCLE_1)
	s_add_i32 s0, s0, s1
	s_mul_hi_u32 s0, s4, s0
	s_delay_alu instid0(SALU_CYCLE_1) | instskip(NEXT) | instid1(SALU_CYCLE_1)
	s_mul_i32 s1, s0, s20
	s_sub_i32 s1, s4, s1
	s_add_i32 s4, s0, 1
	s_sub_i32 s5, s1, s20
	s_cmp_ge_u32 s1, s20
	s_cselect_b32 s0, s4, s0
	s_cselect_b32 s1, s5, s1
	s_add_i32 s4, s0, 1
	s_cmp_ge_u32 s1, s20
	s_cselect_b32 s0, s4, s0
.LBB61_13:                              ;   in Loop: Header=BB61_9 Depth=1
	s_delay_alu instid0(SALU_CYCLE_1)
	s_cmp_lg_u32 s16, s0
	s_cbranch_scc0 .LBB61_17
; %bb.14:                               ;   in Loop: Header=BB61_9 Depth=1
	s_add_i32 s1, s18, s20
	s_mov_b32 s5, s12
	s_lshl_b32 s1, s1, 4
	s_mov_b32 s19, s16
	s_add_i32 s4, s1, s15
	s_mul_hi_u32 s1, s0, s8
	s_lshl_b64 s[4:5], s[4:5], 3
	s_delay_alu instid0(SALU_CYCLE_1) | instskip(SKIP_2) | instid1(SALU_CYCLE_1)
	s_add_u32 s4, s2, s4
	s_addc_u32 s5, s3, s5
	s_add_i32 s1, s1, s0
	s_lshr_b32 s1, s1, s9
	s_delay_alu instid0(SALU_CYCLE_1) | instskip(NEXT) | instid1(SALU_CYCLE_1)
	s_mul_i32 s13, s1, s10
	s_cmp_eq_u32 s13, s0
	s_cselect_b32 s13, -1, 0
	s_cmp_lt_u32 s1, s11
	s_cselect_b32 s1, -1, 0
	s_delay_alu instid0(SALU_CYCLE_1)
	s_or_b32 s1, s1, s13
	s_mov_b32 s13, -1
	s_and_b32 vcc_lo, exec_lo, s1
	s_mov_b32 s1, s18
	s_cbranch_vccnz .LBB61_16
; %bb.15:                               ;   in Loop: Header=BB61_9 Depth=1
	s_add_i32 s1, s18, -1
	s_mov_b32 s13, 0
	s_mov_b32 s19, s0
.LBB61_16:                              ;   in Loop: Header=BB61_9 Depth=1
	v_mad_u64_u32 v[9:10], null, 0x500, s18, v[3:4]
	s_load_b64 s[4:5], s[4:5], 0x0
	s_delay_alu instid0(VALU_DEP_1) | instskip(NEXT) | instid1(VALU_DEP_1)
	v_ashrrev_i32_e32 v10, 31, v9
	v_lshlrev_b64 v[9:10], 2, v[9:10]
	s_delay_alu instid0(VALU_DEP_1) | instskip(NEXT) | instid1(VALU_DEP_2)
	v_add_co_u32 v9, vcc_lo, s6, v9
	v_add_co_ci_u32_e32 v10, vcc_lo, s17, v10, vcc_lo
	s_waitcnt lgkmcnt(0)
	v_max_f32_e64 v11, s4, s4
	global_load_b32 v10, v[9:10], off
	v_max_f32_e32 v9, v8, v8
	s_delay_alu instid0(VALU_DEP_1) | instskip(NEXT) | instid1(VALU_DEP_1)
	v_max_f32_e32 v9, v9, v11
	v_sub_f32_e32 v12, v8, v9
	s_delay_alu instid0(VALU_DEP_1) | instskip(NEXT) | instid1(VALU_DEP_1)
	v_dual_mul_f32 v14, 0x3fb8aa3b, v12 :: v_dual_sub_f32 v11, s4, v9
	v_rndne_f32_e32 v18, v14
	s_delay_alu instid0(VALU_DEP_2) | instskip(SKIP_2) | instid1(VALU_DEP_4)
	v_mul_f32_e32 v13, 0x3fb8aa3b, v11
	v_fma_f32 v17, 0x3fb8aa3b, v12, -v14
	v_cmp_ngt_f32_e32 vcc_lo, 0xc2ce8ed0, v11
	v_sub_f32_e32 v14, v14, v18
	s_delay_alu instid0(VALU_DEP_4) | instskip(SKIP_2) | instid1(VALU_DEP_3)
	v_fma_f32 v15, 0x3fb8aa3b, v11, -v13
	v_rndne_f32_e32 v16, v13
	v_fmac_f32_e32 v17, 0x32a5705f, v12
	v_fmac_f32_e32 v15, 0x32a5705f, v11
	s_delay_alu instid0(VALU_DEP_2) | instskip(NEXT) | instid1(VALU_DEP_1)
	v_dual_sub_f32 v13, v13, v16 :: v_dual_add_f32 v14, v14, v17
	v_add_f32_e32 v13, v13, v15
	s_delay_alu instid0(VALU_DEP_2) | instskip(SKIP_2) | instid1(VALU_DEP_3)
	v_exp_f32_e32 v14, v14
	v_cvt_i32_f32_e32 v15, v16
	v_cvt_i32_f32_e32 v16, v18
	v_exp_f32_e32 v13, v13
	s_waitcnt_depctr 0xfff
	v_ldexp_f32 v14, v14, v16
	v_ldexp_f32 v13, v13, v15
	s_delay_alu instid0(VALU_DEP_1) | instskip(SKIP_1) | instid1(VALU_DEP_4)
	v_cndmask_b32_e32 v13, 0, v13, vcc_lo
	v_cmp_ngt_f32_e32 vcc_lo, 0xc2ce8ed0, v12
	v_cndmask_b32_e32 v14, 0, v14, vcc_lo
	v_cmp_nlt_f32_e32 vcc_lo, 0x42b17218, v11
	s_delay_alu instid0(VALU_DEP_4) | instskip(SKIP_1) | instid1(VALU_DEP_4)
	v_cndmask_b32_e32 v13, 0x7f800000, v13, vcc_lo
	v_cmp_nlt_f32_e32 vcc_lo, 0x42b17218, v12
	v_cndmask_b32_e32 v14, 0x7f800000, v14, vcc_lo
	v_cmp_le_f32_e32 vcc_lo, 0xc1a00000, v11
	s_delay_alu instid0(VALU_DEP_4) | instskip(SKIP_1) | instid1(VALU_DEP_4)
	v_cndmask_b32_e32 v11, 0, v13, vcc_lo
	v_cmp_le_f32_e32 vcc_lo, 0xc1a00000, v12
	v_cndmask_b32_e32 v12, 0, v14, vcc_lo
	s_waitcnt vmcnt(0)
	s_delay_alu instid0(VALU_DEP_3) | instskip(NEXT) | instid1(VALU_DEP_1)
	v_mul_f32_e32 v10, v10, v11
	v_dual_mul_f32 v11, s5, v11 :: v_dual_fmac_f32 v10, v5, v12
	s_delay_alu instid0(VALU_DEP_1)
	v_fmac_f32_e32 v11, v7, v12
	s_cbranch_execz .LBB61_18
	s_branch .LBB61_19
.LBB61_17:                              ;   in Loop: Header=BB61_9 Depth=1
                                        ; implicit-def: $sgpr13
                                        ; implicit-def: $vgpr10
                                        ; implicit-def: $vgpr9
                                        ; implicit-def: $vgpr11
                                        ; implicit-def: $sgpr1
                                        ; implicit-def: $sgpr19
.LBB61_18:                              ;   in Loop: Header=BB61_9 Depth=1
	s_waitcnt vmcnt(0)
	v_dual_mov_b32 v11, v7 :: v_dual_mov_b32 v10, v5
	v_mov_b32_e32 v9, v8
	s_add_i32 s1, s18, -1
	s_mov_b32 s13, 0
	s_mov_b32 s19, s16
.LBB61_19:                              ;   in Loop: Header=BB61_9 Depth=1
	s_and_not1_b32 vcc_lo, exec_lo, s13
	s_cbranch_vccz .LBB61_23
; %bb.20:                               ;   in Loop: Header=BB61_9 Depth=1
	v_dual_mov_b32 v7, v11 :: v_dual_mov_b32 v8, v9
	s_waitcnt vmcnt(0)
	v_mov_b32_e32 v5, v10
	s_mov_b32 s16, s19
	s_mov_b32 s18, s1
	s_branch .LBB61_9
.LBB61_21:
                                        ; implicit-def: $sgpr16_sgpr17
	s_load_b128 s[8:11], s[0:1], 0x44
	s_branch .LBB61_2
.LBB61_22:
                                        ; implicit-def: $sgpr18_sgpr19
	s_branch .LBB61_5
.LBB61_23:
	v_div_scale_f32 v0, null, v11, v11, v10
	s_delay_alu instid0(VALU_DEP_1) | instskip(SKIP_2) | instid1(VALU_DEP_1)
	v_rcp_f32_e32 v3, v0
	s_waitcnt_depctr 0xfff
	v_fma_f32 v4, -v0, v3, 1.0
	v_fmac_f32_e32 v3, v4, v3
	v_div_scale_f32 v4, vcc_lo, v10, v11, v10
	s_waitcnt vmcnt(0)
	s_delay_alu instid0(VALU_DEP_1) | instskip(NEXT) | instid1(VALU_DEP_1)
	v_mul_f32_e32 v5, v4, v3
	v_fma_f32 v6, -v0, v5, v4
	s_delay_alu instid0(VALU_DEP_1) | instskip(NEXT) | instid1(VALU_DEP_1)
	v_fmac_f32_e32 v5, v6, v3
	v_fma_f32 v0, -v0, v5, v4
	s_delay_alu instid0(VALU_DEP_1) | instskip(NEXT) | instid1(VALU_DEP_1)
	v_div_fmas_f32 v0, v0, v3, v5
	v_div_fixup_f32 v0, v0, v11, v10
	global_store_b32 v[1:2], v0, off
.LBB61_24:
	s_nop 0
	s_sendmsg sendmsg(MSG_DEALLOC_VGPRS)
	s_endpgm
	.section	.rodata,"a",@progbits
	.p2align	6, 0x0
	.amdhsa_kernel _ZL33flash_attn_stream_k_fixup_generalILi80ELi16ELi1EEvPfPK15HIP_vector_typeIfLj2EEiiiiS1_IjLj3EES5_S5_S5_
		.amdhsa_group_segment_fixed_size 0
		.amdhsa_private_segment_fixed_size 0
		.amdhsa_kernarg_size 336
		.amdhsa_user_sgpr_count 13
		.amdhsa_user_sgpr_dispatch_ptr 0
		.amdhsa_user_sgpr_queue_ptr 0
		.amdhsa_user_sgpr_kernarg_segment_ptr 1
		.amdhsa_user_sgpr_dispatch_id 0
		.amdhsa_user_sgpr_private_segment_size 0
		.amdhsa_wavefront_size32 1
		.amdhsa_uses_dynamic_stack 0
		.amdhsa_enable_private_segment 0
		.amdhsa_system_sgpr_workgroup_id_x 1
		.amdhsa_system_sgpr_workgroup_id_y 1
		.amdhsa_system_sgpr_workgroup_id_z 1
		.amdhsa_system_sgpr_workgroup_info 0
		.amdhsa_system_vgpr_workitem_id 0
		.amdhsa_next_free_vgpr 19
		.amdhsa_next_free_sgpr 32
		.amdhsa_reserve_vcc 1
		.amdhsa_float_round_mode_32 0
		.amdhsa_float_round_mode_16_64 0
		.amdhsa_float_denorm_mode_32 3
		.amdhsa_float_denorm_mode_16_64 3
		.amdhsa_dx10_clamp 1
		.amdhsa_ieee_mode 1
		.amdhsa_fp16_overflow 0
		.amdhsa_workgroup_processor_mode 1
		.amdhsa_memory_ordered 1
		.amdhsa_forward_progress 0
		.amdhsa_shared_vgpr_count 0
		.amdhsa_exception_fp_ieee_invalid_op 0
		.amdhsa_exception_fp_denorm_src 0
		.amdhsa_exception_fp_ieee_div_zero 0
		.amdhsa_exception_fp_ieee_overflow 0
		.amdhsa_exception_fp_ieee_underflow 0
		.amdhsa_exception_fp_ieee_inexact 0
		.amdhsa_exception_int_div_zero 0
	.end_amdhsa_kernel
	.section	.text._ZL33flash_attn_stream_k_fixup_generalILi80ELi16ELi1EEvPfPK15HIP_vector_typeIfLj2EEiiiiS1_IjLj3EES5_S5_S5_,"axG",@progbits,_ZL33flash_attn_stream_k_fixup_generalILi80ELi16ELi1EEvPfPK15HIP_vector_typeIfLj2EEiiiiS1_IjLj3EES5_S5_S5_,comdat
.Lfunc_end61:
	.size	_ZL33flash_attn_stream_k_fixup_generalILi80ELi16ELi1EEvPfPK15HIP_vector_typeIfLj2EEiiiiS1_IjLj3EES5_S5_S5_, .Lfunc_end61-_ZL33flash_attn_stream_k_fixup_generalILi80ELi16ELi1EEvPfPK15HIP_vector_typeIfLj2EEiiiiS1_IjLj3EES5_S5_S5_
                                        ; -- End function
	.section	.AMDGPU.csdata,"",@progbits
; Kernel info:
; codeLenInByte = 3220
; NumSgprs: 34
; NumVgprs: 19
; ScratchSize: 0
; MemoryBound: 0
; FloatMode: 240
; IeeeMode: 1
; LDSByteSize: 0 bytes/workgroup (compile time only)
; SGPRBlocks: 4
; VGPRBlocks: 2
; NumSGPRsForWavesPerEU: 34
; NumVGPRsForWavesPerEU: 19
; Occupancy: 16
; WaveLimiterHint : 0
; COMPUTE_PGM_RSRC2:SCRATCH_EN: 0
; COMPUTE_PGM_RSRC2:USER_SGPR: 13
; COMPUTE_PGM_RSRC2:TRAP_HANDLER: 0
; COMPUTE_PGM_RSRC2:TGID_X_EN: 1
; COMPUTE_PGM_RSRC2:TGID_Y_EN: 1
; COMPUTE_PGM_RSRC2:TGID_Z_EN: 1
; COMPUTE_PGM_RSRC2:TIDIG_COMP_CNT: 0
	.section	.text._ZL15flash_attn_tileILi80ELi80ELi8ELi1ELb0EEvPKcS1_S1_S1_S1_PKiPfP15HIP_vector_typeIfLj2EEffffjfiS5_IjLj3EEiiiiiiiiiiiliiliiiiil,"axG",@progbits,_ZL15flash_attn_tileILi80ELi80ELi8ELi1ELb0EEvPKcS1_S1_S1_S1_PKiPfP15HIP_vector_typeIfLj2EEffffjfiS5_IjLj3EEiiiiiiiiiiiliiliiiiil,comdat
	.globl	_ZL15flash_attn_tileILi80ELi80ELi8ELi1ELb0EEvPKcS1_S1_S1_S1_PKiPfP15HIP_vector_typeIfLj2EEffffjfiS5_IjLj3EEiiiiiiiiiiiliiliiiiil ; -- Begin function _ZL15flash_attn_tileILi80ELi80ELi8ELi1ELb0EEvPKcS1_S1_S1_S1_PKiPfP15HIP_vector_typeIfLj2EEffffjfiS5_IjLj3EEiiiiiiiiiiiliiliiiiil
	.p2align	8
	.type	_ZL15flash_attn_tileILi80ELi80ELi8ELi1ELb0EEvPKcS1_S1_S1_S1_PKiPfP15HIP_vector_typeIfLj2EEffffjfiS5_IjLj3EEiiiiiiiiiiiliiliiiiil,@function
_ZL15flash_attn_tileILi80ELi80ELi8ELi1ELb0EEvPKcS1_S1_S1_S1_PKiPfP15HIP_vector_typeIfLj2EEffffjfiS5_IjLj3EEiiiiiiiiiiiliiliiiiil: ; @_ZL15flash_attn_tileILi80ELi80ELi8ELi1ELb0EEvPKcS1_S1_S1_S1_PKiPfP15HIP_vector_typeIfLj2EEffffjfiS5_IjLj3EEiiiiiiiiiiiliiliiiiil
; %bb.0:
	s_clause 0x1
	s_load_b128 s[36:39], s[2:3], 0x5c
	s_load_b64 s[42:43], s[2:3], 0x80
	s_mov_b64 s[40:41], 0
	s_waitcnt lgkmcnt(0)
	v_cvt_f32_u32_e32 v1, s39
	s_sub_i32 s5, 0, s39
	s_delay_alu instid0(VALU_DEP_1) | instskip(SKIP_2) | instid1(VALU_DEP_1)
	v_rcp_iflag_f32_e32 v1, v1
	s_waitcnt_depctr 0xfff
	v_mul_f32_e32 v1, 0x4f7ffffe, v1
	v_cvt_u32_f32_e32 v1, v1
	s_delay_alu instid0(VALU_DEP_1) | instskip(NEXT) | instid1(VALU_DEP_1)
	v_readfirstlane_b32 s4, v1
	s_mul_i32 s5, s5, s4
	s_delay_alu instid0(SALU_CYCLE_1) | instskip(NEXT) | instid1(SALU_CYCLE_1)
	s_mul_hi_u32 s5, s4, s5
	s_add_i32 s4, s4, s5
	s_delay_alu instid0(SALU_CYCLE_1) | instskip(NEXT) | instid1(SALU_CYCLE_1)
	s_mul_hi_u32 s4, s15, s4
	s_mul_i32 s5, s4, s39
	s_add_i32 s6, s4, 1
	s_sub_i32 s5, s15, s5
	s_delay_alu instid0(SALU_CYCLE_1)
	s_sub_i32 s7, s5, s39
	s_cmp_ge_u32 s5, s39
	s_cselect_b32 s4, s6, s4
	s_cselect_b32 s5, s7, s5
	s_add_i32 s6, s4, 1
	s_cmp_ge_u32 s5, s39
	s_cselect_b32 s33, s6, s4
	s_abs_i32 s4, s43
	s_abs_i32 s8, s39
	v_cvt_f32_u32_e32 v1, s4
	s_sub_i32 s6, 0, s4
	s_xor_b32 s7, s39, s43
	s_delay_alu instid0(SALU_CYCLE_1) | instskip(NEXT) | instid1(VALU_DEP_1)
	s_ashr_i32 s7, s7, 31
	v_rcp_iflag_f32_e32 v1, v1
	s_waitcnt_depctr 0xfff
	v_mul_f32_e32 v1, 0x4f7ffffe, v1
	s_delay_alu instid0(VALU_DEP_1) | instskip(NEXT) | instid1(VALU_DEP_1)
	v_cvt_u32_f32_e32 v1, v1
	v_readfirstlane_b32 s5, v1
	s_delay_alu instid0(VALU_DEP_1) | instskip(NEXT) | instid1(SALU_CYCLE_1)
	s_mul_i32 s6, s6, s5
	s_mul_hi_u32 s6, s5, s6
	s_delay_alu instid0(SALU_CYCLE_1) | instskip(SKIP_4) | instid1(SALU_CYCLE_1)
	s_add_i32 s5, s5, s6
	s_mul_i32 s6, s33, s39
	s_mul_hi_u32 s5, s8, s5
	s_sub_i32 s34, s15, s6
	s_mul_i32 s9, s5, s4
	s_sub_i32 s6, s8, s9
	s_add_i32 s8, s5, 1
	s_sub_i32 s9, s6, s4
	s_cmp_ge_u32 s6, s4
	s_cselect_b32 s5, s8, s5
	s_cselect_b32 s6, s9, s6
	s_add_i32 s8, s5, 1
	s_cmp_ge_u32 s6, s4
	s_cselect_b32 s4, s8, s5
	s_delay_alu instid0(SALU_CYCLE_1) | instskip(NEXT) | instid1(SALU_CYCLE_1)
	s_xor_b32 s4, s4, s7
	s_sub_i32 s15, s4, s7
	s_clause 0x1
	s_load_b512 s[16:31], s[2:3], 0x0
	s_load_b64 s[6:7], s[2:3], 0xb8
	s_abs_i32 s12, s15
	s_delay_alu instid0(SALU_CYCLE_1) | instskip(SKIP_1) | instid1(VALU_DEP_1)
	v_cvt_f32_u32_e32 v1, s12
	s_sub_i32 s5, 0, s12
	v_rcp_iflag_f32_e32 v1, v1
	s_waitcnt_depctr 0xfff
	v_mul_f32_e32 v1, 0x4f7ffffe, v1
	s_waitcnt lgkmcnt(0)
	s_cmp_eq_u64 s[22:23], 0
	s_delay_alu instid0(VALU_DEP_1) | instskip(NEXT) | instid1(VALU_DEP_1)
	v_cvt_u32_f32_e32 v1, v1
	v_readfirstlane_b32 s4, v1
	s_delay_alu instid0(VALU_DEP_1) | instskip(NEXT) | instid1(SALU_CYCLE_1)
	s_mul_i32 s5, s5, s4
	s_mul_hi_u32 s5, s4, s5
	s_cbranch_scc1 .LBB62_2
; %bb.1:
	s_abs_i32 s6, s6
	s_abs_i32 s10, s33
	v_cvt_f32_u32_e32 v1, s6
	s_sub_i32 s9, 0, s6
	s_delay_alu instid0(VALU_DEP_1) | instskip(SKIP_2) | instid1(VALU_DEP_1)
	v_rcp_iflag_f32_e32 v1, v1
	s_waitcnt_depctr 0xfff
	v_mul_f32_e32 v1, 0x4f7ffffe, v1
	v_cvt_u32_f32_e32 v1, v1
	s_delay_alu instid0(VALU_DEP_1) | instskip(NEXT) | instid1(VALU_DEP_1)
	v_readfirstlane_b32 s8, v1
	s_mul_i32 s9, s9, s8
	s_delay_alu instid0(SALU_CYCLE_1) | instskip(NEXT) | instid1(SALU_CYCLE_1)
	s_mul_hi_u32 s9, s8, s9
	s_add_i32 s11, s8, s9
	s_load_b64 s[8:9], s[2:3], 0xc8
	s_mul_hi_u32 s11, s10, s11
	s_delay_alu instid0(SALU_CYCLE_1) | instskip(NEXT) | instid1(SALU_CYCLE_1)
	s_mul_i32 s11, s11, s6
	s_sub_i32 s10, s10, s11
	s_ashr_i32 s11, s33, 31
	s_sub_i32 s35, s10, s6
	s_cmp_ge_u32 s10, s6
	s_cselect_b32 s10, s35, s10
	s_delay_alu instid0(SALU_CYCLE_1) | instskip(SKIP_2) | instid1(SALU_CYCLE_1)
	s_sub_i32 s35, s10, s6
	s_cmp_ge_u32 s10, s6
	s_cselect_b32 s6, s35, s10
	s_xor_b32 s6, s6, s11
	s_delay_alu instid0(SALU_CYCLE_1)
	s_sub_i32 s6, s6, s11
	s_waitcnt lgkmcnt(0)
	s_mul_i32 s9, s6, s9
	s_mul_hi_u32 s10, s6, s8
	s_ashr_i32 s11, s6, 31
	s_add_i32 s9, s10, s9
	s_mul_i32 s11, s11, s8
	s_mul_i32 s6, s6, s8
	s_add_i32 s9, s9, s11
	s_add_u32 s40, s22, s6
	s_addc_u32 s41, s23, s9
.LBB62_2:
	s_clause 0x1
	s_load_b128 s[8:11], s[2:3], 0x40
	s_load_b32 s6, s[2:3], 0x50
	v_mov_b32_e32 v59, 1.0
	s_abs_i32 s43, s34
	s_waitcnt lgkmcnt(0)
	v_cmp_le_f32_e64 s9, s9, 0
	s_delay_alu instid0(VALU_DEP_1)
	s_and_b32 vcc_lo, exec_lo, s9
	s_add_i32 s9, s4, s5
	s_cbranch_vccnz .LBB62_4
; %bb.3:
	s_sub_i32 s4, s34, s6
	s_add_i32 s5, s34, 1
	s_lshl_b32 s4, s4, 1
	v_mov_b32_e32 v1, s10
	s_or_b32 s4, s4, 1
	s_cmp_lt_u32 s34, s6
	s_cselect_b32 vcc_lo, -1, 0
	s_delay_alu instid0(VALU_DEP_1)
	v_cndmask_b32_e32 v3, s11, v1, vcc_lo
	s_and_b32 s6, vcc_lo, exec_lo
	s_cselect_b32 s4, s5, s4
	s_mov_b32 s5, 0x3e76c4e1
	v_cvt_f32_i32_e32 v1, s4
	v_cmp_neq_f32_e32 vcc_lo, 1.0, v3
	s_delay_alu instid0(VALU_DEP_2) | instskip(NEXT) | instid1(VALU_DEP_1)
	v_cndmask_b32_e32 v4, 1.0, v1, vcc_lo
	v_cmp_eq_f32_e32 vcc_lo, 0, v4
	v_cndmask_b32_e64 v5, |v3|, 1.0, vcc_lo
	s_delay_alu instid0(VALU_DEP_1) | instskip(NEXT) | instid1(VALU_DEP_1)
	v_frexp_mant_f32_e32 v1, v5
	v_cmp_gt_f32_e64 s4, 0x3f2aaaab, v1
	s_delay_alu instid0(VALU_DEP_1) | instskip(NEXT) | instid1(VALU_DEP_1)
	v_cndmask_b32_e64 v2, 1.0, 2.0, s4
	v_mul_f32_e32 v1, v1, v2
	s_delay_alu instid0(VALU_DEP_1) | instskip(SKIP_1) | instid1(VALU_DEP_2)
	v_add_f32_e32 v2, 1.0, v1
	v_add_f32_e32 v7, -1.0, v1
	v_rcp_f32_e32 v6, v2
	s_waitcnt_depctr 0xfff
	v_mul_f32_e32 v8, v7, v6
	s_delay_alu instid0(VALU_DEP_1) | instskip(NEXT) | instid1(VALU_DEP_1)
	v_dual_add_f32 v9, -1.0, v2 :: v_dual_mul_f32 v10, v2, v8
	v_sub_f32_e32 v1, v1, v9
	v_cndmask_b32_e64 v3, v3, 1.0, vcc_lo
	s_delay_alu instid0(VALU_DEP_3) | instskip(NEXT) | instid1(VALU_DEP_2)
	v_fma_f32 v2, v8, v2, -v10
	v_cmp_eq_f32_e64 s6, 0, v3
	s_delay_alu instid0(VALU_DEP_2) | instskip(NEXT) | instid1(VALU_DEP_1)
	v_fmac_f32_e32 v2, v8, v1
	v_add_f32_e32 v1, v10, v2
	s_delay_alu instid0(VALU_DEP_1) | instskip(NEXT) | instid1(VALU_DEP_1)
	v_dual_sub_f32 v10, v1, v10 :: v_dual_sub_f32 v9, v7, v1
	v_dual_sub_f32 v2, v10, v2 :: v_dual_sub_f32 v7, v7, v9
	s_delay_alu instid0(VALU_DEP_1) | instskip(NEXT) | instid1(VALU_DEP_1)
	v_sub_f32_e32 v1, v7, v1
	v_add_f32_e32 v1, v2, v1
	s_delay_alu instid0(VALU_DEP_1) | instskip(NEXT) | instid1(VALU_DEP_1)
	v_add_f32_e32 v1, v9, v1
	v_mul_f32_e32 v1, v6, v1
	s_delay_alu instid0(VALU_DEP_1) | instskip(NEXT) | instid1(VALU_DEP_1)
	v_add_f32_e32 v6, v8, v1
	v_sub_f32_e32 v2, v6, v8
	v_mul_f32_e32 v7, v6, v6
	s_delay_alu instid0(VALU_DEP_2) | instskip(NEXT) | instid1(VALU_DEP_2)
	v_sub_f32_e32 v8, v1, v2
	v_fma_f32 v9, v6, v6, -v7
	s_delay_alu instid0(VALU_DEP_2) | instskip(NEXT) | instid1(VALU_DEP_1)
	v_add_f32_e32 v1, v8, v8
	v_fmac_f32_e32 v9, v6, v1
	v_cvt_f64_f32_e32 v[1:2], v5
	s_delay_alu instid0(VALU_DEP_2) | instskip(NEXT) | instid1(VALU_DEP_1)
	v_add_f32_e32 v10, v7, v9
	v_fmaak_f32 v11, s5, v10, 0x3e91f4c4
	v_sub_f32_e32 v7, v10, v7
	v_mul_f32_e32 v14, v6, v10
	s_delay_alu instid0(VALU_DEP_3) | instskip(NEXT) | instid1(VALU_DEP_3)
	v_fmaak_f32 v11, v10, v11, 0x3ecccdef
	v_sub_f32_e32 v7, v9, v7
	s_delay_alu instid0(VALU_DEP_2) | instskip(NEXT) | instid1(VALU_DEP_1)
	v_mul_f32_e32 v12, v10, v11
	v_fma_f32 v9, v10, v11, -v12
	s_delay_alu instid0(VALU_DEP_1) | instskip(NEXT) | instid1(VALU_DEP_1)
	v_fmac_f32_e32 v9, v7, v11
	v_add_f32_e32 v11, v12, v9
	v_frexp_exp_i32_f64_e32 v1, v[1:2]
	s_delay_alu instid0(VALU_DEP_2) | instskip(NEXT) | instid1(VALU_DEP_1)
	v_sub_f32_e32 v12, v11, v12
	v_sub_f32_e32 v2, v9, v12
	v_fma_f32 v12, v10, v6, -v14
	s_delay_alu instid0(VALU_DEP_2) | instskip(NEXT) | instid1(VALU_DEP_2)
	v_add_f32_e32 v2, 0x31739010, v2
	v_dual_add_f32 v13, 0x3f2aaaaa, v11 :: v_dual_fmac_f32 v12, v10, v8
	v_ldexp_f32 v8, v8, 1
	s_delay_alu instid0(VALU_DEP_2) | instskip(NEXT) | instid1(VALU_DEP_1)
	v_dual_add_f32 v9, 0xbf2aaaaa, v13 :: v_dual_fmac_f32 v12, v7, v6
	v_sub_f32_e32 v9, v11, v9
	s_delay_alu instid0(VALU_DEP_1) | instskip(NEXT) | instid1(VALU_DEP_3)
	v_add_f32_e32 v2, v2, v9
	v_add_f32_e32 v9, v14, v12
	s_delay_alu instid0(VALU_DEP_2) | instskip(NEXT) | instid1(VALU_DEP_1)
	v_add_f32_e32 v7, v13, v2
	v_sub_f32_e32 v10, v13, v7
	s_delay_alu instid0(VALU_DEP_3) | instskip(SKIP_2) | instid1(VALU_DEP_4)
	v_mul_f32_e32 v11, v9, v7
	v_sub_f32_e32 v13, v9, v14
	v_subrev_co_ci_u32_e64 v1, s4, 0, v1, s4
	v_add_f32_e32 v2, v2, v10
	s_delay_alu instid0(VALU_DEP_4) | instskip(NEXT) | instid1(VALU_DEP_4)
	v_fma_f32 v10, v9, v7, -v11
	v_sub_f32_e32 v12, v12, v13
	s_delay_alu instid0(VALU_DEP_4) | instskip(NEXT) | instid1(VALU_DEP_3)
	v_cvt_f32_i32_e32 v1, v1
	v_fmac_f32_e32 v10, v9, v2
	v_ldexp_f32 v2, v6, 1
	s_delay_alu instid0(VALU_DEP_2) | instskip(NEXT) | instid1(VALU_DEP_1)
	v_fmac_f32_e32 v10, v12, v7
	v_add_f32_e32 v6, v11, v10
	s_delay_alu instid0(VALU_DEP_1) | instskip(NEXT) | instid1(VALU_DEP_1)
	v_add_f32_e32 v7, v2, v6
	v_dual_sub_f32 v2, v7, v2 :: v_dual_sub_f32 v9, v6, v11
	s_delay_alu instid0(VALU_DEP_1) | instskip(NEXT) | instid1(VALU_DEP_2)
	v_sub_f32_e32 v2, v6, v2
	v_sub_f32_e32 v9, v10, v9
	s_delay_alu instid0(VALU_DEP_1) | instskip(NEXT) | instid1(VALU_DEP_1)
	v_add_f32_e32 v6, v8, v9
	v_dual_mul_f32 v11, 0x3f317218, v1 :: v_dual_add_f32 v2, v6, v2
	s_delay_alu instid0(VALU_DEP_1) | instskip(NEXT) | instid1(VALU_DEP_2)
	v_fma_f32 v10, 0x3f317218, v1, -v11
	v_add_f32_e32 v8, v7, v2
	s_delay_alu instid0(VALU_DEP_1) | instskip(NEXT) | instid1(VALU_DEP_1)
	v_sub_f32_e32 v7, v8, v7
	v_dual_fmamk_f32 v1, v1, 0xb102e308, v10 :: v_dual_sub_f32 v2, v2, v7
	s_delay_alu instid0(VALU_DEP_1) | instskip(NEXT) | instid1(VALU_DEP_1)
	v_add_f32_e32 v6, v11, v1
	v_add_f32_e32 v9, v6, v8
	s_delay_alu instid0(VALU_DEP_1) | instskip(NEXT) | instid1(VALU_DEP_1)
	v_dual_sub_f32 v11, v6, v11 :: v_dual_sub_f32 v10, v9, v6
	v_sub_f32_e32 v12, v9, v10
	s_delay_alu instid0(VALU_DEP_2) | instskip(NEXT) | instid1(VALU_DEP_2)
	v_sub_f32_e32 v1, v1, v11
	v_dual_sub_f32 v7, v8, v10 :: v_dual_sub_f32 v6, v6, v12
	s_delay_alu instid0(VALU_DEP_2) | instskip(NEXT) | instid1(VALU_DEP_2)
	v_add_f32_e32 v8, v1, v2
	v_add_f32_e32 v6, v7, v6
	s_delay_alu instid0(VALU_DEP_1) | instskip(NEXT) | instid1(VALU_DEP_1)
	v_add_f32_e32 v6, v8, v6
	v_dual_sub_f32 v7, v8, v1 :: v_dual_add_f32 v10, v9, v6
	s_delay_alu instid0(VALU_DEP_1) | instskip(SKIP_1) | instid1(VALU_DEP_3)
	v_sub_f32_e32 v8, v8, v7
	v_sub_f32_e32 v2, v2, v7
	;; [unrolled: 1-line block ×3, first 2 shown]
	s_delay_alu instid0(VALU_DEP_3) | instskip(NEXT) | instid1(VALU_DEP_1)
	v_sub_f32_e32 v1, v1, v8
	v_add_f32_e32 v1, v2, v1
	s_delay_alu instid0(VALU_DEP_3) | instskip(NEXT) | instid1(VALU_DEP_1)
	v_sub_f32_e32 v2, v6, v7
	v_add_f32_e32 v1, v1, v2
	s_delay_alu instid0(VALU_DEP_1) | instskip(NEXT) | instid1(VALU_DEP_1)
	v_add_f32_e32 v2, v10, v1
	v_mul_f32_e32 v7, v4, v2
	v_sub_f32_e32 v6, v2, v10
	s_delay_alu instid0(VALU_DEP_2) | instskip(NEXT) | instid1(VALU_DEP_2)
	v_fma_f32 v2, v4, v2, -v7
	v_sub_f32_e32 v1, v1, v6
	v_cmp_class_f32_e64 s4, v7, 0x204
	s_delay_alu instid0(VALU_DEP_2) | instskip(NEXT) | instid1(VALU_DEP_1)
	v_fmac_f32_e32 v2, v4, v1
	v_add_f32_e32 v1, v7, v2
	s_delay_alu instid0(VALU_DEP_1) | instskip(NEXT) | instid1(VALU_DEP_1)
	v_cndmask_b32_e64 v6, v1, v7, s4
	v_cmp_eq_f32_e64 s4, 0x42b17218, v6
	s_delay_alu instid0(VALU_DEP_1) | instskip(SKIP_1) | instid1(VALU_DEP_2)
	v_cndmask_b32_e64 v8, 0, 0x37000000, s4
	v_cmp_neq_f32_e64 s4, 0x7f800000, |v6|
	v_sub_f32_e32 v9, v6, v8
	v_trunc_f32_e32 v6, v4
	s_delay_alu instid0(VALU_DEP_2) | instskip(NEXT) | instid1(VALU_DEP_1)
	v_mul_f32_e32 v10, 0x3fb8aa3b, v9
	v_fma_f32 v11, 0x3fb8aa3b, v9, -v10
	v_rndne_f32_e32 v12, v10
	s_delay_alu instid0(VALU_DEP_1) | instskip(NEXT) | instid1(VALU_DEP_1)
	v_dual_fmamk_f32 v11, v9, 0x32a5705f, v11 :: v_dual_sub_f32 v10, v10, v12
	v_add_f32_e32 v10, v10, v11
	v_sub_f32_e32 v1, v1, v7
	v_cvt_i32_f32_e32 v7, v12
	s_delay_alu instid0(VALU_DEP_3) | instskip(NEXT) | instid1(VALU_DEP_2)
	v_exp_f32_e32 v10, v10
	v_sub_f32_e32 v1, v2, v1
	s_delay_alu instid0(VALU_DEP_1)
	v_cndmask_b32_e64 v1, 0, v1, s4
	v_cmp_ngt_f32_e64 s4, 0xc2ce8ed0, v9
	s_waitcnt_depctr 0xfff
	v_ldexp_f32 v2, v10, v7
	v_mul_f32_e32 v7, 0.5, v4
	v_add_f32_e32 v1, v8, v1
	s_delay_alu instid0(VALU_DEP_3) | instskip(NEXT) | instid1(VALU_DEP_3)
	v_cndmask_b32_e64 v2, 0, v2, s4
	v_trunc_f32_e32 v10, v7
	v_cmp_nlt_f32_e64 s4, 0x42b17218, v9
	s_delay_alu instid0(VALU_DEP_2) | instskip(NEXT) | instid1(VALU_DEP_2)
	v_cmp_neq_f32_e64 s5, v10, v7
	v_cndmask_b32_e64 v2, 0x7f800000, v2, s4
	v_cmp_eq_f32_e64 s4, v6, v4
	s_delay_alu instid0(VALU_DEP_2) | instskip(NEXT) | instid1(VALU_DEP_2)
	v_fma_f32 v1, v2, v1, v2
	s_and_b32 vcc_lo, s4, s5
	v_cmp_class_f32_e64 s5, v2, 0x204
	v_cndmask_b32_e32 v6, 1.0, v3, vcc_lo
	s_delay_alu instid0(VALU_DEP_2) | instskip(SKIP_1) | instid1(VALU_DEP_2)
	v_cndmask_b32_e64 v1, v1, v2, s5
	v_cmp_gt_f32_e64 s5, 0, v4
	v_bfi_b32 v1, 0x7fffffff, v1, v6
	v_cndmask_b32_e32 v6, 0, v3, vcc_lo
	s_delay_alu instid0(VALU_DEP_3)
	s_xor_b32 s5, s5, s6
	v_cmp_eq_f32_e32 vcc_lo, 0x7f800000, v5
	v_cndmask_b32_e64 v2, 0x7f800000, 0, s5
	v_cndmask_b32_e64 v4, 0x7fc00000, v1, s4
	v_cmp_gt_f32_e64 s4, 0, v3
	s_or_b32 vcc_lo, vcc_lo, s6
	s_delay_alu instid0(VALU_DEP_3) | instskip(NEXT) | instid1(VALU_DEP_2)
	v_bfi_b32 v2, 0x7fffffff, v2, v6
	v_cndmask_b32_e64 v1, v1, v4, s4
	s_delay_alu instid0(VALU_DEP_1) | instskip(SKIP_1) | instid1(VALU_DEP_2)
	v_cndmask_b32_e32 v1, v1, v2, vcc_lo
	v_cmp_o_f32_e32 vcc_lo, v3, v3
	v_cndmask_b32_e32 v59, 0x7fc00000, v1, vcc_lo
.LBB62_4:
	v_and_b32_e32 v41, 0x3ff, v0
	v_bfe_u32 v57, v0, 10, 10
	s_lshl_b32 s5, s13, 3
	s_delay_alu instid0(VALU_DEP_2) | instskip(NEXT) | instid1(VALU_DEP_2)
	v_cmp_gt_u32_e64 s4, 20, v41
	v_add_nc_u32_e32 v42, s5, v57
	s_mul_hi_u32 s5, s43, s9
	s_delay_alu instid0(VALU_DEP_2)
	s_and_saveexec_b32 s6, s4
	s_cbranch_execz .LBB62_6
; %bb.5:
	s_load_b128 s[44:47], s[2:3], 0x70
	v_mul_hi_u32 v1, s36, v42
	v_mul_u32_u24_e32 v7, 40, v57
	v_lshlrev_b32_e32 v8, 1, v41
	s_delay_alu instid0(VALU_DEP_3) | instskip(NEXT) | instid1(VALU_DEP_1)
	v_add_nc_u32_e32 v1, v42, v1
	v_lshrrev_b32_e32 v1, s37, v1
	s_delay_alu instid0(VALU_DEP_1)
	v_mul_lo_u32 v1, v1, s38
	s_waitcnt lgkmcnt(0)
	s_mul_i32 s9, s33, s46
	s_mul_i32 s10, s34, s45
	s_ashr_i32 s11, s9, 31
	s_add_u32 s9, s16, s9
	s_addc_u32 s11, s17, s11
	s_ashr_i32 s16, s10, 31
	s_add_u32 s9, s9, s10
	s_addc_u32 s10, s11, s16
	s_ashr_i32 s11, s44, 31
	v_sub_nc_u32_e32 v5, v42, v1
	v_alignbit_b32 v3, s11, s44, 2
	s_lshr_b32 s11, s11, 2
	s_delay_alu instid0(VALU_DEP_1) | instskip(NEXT) | instid1(VALU_DEP_1)
	v_mad_u64_u32 v[1:2], null, v3, v5, 0
	v_mad_u64_u32 v[3:4], null, s11, v5, v[2:3]
	s_delay_alu instid0(VALU_DEP_1) | instskip(NEXT) | instid1(VALU_DEP_1)
	v_dual_mov_b32 v2, v3 :: v_dual_lshlrev_b32 v3, 4, v41
	v_lshlrev_b64 v[1:2], 2, v[1:2]
	s_delay_alu instid0(VALU_DEP_1) | instskip(NEXT) | instid1(VALU_DEP_2)
	v_add_co_u32 v1, vcc_lo, s9, v1
	v_add_co_ci_u32_e32 v2, vcc_lo, s10, v2, vcc_lo
	s_delay_alu instid0(VALU_DEP_2) | instskip(NEXT) | instid1(VALU_DEP_2)
	v_add_co_u32 v1, vcc_lo, v1, v3
	v_add_co_ci_u32_e32 v2, vcc_lo, 0, v2, vcc_lo
	global_load_b128 v[1:4], v[1:2], off
	s_waitcnt vmcnt(0)
	v_fma_mixlo_f16 v6, v3, s8, 0
	v_fma_mixlo_f16 v5, v1, s8, 0
	v_add_lshl_u32 v1, v7, v8, 2
	s_delay_alu instid0(VALU_DEP_3) | instskip(NEXT) | instid1(VALU_DEP_3)
	v_fma_mixhi_f16 v6, v4, s8, 0
	v_fma_mixhi_f16 v5, v2, s8, 0
	ds_store_b64 v1, v[5:6] offset:3264
.LBB62_6:
	s_or_b32 exec_lo, exec_lo, s6
	s_ashr_i32 s35, s34, 31
	s_ashr_i32 s6, s15, 31
	s_cmp_eq_u64 s[26:27], 0
	s_waitcnt lgkmcnt(0)
	s_barrier
	buffer_gl0_inv
	s_cbranch_scc1 .LBB62_8
; %bb.7:
	s_load_b32 s8, s[2:3], 0xd0
	s_mov_b32 s9, 0
	s_waitcnt lgkmcnt(0)
	s_mul_i32 s8, s8, s33
	s_delay_alu instid0(SALU_CYCLE_1) | instskip(NEXT) | instid1(SALU_CYCLE_1)
	s_add_i32 s8, s8, s13
	s_lshl_b64 s[8:9], s[8:9], 2
	s_delay_alu instid0(SALU_CYCLE_1)
	s_add_u32 s8, s26, s8
	s_addc_u32 s9, s27, s9
	s_load_b32 s42, s[8:9], 0x0
.LBB62_8:
	s_clause 0x2
	s_load_b64 s[16:17], s[2:3], 0x8c
	s_load_b128 s[8:11], s[2:3], 0x98
	s_load_b64 s[26:27], s[2:3], 0xa8
	s_ashr_i32 s22, s7, 1
	s_ashr_i32 s7, s33, 31
	s_mul_i32 s13, s5, s12
	v_dual_mov_b32 v56, 0 :: v_dual_lshlrev_b32 v53, 3, v41
	v_lshl_add_u32 v67, v57, 5, v41
	v_lshrrev_b32_e32 v66, 2, v41
	v_mul_u32_u24_e32 v64, 0x60, v41
	v_mul_u32_u24_e32 v63, 0xa0, v57
	v_lshlrev_b32_e32 v58, 2, v41
	v_lshl_add_u32 v54, v57, 6, 0x11c0
	v_lshrrev_b32_e32 v61, 1, v41
	v_lshrrev_b32_e32 v60, 3, v41
	v_mbcnt_lo_u32_b32 v52, -1, 0
	s_waitcnt lgkmcnt(0)
	s_ashr_i32 s23, s16, 2
	s_ashr_i32 s15, s10, 2
	s_mul_i32 s9, s33, s9
	s_mul_hi_u32 s10, s33, s8
	s_mul_i32 s16, s7, s8
	s_add_i32 s9, s10, s9
	s_mul_i32 s8, s33, s8
	s_add_i32 s9, s9, s16
	s_add_u32 s8, s18, s8
	s_addc_u32 s9, s19, s9
	s_sub_i32 s10, s43, s13
	s_xor_b32 s6, s35, s6
	s_add_i32 s13, s5, 1
	s_sub_i32 s16, s10, s12
	s_cmp_ge_u32 s10, s12
	s_mul_i32 s7, s7, s26
	s_cselect_b32 s5, s13, s5
	s_cselect_b32 s10, s16, s10
	s_add_i32 s13, s5, 1
	s_cmp_ge_u32 s10, s12
	s_mul_i32 s10, s33, s27
	s_cselect_b32 s5, s13, s5
	s_mul_hi_u32 s12, s33, s26
	s_xor_b32 s5, s5, s6
	s_mul_i32 s13, s33, s26
	s_sub_i32 s5, s5, s6
	s_delay_alu instid0(SALU_CYCLE_1)
	s_mul_i32 s6, s5, s17
	s_mul_i32 s5, s5, s11
	s_ashr_i32 s16, s6, 31
	s_add_u32 s18, s8, s6
	s_addc_u32 s19, s9, s16
	s_add_i32 s6, s12, s10
	s_delay_alu instid0(SALU_CYCLE_1)
	s_add_i32 s6, s6, s7
	s_add_u32 s7, s20, s13
	s_addc_u32 s6, s21, s6
	s_ashr_i32 s8, s5, 31
	s_add_u32 s11, s7, s5
	s_addc_u32 s16, s6, s8
	s_lshl_b32 s17, s14, 5
	s_sub_i32 s20, s42, 32
	s_delay_alu instid0(SALU_CYCLE_1)
	s_cmp_ge_i32 s17, s20
	s_cbranch_scc1 .LBB62_31
; %bb.9:
	v_mul_hi_u32 v2, s36, v42
	v_mov_b32_e32 v55, 0
	v_lshl_add_u32 v4, v57, 3, v66
	v_lshl_add_u32 v5, v57, 4, v61
	;; [unrolled: 1-line block ×3, first 2 shown]
	v_dual_mov_b32 v78, 0xfeffffff :: v_dual_and_b32 v9, 12, v58
	v_dual_mov_b32 v56, 0 :: v_dual_and_b32 v71, 28, v58
	v_add_nc_u32_e32 v2, v42, v2
	v_mul_lo_u32 v1, s23, v67
	v_mul_lo_u32 v3, s23, v4
	v_cmp_gt_u32_e64 s7, 16, v5
	v_mul_u32_u24_e32 v11, 0xa0, v5
	v_lshrrev_b32_e32 v2, s37, v2
	v_mul_lo_u32 v5, s15, v5
	v_mul_lo_u32 v7, s15, v8
	v_lshlrev_b32_e32 v6, 2, v9
	v_lshlrev_b32_e32 v12, 2, v71
	v_mul_lo_u32 v10, v2, s38
	v_dual_mov_b32 v77, 0 :: v_dual_and_b32 v70, 4, v58
	v_cmp_gt_u32_e64 s6, 32, v4
	v_cmp_gt_u32_e64 s8, 16, v8
	v_ashrrev_i32_e32 v2, 31, v1
	v_mad_u32_u24 v72, 0x60, v4, v6
	v_ashrrev_i32_e32 v4, 31, v3
	v_sub_nc_u32_e32 v10, v42, v10
	v_ashrrev_i32_e32 v6, 31, v5
	v_mad_u32_u24 v74, 0xa0, v8, v12
	v_ashrrev_i32_e32 v8, 31, v7
	v_lshl_or_b32 v11, v70, 2, v11
	v_mad_u64_u32 v[43:44], null, v10, s22, v[41:42]
	v_lshlrev_b64 v[44:45], 2, v[1:2]
	v_lshlrev_b64 v[46:47], 2, v[3:4]
	;; [unrolled: 1-line block ×4, first 2 shown]
	v_cmp_gt_u32_e64 s5, 32, v67
	v_mad_u32_u24 v68, 0x60, v67, 64
	s_cmp_lg_u64 s[40:41], 0
	v_lshl_add_u32 v69, v41, 1, v54
	v_add_nc_u32_e32 v73, 0x80, v11
	v_lshlrev_b32_e32 v75, 2, v9
	v_mbcnt_lo_u32_b32 v76, -1, 0
	s_cselect_b32 s21, -1, 0
	s_add_u32 s12, s2, 0xd0
	s_addc_u32 s13, s3, 0
.LBB62_10:                              ; =>This Inner Loop Header: Depth=1
	s_mul_hi_i32 s27, s17, s23
	s_mul_i32 s26, s17, s23
	s_delay_alu instid0(SALU_CYCLE_1) | instskip(NEXT) | instid1(SALU_CYCLE_1)
	s_lshl_b64 s[26:27], s[26:27], 2
	s_add_u32 s9, s18, s26
	s_addc_u32 s10, s19, s27
	s_and_saveexec_b32 s26, s5
	s_cbranch_execz .LBB62_12
; %bb.11:                               ;   in Loop: Header=BB62_10 Depth=1
	v_add_co_u32 v1, vcc_lo, s9, v44
	v_add_co_ci_u32_e32 v2, vcc_lo, s10, v45, vcc_lo
	global_load_b128 v[1:4], v[1:2], off offset:64
	s_waitcnt vmcnt(0)
	ds_store_b128 v68, v[1:4]
.LBB62_12:                              ;   in Loop: Header=BB62_10 Depth=1
	s_or_b32 exec_lo, exec_lo, s26
	s_and_saveexec_b32 s26, s6
	s_cbranch_execz .LBB62_14
; %bb.13:                               ;   in Loop: Header=BB62_10 Depth=1
	v_add_co_u32 v1, vcc_lo, s9, v46
	v_add_co_ci_u32_e32 v2, vcc_lo, s10, v47, vcc_lo
	s_delay_alu instid0(VALU_DEP_2) | instskip(NEXT) | instid1(VALU_DEP_2)
	v_add_co_u32 v1, vcc_lo, v1, v75
	v_add_co_ci_u32_e32 v2, vcc_lo, 0, v2, vcc_lo
	global_load_b128 v[1:4], v[1:2], off
	s_waitcnt vmcnt(0)
	ds_store_b128 v72, v[1:4]
.LBB62_14:                              ;   in Loop: Header=BB62_10 Depth=1
	s_or_b32 exec_lo, exec_lo, s26
	s_waitcnt lgkmcnt(0)
	s_barrier
	buffer_gl0_inv
	ds_load_b128 v[2:5], v64
	ds_load_b128 v[6:9], v63 offset:3264
	v_mov_b32_e32 v1, 0
	s_waitcnt lgkmcnt(0)
	;;#ASMSTART
	v_dot2_f32_f16 v1, v2, v6, v1
	;;#ASMEND
	;;#ASMSTART
	v_dot2_f32_f16 v1, v3, v7, v1
	;;#ASMEND
	;;#ASMSTART
	v_dot2_f32_f16 v1, v4, v8, v1
	;;#ASMEND
	;;#ASMSTART
	v_dot2_f32_f16 v1, v5, v9, v1
	;;#ASMEND
	ds_load_b128 v[2:5], v64 offset:16
	ds_load_b128 v[6:9], v63 offset:3280
	s_waitcnt lgkmcnt(0)
	;;#ASMSTART
	v_dot2_f32_f16 v1, v2, v6, v1
	;;#ASMEND
	;;#ASMSTART
	v_dot2_f32_f16 v1, v3, v7, v1
	;;#ASMEND
	;;#ASMSTART
	v_dot2_f32_f16 v1, v4, v8, v1
	;;#ASMEND
	;;#ASMSTART
	v_dot2_f32_f16 v1, v5, v9, v1
	;;#ASMEND
	ds_load_b128 v[2:5], v64 offset:32
	ds_load_b128 v[6:9], v63 offset:3296
	;; [unrolled: 15-line block ×4, first 2 shown]
	s_waitcnt lgkmcnt(0)
	;;#ASMSTART
	v_dot2_f32_f16 v1, v2, v6, v1
	;;#ASMEND
	;;#ASMSTART
	v_dot2_f32_f16 v1, v3, v7, v1
	;;#ASMEND
	;; [unrolled: 3-line block ×4, first 2 shown]
	s_barrier
	buffer_gl0_inv
	s_and_saveexec_b32 s26, s5
	s_cbranch_execz .LBB62_16
; %bb.15:                               ;   in Loop: Header=BB62_10 Depth=1
	v_add_co_u32 v2, vcc_lo, s9, v44
	v_add_co_ci_u32_e32 v3, vcc_lo, s10, v45, vcc_lo
	global_load_b128 v[2:5], v[2:3], off offset:144
	s_waitcnt vmcnt(0)
	ds_store_b128 v68, v[2:5]
.LBB62_16:                              ;   in Loop: Header=BB62_10 Depth=1
	s_or_b32 exec_lo, exec_lo, s26
	s_and_saveexec_b32 s26, s6
	s_cbranch_execz .LBB62_18
; %bb.17:                               ;   in Loop: Header=BB62_10 Depth=1
	v_add_co_u32 v2, vcc_lo, s9, v46
	v_add_co_ci_u32_e32 v3, vcc_lo, s10, v47, vcc_lo
	s_delay_alu instid0(VALU_DEP_2) | instskip(NEXT) | instid1(VALU_DEP_2)
	v_add_co_u32 v2, vcc_lo, v2, v75
	v_add_co_ci_u32_e32 v3, vcc_lo, 0, v3, vcc_lo
	global_load_b128 v[2:5], v[2:3], off offset:80
	s_waitcnt vmcnt(0)
	ds_store_b128 v72, v[2:5]
.LBB62_18:                              ;   in Loop: Header=BB62_10 Depth=1
	s_or_b32 exec_lo, exec_lo, s26
	s_waitcnt lgkmcnt(0)
	s_barrier
	buffer_gl0_inv
	ds_load_b128 v[2:5], v64
	ds_load_b128 v[6:9], v63 offset:3344
	s_and_not1_b32 vcc_lo, exec_lo, s21
	s_waitcnt lgkmcnt(0)
	;;#ASMSTART
	v_dot2_f32_f16 v1, v2, v6, v1
	;;#ASMEND
	;;#ASMSTART
	v_dot2_f32_f16 v1, v3, v7, v1
	;;#ASMEND
	;;#ASMSTART
	v_dot2_f32_f16 v1, v4, v8, v1
	;;#ASMEND
	;;#ASMSTART
	v_dot2_f32_f16 v1, v5, v9, v1
	;;#ASMEND
	ds_load_b128 v[2:5], v64 offset:16
	ds_load_b128 v[6:9], v63 offset:3360
	s_waitcnt lgkmcnt(0)
	;;#ASMSTART
	v_dot2_f32_f16 v1, v2, v6, v1
	;;#ASMEND
	;;#ASMSTART
	v_dot2_f32_f16 v1, v3, v7, v1
	;;#ASMEND
	;;#ASMSTART
	v_dot2_f32_f16 v1, v4, v8, v1
	;;#ASMEND
	;;#ASMSTART
	v_dot2_f32_f16 v1, v5, v9, v1
	;;#ASMEND
	ds_load_b128 v[2:5], v64 offset:32
	ds_load_b128 v[6:9], v63 offset:3376
	;; [unrolled: 15-line block ×4, first 2 shown]
	s_waitcnt lgkmcnt(0)
	;;#ASMSTART
	v_dot2_f32_f16 v1, v2, v6, v1
	;;#ASMEND
	;;#ASMSTART
	v_dot2_f32_f16 v1, v3, v7, v1
	;;#ASMEND
	;; [unrolled: 3-line block ×4, first 2 shown]
	s_cbranch_vccnz .LBB62_20
; %bb.19:                               ;   in Loop: Header=BB62_10 Depth=1
	v_add_nc_u32_e32 v2, s17, v43
	s_delay_alu instid0(VALU_DEP_1) | instskip(NEXT) | instid1(VALU_DEP_1)
	v_ashrrev_i32_e32 v3, 31, v2
	v_lshlrev_b64 v[2:3], 1, v[2:3]
	s_delay_alu instid0(VALU_DEP_1) | instskip(NEXT) | instid1(VALU_DEP_2)
	v_add_co_u32 v2, vcc_lo, s40, v2
	v_add_co_ci_u32_e32 v3, vcc_lo, s41, v3, vcc_lo
	flat_load_u16 v2, v[2:3]
	s_waitcnt vmcnt(0) lgkmcnt(0)
	v_cvt_f32_f16_e32 v2, v2
	s_delay_alu instid0(VALU_DEP_1)
	v_mul_f32_e32 v2, v59, v2
	s_branch .LBB62_21
.LBB62_20:                              ;   in Loop: Header=BB62_10 Depth=1
	v_mov_b32_e32 v2, 0
.LBB62_21:                              ;   in Loop: Header=BB62_10 Depth=1
	s_delay_alu instid0(VALU_DEP_1)
	v_add_f32_e32 v1, v1, v2
	v_xor_b32_e32 v2, 16, v76
	v_max_f32_e32 v3, v78, v78
	s_mul_hi_i32 s27, s17, s15
	s_mul_i32 s26, s17, s15
	v_add_f32_e32 v4, 0x40051340, v1
	v_cmp_gt_i32_e32 vcc_lo, 32, v2
	s_lshl_b64 s[26:27], s[26:27], 2
	s_delay_alu instid0(SALU_CYCLE_1) | instskip(NEXT) | instid1(VALU_DEP_2)
	s_add_u32 s9, s11, s26
	v_dual_max_f32 v3, v3, v4 :: v_dual_cndmask_b32 v2, v76, v2
	v_xor_b32_e32 v4, 8, v76
	s_addc_u32 s10, s16, s27
	s_barrier
	buffer_gl0_inv
	v_lshlrev_b32_e32 v2, 2, v2
	v_cmp_gt_i32_e32 vcc_lo, 32, v4
	v_lshlrev_b32_e32 v81, 2, v70
	ds_bpermute_b32 v2, v2, v3
	v_cndmask_b32_e32 v4, v76, v4, vcc_lo
	s_delay_alu instid0(VALU_DEP_1) | instskip(SKIP_2) | instid1(VALU_DEP_1)
	v_lshlrev_b32_e32 v4, 2, v4
	s_waitcnt lgkmcnt(0)
	v_max_f32_e32 v2, v2, v2
	v_max_f32_e32 v2, v3, v2
	ds_bpermute_b32 v3, v4, v2
	v_xor_b32_e32 v4, 4, v76
	s_delay_alu instid0(VALU_DEP_1) | instskip(SKIP_2) | instid1(VALU_DEP_1)
	v_cmp_gt_i32_e32 vcc_lo, 32, v4
	v_cndmask_b32_e32 v4, v76, v4, vcc_lo
	s_waitcnt lgkmcnt(0)
	v_dual_max_f32 v3, v3, v3 :: v_dual_lshlrev_b32 v4, 2, v4
	s_delay_alu instid0(VALU_DEP_1) | instskip(SKIP_2) | instid1(VALU_DEP_1)
	v_max_f32_e32 v2, v2, v3
	ds_bpermute_b32 v3, v4, v2
	v_xor_b32_e32 v4, 2, v76
	v_cmp_gt_i32_e32 vcc_lo, 32, v4
	v_cndmask_b32_e32 v4, v76, v4, vcc_lo
	s_waitcnt lgkmcnt(0)
	s_delay_alu instid0(VALU_DEP_1) | instskip(NEXT) | instid1(VALU_DEP_1)
	v_dual_max_f32 v3, v3, v3 :: v_dual_lshlrev_b32 v4, 2, v4
	v_max_f32_e32 v2, v2, v3
	ds_bpermute_b32 v3, v4, v2
	v_xor_b32_e32 v4, 1, v76
	s_delay_alu instid0(VALU_DEP_1) | instskip(SKIP_2) | instid1(VALU_DEP_1)
	v_cmp_gt_i32_e32 vcc_lo, 32, v4
	v_cndmask_b32_e32 v4, v76, v4, vcc_lo
	s_waitcnt lgkmcnt(0)
	v_dual_max_f32 v3, v3, v3 :: v_dual_lshlrev_b32 v4, 2, v4
	s_delay_alu instid0(VALU_DEP_1) | instskip(SKIP_3) | instid1(VALU_DEP_1)
	v_max_f32_e32 v2, v2, v3
	ds_bpermute_b32 v3, v4, v2
	s_waitcnt lgkmcnt(0)
	v_max_f32_e32 v3, v3, v3
	v_max_f32_e32 v65, v2, v3
	s_delay_alu instid0(VALU_DEP_1) | instskip(NEXT) | instid1(VALU_DEP_1)
	v_sub_f32_e32 v1, v1, v65
	v_mul_f32_e32 v2, 0x3fb8aa3b, v1
	v_cmp_ngt_f32_e32 vcc_lo, 0xc2ce8ed0, v1
	s_delay_alu instid0(VALU_DEP_2) | instskip(SKIP_1) | instid1(VALU_DEP_1)
	v_fma_f32 v3, 0x3fb8aa3b, v1, -v2
	v_rndne_f32_e32 v4, v2
	v_dual_fmac_f32 v3, 0x32a5705f, v1 :: v_dual_sub_f32 v2, v2, v4
	s_delay_alu instid0(VALU_DEP_1) | instskip(SKIP_1) | instid1(VALU_DEP_2)
	v_add_f32_e32 v2, v2, v3
	v_cvt_i32_f32_e32 v3, v4
	v_exp_f32_e32 v2, v2
	s_waitcnt_depctr 0xfff
	v_ldexp_f32 v2, v2, v3
	s_delay_alu instid0(VALU_DEP_1) | instskip(SKIP_1) | instid1(VALU_DEP_2)
	v_cndmask_b32_e32 v2, 0, v2, vcc_lo
	v_cmp_nlt_f32_e32 vcc_lo, 0x42b17218, v1
	v_cndmask_b32_e32 v62, 0x7f800000, v2, vcc_lo
	s_delay_alu instid0(VALU_DEP_1)
	v_cvt_f16_f32_e32 v1, v62
	ds_store_b16 v69, v1
	s_and_saveexec_b32 s26, s7
	s_cbranch_execz .LBB62_23
; %bb.22:                               ;   in Loop: Header=BB62_10 Depth=1
	v_add_co_u32 v1, vcc_lo, s9, v48
	v_add_co_ci_u32_e32 v2, vcc_lo, s10, v49, vcc_lo
	s_delay_alu instid0(VALU_DEP_2) | instskip(NEXT) | instid1(VALU_DEP_2)
	v_add_co_u32 v1, vcc_lo, v1, v81
	v_add_co_ci_u32_e32 v2, vcc_lo, 0, v2, vcc_lo
	global_load_b128 v[1:4], v[1:2], off offset:128
	s_waitcnt vmcnt(0)
	ds_store_b128 v73, v[1:4]
.LBB62_23:                              ;   in Loop: Header=BB62_10 Depth=1
	s_or_b32 exec_lo, exec_lo, s26
	v_lshlrev_b32_e32 v82, 2, v71
	s_and_saveexec_b32 s26, s8
	s_cbranch_execz .LBB62_25
; %bb.24:                               ;   in Loop: Header=BB62_10 Depth=1
	v_add_co_u32 v1, vcc_lo, s9, v50
	v_add_co_ci_u32_e32 v2, vcc_lo, s10, v51, vcc_lo
	s_delay_alu instid0(VALU_DEP_2) | instskip(NEXT) | instid1(VALU_DEP_2)
	v_add_co_u32 v1, vcc_lo, v1, v82
	v_add_co_ci_u32_e32 v2, vcc_lo, 0, v2, vcc_lo
	global_load_b128 v[1:4], v[1:2], off
	s_waitcnt vmcnt(0)
	ds_store_b128 v74, v[1:4]
.LBB62_25:                              ;   in Loop: Header=BB62_10 Depth=1
	s_or_b32 exec_lo, exec_lo, s26
	v_add_nc_u32_e32 v80, 0x400, v53
	v_add_nc_u32_e32 v79, 0x800, v53
	s_waitcnt lgkmcnt(0)
	s_barrier
	buffer_gl0_inv
	ds_load_2addr_b64 v[21:24], v53 offset1:20
	ds_load_b128 v[13:16], v54
	ds_load_b128 v[1:4], v54 offset:16
	ds_load_2addr_b64 v[29:32], v53 offset0:40 offset1:60
	ds_load_2addr_b64 v[25:28], v53 offset0:80 offset1:100
	;; [unrolled: 1-line block ×7, first 2 shown]
	v_sub_f32_e32 v78, v78, v65
	s_or_b32 s10, s17, 16
	s_waitcnt lgkmcnt(0)
	s_mul_hi_i32 s27, s10, s15
	s_mul_i32 s26, s10, s15
	v_cmp_ngt_f32_e32 vcc_lo, 0xc2ce8ed0, v78
	v_cmp_nlt_f32_e64 s9, 0x42b17218, v78
	s_lshl_b64 s[26:27], s[26:27], 2
	s_barrier
	s_add_u32 s26, s11, s26
	s_addc_u32 s27, s16, s27
	buffer_gl0_inv
	s_and_saveexec_b32 s43, s7
	s_cbranch_execz .LBB62_27
; %bb.26:                               ;   in Loop: Header=BB62_10 Depth=1
	v_add_co_u32 v83, s10, s26, v48
	s_delay_alu instid0(VALU_DEP_1) | instskip(NEXT) | instid1(VALU_DEP_2)
	v_add_co_ci_u32_e64 v84, s10, s27, v49, s10
	v_add_co_u32 v83, s10, v83, v81
	s_delay_alu instid0(VALU_DEP_1)
	v_add_co_ci_u32_e64 v84, s10, 0, v84, s10
	global_load_b128 v[83:86], v[83:84], off offset:128
	s_waitcnt vmcnt(0)
	ds_store_b128 v73, v[83:86]
.LBB62_27:                              ;   in Loop: Header=BB62_10 Depth=1
	s_or_b32 exec_lo, exec_lo, s43
	s_and_saveexec_b32 s43, s8
	s_cbranch_execz .LBB62_29
; %bb.28:                               ;   in Loop: Header=BB62_10 Depth=1
	v_add_co_u32 v81, s10, s26, v50
	s_delay_alu instid0(VALU_DEP_1) | instskip(NEXT) | instid1(VALU_DEP_2)
	v_add_co_ci_u32_e64 v83, s10, s27, v51, s10
	v_add_co_u32 v81, s10, v81, v82
	s_delay_alu instid0(VALU_DEP_1)
	v_add_co_ci_u32_e64 v82, s10, 0, v83, s10
	global_load_b128 v[81:84], v[81:82], off
	s_waitcnt vmcnt(0)
	ds_store_b128 v74, v[81:84]
.LBB62_29:                              ;   in Loop: Header=BB62_10 Depth=1
	s_or_b32 exec_lo, exec_lo, s43
	v_mul_f32_e32 v81, 0x3fb8aa3b, v78
	v_pk_mul_f16 v21, v21, v13 op_sel_hi:[1,0]
	v_pk_mul_f16 v22, v22, v13 op_sel_hi:[1,0]
	s_waitcnt lgkmcnt(0)
	s_barrier
	v_fma_f32 v82, 0x3fb8aa3b, v78, -v81
	v_rndne_f32_e32 v83, v81
	buffer_gl0_inv
	v_fmac_f32_e32 v82, 0x32a5705f, v78
	v_sub_f32_e32 v78, v81, v83
	v_cvt_i32_f32_e32 v81, v83
	s_delay_alu instid0(VALU_DEP_2) | instskip(NEXT) | instid1(VALU_DEP_1)
	v_add_f32_e32 v78, v78, v82
	v_exp_f32_e32 v78, v78
	s_waitcnt_depctr 0xfff
	v_ldexp_f32 v78, v78, v81
	s_delay_alu instid0(VALU_DEP_1) | instskip(NEXT) | instid1(VALU_DEP_1)
	v_cndmask_b32_e32 v78, 0, v78, vcc_lo
	v_cndmask_b32_e64 v78, 0x7f800000, v78, s9
	s_delay_alu instid0(VALU_DEP_1) | instskip(SKIP_1) | instid1(VALU_DEP_2)
	v_cvt_f16_f32_e32 v81, v78
	v_fmac_f32_e32 v62, v77, v78
	v_pk_fma_f16 v21, v55, v81, v21 op_sel_hi:[1,0,1]
	v_pk_fma_f16 v22, v56, v81, v22 op_sel_hi:[1,0,1]
	s_delay_alu instid0(VALU_DEP_2) | instskip(NEXT) | instid1(VALU_DEP_2)
	v_pk_fma_f16 v21, v23, v13, v21 op_sel:[0,1,0]
	v_pk_fma_f16 v13, v24, v13, v22 op_sel:[0,1,0]
	s_delay_alu instid0(VALU_DEP_2) | instskip(NEXT) | instid1(VALU_DEP_2)
	v_pk_fma_f16 v21, v29, v14, v21 op_sel_hi:[1,0,1]
	v_pk_fma_f16 v13, v30, v14, v13 op_sel_hi:[1,0,1]
	s_delay_alu instid0(VALU_DEP_2) | instskip(NEXT) | instid1(VALU_DEP_2)
	v_pk_fma_f16 v21, v31, v14, v21 op_sel:[0,1,0]
	v_pk_fma_f16 v13, v32, v14, v13 op_sel:[0,1,0]
	s_delay_alu instid0(VALU_DEP_2) | instskip(NEXT) | instid1(VALU_DEP_2)
	;; [unrolled: 6-line block ×5, first 2 shown]
	v_pk_fma_f16 v13, v17, v2, v14 op_sel_hi:[1,0,1]
	v_pk_fma_f16 v1, v18, v2, v1 op_sel_hi:[1,0,1]
	s_delay_alu instid0(VALU_DEP_2) | instskip(NEXT) | instid1(VALU_DEP_2)
	v_pk_fma_f16 v17, v19, v2, v13 op_sel:[0,1,0]
	v_pk_fma_f16 v1, v20, v2, v1 op_sel:[0,1,0]
	ds_load_2addr_b64 v[13:16], v53 offset1:20
	v_pk_fma_f16 v2, v9, v3, v17 op_sel_hi:[1,0,1]
	ds_load_b128 v[17:20], v54 offset:32
	v_pk_fma_f16 v1, v10, v3, v1 op_sel_hi:[1,0,1]
	v_pk_fma_f16 v2, v11, v3, v2 op_sel:[0,1,0]
	s_delay_alu instid0(VALU_DEP_2) | instskip(SKIP_3) | instid1(VALU_DEP_2)
	v_pk_fma_f16 v1, v12, v3, v1 op_sel:[0,1,0]
	ds_load_2addr_b64 v[9:12], v53 offset0:40 offset1:60
	v_pk_fma_f16 v2, v5, v4, v2 op_sel_hi:[1,0,1]
	v_pk_fma_f16 v1, v6, v4, v1 op_sel_hi:[1,0,1]
	v_pk_fma_f16 v21, v7, v4, v2 op_sel:[0,1,0]
	s_delay_alu instid0(VALU_DEP_2)
	v_pk_fma_f16 v22, v8, v4, v1 op_sel:[0,1,0]
	ds_load_b128 v[1:4], v54 offset:48
	ds_load_2addr_b64 v[5:8], v53 offset0:80 offset1:100
	s_waitcnt lgkmcnt(3)
	v_pk_fma_f16 v13, v13, v17, v21 op_sel_hi:[1,0,1]
	v_pk_fma_f16 v14, v14, v17, v22 op_sel_hi:[1,0,1]
	s_delay_alu instid0(VALU_DEP_2) | instskip(NEXT) | instid1(VALU_DEP_2)
	v_pk_fma_f16 v21, v15, v17, v13 op_sel:[0,1,0]
	v_pk_fma_f16 v17, v16, v17, v14 op_sel:[0,1,0]
	ds_load_2addr_b64 v[13:16], v53 offset0:120 offset1:140
	s_waitcnt lgkmcnt(3)
	v_pk_fma_f16 v9, v9, v18, v21 op_sel_hi:[1,0,1]
	v_pk_fma_f16 v10, v10, v18, v17 op_sel_hi:[1,0,1]
	s_delay_alu instid0(VALU_DEP_2) | instskip(NEXT) | instid1(VALU_DEP_2)
	v_pk_fma_f16 v17, v11, v18, v9 op_sel:[0,1,0]
	v_pk_fma_f16 v18, v12, v18, v10 op_sel:[0,1,0]
	;; [unrolled: 7-line block ×5, first 2 shown]
	ds_load_2addr_b64 v[9:12], v79 offset0:24 offset1:44
	s_waitcnt lgkmcnt(0)
	s_barrier
	v_pk_fma_f16 v5, v5, v2, v17 op_sel_hi:[1,0,1]
	v_pk_fma_f16 v1, v6, v2, v1 op_sel_hi:[1,0,1]
	buffer_gl0_inv
	s_load_b32 s9, s[12:13], 0x4
	v_pk_fma_f16 v5, v7, v2, v5 op_sel:[0,1,0]
	v_pk_fma_f16 v1, v8, v2, v1 op_sel:[0,1,0]
	s_delay_alu instid0(VALU_DEP_2) | instskip(NEXT) | instid1(VALU_DEP_2)
	v_pk_fma_f16 v2, v13, v3, v5 op_sel_hi:[1,0,1]
	v_pk_fma_f16 v1, v14, v3, v1 op_sel_hi:[1,0,1]
	s_delay_alu instid0(VALU_DEP_2) | instskip(NEXT) | instid1(VALU_DEP_2)
	v_pk_fma_f16 v2, v15, v3, v2 op_sel:[0,1,0]
	v_pk_fma_f16 v1, v16, v3, v1 op_sel:[0,1,0]
	s_delay_alu instid0(VALU_DEP_2) | instskip(NEXT) | instid1(VALU_DEP_2)
	v_pk_fma_f16 v2, v9, v4, v2 op_sel_hi:[1,0,1]
	v_pk_fma_f16 v1, v10, v4, v1 op_sel_hi:[1,0,1]
	s_waitcnt lgkmcnt(0)
	s_lshl_b32 s9, s9, 5
	s_delay_alu instid0(VALU_DEP_2) | instskip(NEXT) | instid1(VALU_DEP_2)
	v_pk_fma_f16 v55, v11, v4, v2 op_sel:[0,1,0]
	v_pk_fma_f16 v56, v12, v4, v1 op_sel:[0,1,0]
	s_add_i32 s17, s9, s17
	s_delay_alu instid0(SALU_CYCLE_1)
	s_cmp_lt_i32 s17, s20
	s_cbranch_scc0 .LBB62_32
; %bb.30:                               ;   in Loop: Header=BB62_10 Depth=1
	v_dual_mov_b32 v78, v65 :: v_dual_mov_b32 v77, v62
	s_branch .LBB62_10
.LBB62_31:
	v_dual_mov_b32 v65, 0xfeffffff :: v_dual_mov_b32 v62, 0
	v_mov_b32_e32 v55, 0
.LBB62_32:
	s_cmp_gt_i32 s42, s17
	s_cbranch_scc1 .LBB62_34
; %bb.33:
	v_mbcnt_lo_u32_b32 v1, -1, 0
	v_mov_b32_e32 v68, 32
	s_delay_alu instid0(VALU_DEP_2)
	v_xor_b32_e32 v40, 16, v1
	v_xor_b32_e32 v48, 8, v1
	;; [unrolled: 1-line block ×5, first 2 shown]
	v_mov_b32_e32 v43, v65
	s_cbranch_execz .LBB62_35
	s_branch .LBB62_57
.LBB62_34:
                                        ; implicit-def: $vgpr1
                                        ; implicit-def: $vgpr68
                                        ; implicit-def: $vgpr40
                                        ; implicit-def: $vgpr48
                                        ; implicit-def: $vgpr49
                                        ; implicit-def: $vgpr50
                                        ; implicit-def: $vgpr51
	s_delay_alu instid0(VALU_DEP_2)
	v_mov_b32_e32 v43, v65
.LBB62_35:
	v_mul_lo_u32 v1, s23, v67
	s_mul_hi_i32 s7, s17, s23
	s_mul_i32 s6, s17, s23
	s_sub_i32 s10, s42, s17
	s_lshl_b64 s[6:7], s[6:7], 2
	v_cmp_gt_u32_e64 s5, 32, v67
	v_mad_u32_u24 v8, 0x60, v67, 64
	v_cmp_gt_i32_e32 vcc_lo, s10, v67
	v_ashrrev_i32_e32 v2, 31, v1
	s_add_u32 s12, s18, s6
	s_addc_u32 s13, s19, s7
	s_mov_b64 s[8:9], src_private_base
	s_delay_alu instid0(VALU_DEP_1)
	v_lshlrev_b64 v[4:5], 2, v[1:2]
	s_and_saveexec_b32 s7, s5
	s_cbranch_execz .LBB62_37
; %bb.36:
	s_delay_alu instid0(VALU_DEP_1) | instskip(NEXT) | instid1(VALU_DEP_1)
	v_add_co_u32 v2, s6, s12, v4
	v_add_co_ci_u32_e64 v3, s6, s13, v5, s6
	s_delay_alu instid0(VALU_DEP_2) | instskip(SKIP_1) | instid1(VALU_DEP_3)
	v_add_co_u32 v6, s6, v2, 64
	v_mov_b32_e32 v1, 0
	v_add_co_ci_u32_e64 v7, s6, 0, v3, s6
	s_delay_alu instid0(VALU_DEP_3) | instskip(NEXT) | instid1(VALU_DEP_2)
	v_cndmask_b32_e32 v6, 0, v6, vcc_lo
	v_dual_mov_b32 v2, v1 :: v_dual_cndmask_b32 v7, s9, v7
	v_mov_b32_e32 v3, v1
	s_clause 0x1
	scratch_store_b32 off, v1, off
	scratch_store_b96 off, v[1:3], off offset:4
	flat_load_b128 v[9:12], v[6:7]
	s_waitcnt vmcnt(0) lgkmcnt(0)
	ds_store_b128 v8, v[9:12]
.LBB62_37:
	s_or_b32 exec_lo, exec_lo, s7
	v_lshl_add_u32 v11, v57, 3, v66
	v_and_b32_e32 v1, 12, v58
	s_delay_alu instid0(VALU_DEP_2) | instskip(NEXT) | instid1(VALU_DEP_2)
	v_mul_lo_u32 v2, s23, v11
	v_dual_mov_b32 v1, 0 :: v_dual_lshlrev_b32 v10, 2, v1
	v_cmp_gt_u32_e64 s7, 32, v11
	v_cmp_gt_i32_e64 s6, s10, v11
	s_delay_alu instid0(VALU_DEP_3) | instskip(SKIP_1) | instid1(VALU_DEP_1)
	v_mad_u32_u24 v9, 0x60, v11, v10
	v_ashrrev_i32_e32 v3, 31, v2
	v_lshlrev_b64 v[6:7], 2, v[2:3]
	s_and_saveexec_b32 s18, s7
	s_cbranch_execz .LBB62_39
; %bb.38:
	s_delay_alu instid0(VALU_DEP_1) | instskip(NEXT) | instid1(VALU_DEP_1)
	v_add_co_u32 v2, s8, s12, v6
	v_add_co_ci_u32_e64 v3, s8, s13, v7, s8
	s_delay_alu instid0(VALU_DEP_2) | instskip(NEXT) | instid1(VALU_DEP_1)
	v_add_co_u32 v11, s8, v2, v10
	v_add_co_ci_u32_e64 v12, s8, 0, v3, s8
	v_mov_b32_e32 v2, v1
	v_mov_b32_e32 v3, v1
	s_delay_alu instid0(VALU_DEP_4) | instskip(NEXT) | instid1(VALU_DEP_4)
	v_cndmask_b32_e64 v11, 0, v11, s6
	v_cndmask_b32_e64 v12, s9, v12, s6
	s_clause 0x1
	scratch_store_b32 off, v1, off
	scratch_store_b96 off, v[1:3], off offset:4
	flat_load_b128 v[11:14], v[11:12]
	s_waitcnt vmcnt(0) lgkmcnt(0)
	ds_store_b128 v9, v[11:14]
.LBB62_39:
	s_or_b32 exec_lo, exec_lo, s18
	s_waitcnt lgkmcnt(0)
	s_waitcnt_vscnt null, 0x0
	s_barrier
	buffer_gl0_inv
	ds_load_b128 v[11:14], v64
	ds_load_b128 v[15:18], v63 offset:3264
	s_waitcnt lgkmcnt(0)
	;;#ASMSTART
	v_dot2_f32_f16 v1, v11, v15, v1
	;;#ASMEND
	;;#ASMSTART
	v_dot2_f32_f16 v1, v12, v16, v1
	;;#ASMEND
	;;#ASMSTART
	v_dot2_f32_f16 v1, v13, v17, v1
	;;#ASMEND
	;;#ASMSTART
	v_dot2_f32_f16 v1, v14, v18, v1
	;;#ASMEND
	ds_load_b128 v[11:14], v64 offset:16
	ds_load_b128 v[15:18], v63 offset:3280
	s_waitcnt lgkmcnt(0)
	;;#ASMSTART
	v_dot2_f32_f16 v1, v11, v15, v1
	;;#ASMEND
	;;#ASMSTART
	v_dot2_f32_f16 v1, v12, v16, v1
	;;#ASMEND
	;;#ASMSTART
	v_dot2_f32_f16 v1, v13, v17, v1
	;;#ASMEND
	;;#ASMSTART
	v_dot2_f32_f16 v1, v14, v18, v1
	;;#ASMEND
	ds_load_b128 v[11:14], v64 offset:32
	;; [unrolled: 15-line block ×4, first 2 shown]
	ds_load_b128 v[15:18], v63 offset:3328
	s_waitcnt lgkmcnt(0)
	;;#ASMSTART
	v_dot2_f32_f16 v1, v11, v15, v1
	;;#ASMEND
	;;#ASMSTART
	v_dot2_f32_f16 v1, v12, v16, v1
	;;#ASMEND
	;; [unrolled: 3-line block ×4, first 2 shown]
	s_barrier
	buffer_gl0_inv
	s_and_saveexec_b32 s8, s5
	s_cbranch_execz .LBB62_41
; %bb.40:
	v_add_co_u32 v3, s5, s12, v4
	s_delay_alu instid0(VALU_DEP_1) | instskip(NEXT) | instid1(VALU_DEP_2)
	v_add_co_ci_u32_e64 v4, s5, s13, v5, s5
	v_add_co_u32 v5, s5, 0x90, v3
	v_mov_b32_e32 v2, 0
	s_delay_alu instid0(VALU_DEP_3) | instskip(NEXT) | instid1(VALU_DEP_1)
	v_add_co_ci_u32_e64 v11, s5, 0, v4, s5
	v_cndmask_b32_e32 v12, s9, v11, vcc_lo
	s_delay_alu instid0(VALU_DEP_4) | instskip(NEXT) | instid1(VALU_DEP_4)
	v_cndmask_b32_e32 v11, 0, v5, vcc_lo
	v_mov_b32_e32 v3, v2
	v_mov_b32_e32 v4, v2
	s_clause 0x1
	scratch_store_b32 off, v2, off
	scratch_store_b96 off, v[2:4], off offset:4
	flat_load_b128 v[2:5], v[11:12]
	s_waitcnt vmcnt(0) lgkmcnt(0)
	ds_store_b128 v8, v[2:5]
.LBB62_41:
	s_or_b32 exec_lo, exec_lo, s8
	s_and_saveexec_b32 s5, s7
	s_cbranch_execz .LBB62_43
; %bb.42:
	v_add_co_u32 v2, vcc_lo, s12, v6
	v_add_co_ci_u32_e32 v3, vcc_lo, s13, v7, vcc_lo
	s_delay_alu instid0(VALU_DEP_2) | instskip(NEXT) | instid1(VALU_DEP_2)
	v_add_co_u32 v4, vcc_lo, v2, v10
	v_add_co_ci_u32_e32 v3, vcc_lo, 0, v3, vcc_lo
	v_mov_b32_e32 v2, 0
	s_delay_alu instid0(VALU_DEP_3) | instskip(NEXT) | instid1(VALU_DEP_3)
	v_add_co_u32 v5, vcc_lo, 0x50, v4
	v_add_co_ci_u32_e32 v6, vcc_lo, 0, v3, vcc_lo
	s_delay_alu instid0(VALU_DEP_3) | instskip(SKIP_1) | instid1(VALU_DEP_4)
	v_mov_b32_e32 v3, v2
	v_mov_b32_e32 v4, v2
	v_cndmask_b32_e64 v5, 0, v5, s6
	s_delay_alu instid0(VALU_DEP_4)
	v_cndmask_b32_e64 v6, s9, v6, s6
	s_clause 0x1
	scratch_store_b32 off, v2, off
	scratch_store_b96 off, v[2:4], off offset:4
	flat_load_b128 v[2:5], v[5:6]
	s_waitcnt vmcnt(0) lgkmcnt(0)
	ds_store_b128 v9, v[2:5]
.LBB62_43:
	s_or_b32 exec_lo, exec_lo, s5
	s_waitcnt lgkmcnt(0)
	s_waitcnt_vscnt null, 0x0
	s_barrier
	buffer_gl0_inv
	ds_load_b128 v[2:5], v64
	ds_load_b128 v[6:9], v63 offset:3344
	s_mov_b32 s5, exec_lo
	s_waitcnt lgkmcnt(0)
	;;#ASMSTART
	v_dot2_f32_f16 v1, v2, v6, v1
	;;#ASMEND
	;;#ASMSTART
	v_dot2_f32_f16 v1, v3, v7, v1
	;;#ASMEND
	;;#ASMSTART
	v_dot2_f32_f16 v1, v4, v8, v1
	;;#ASMEND
	;;#ASMSTART
	v_dot2_f32_f16 v1, v5, v9, v1
	;;#ASMEND
	ds_load_b128 v[2:5], v64 offset:16
	ds_load_b128 v[6:9], v63 offset:3360
	s_waitcnt lgkmcnt(0)
	;;#ASMSTART
	v_dot2_f32_f16 v1, v2, v6, v1
	;;#ASMEND
	;;#ASMSTART
	v_dot2_f32_f16 v1, v3, v7, v1
	;;#ASMEND
	;;#ASMSTART
	v_dot2_f32_f16 v1, v4, v8, v1
	;;#ASMEND
	;;#ASMSTART
	v_dot2_f32_f16 v1, v5, v9, v1
	;;#ASMEND
	ds_load_b128 v[2:5], v64 offset:32
	ds_load_b128 v[6:9], v63 offset:3376
	;; [unrolled: 15-line block ×4, first 2 shown]
	v_mov_b32_e32 v2, v65
	s_waitcnt lgkmcnt(0)
	;;#ASMSTART
	v_dot2_f32_f16 v1, v3, v7, v1
	;;#ASMEND
	;;#ASMSTART
	v_dot2_f32_f16 v1, v4, v8, v1
	;;#ASMEND
	;; [unrolled: 3-line block ×4, first 2 shown]
	v_cmpx_gt_i32_e64 s10, v41
	s_cbranch_execz .LBB62_48
; %bb.44:
	s_cmp_eq_u64 s[40:41], 0
	s_cbranch_scc1 .LBB62_46
; %bb.45:
	v_mul_hi_u32 v2, s36, v42
	s_delay_alu instid0(VALU_DEP_1) | instskip(NEXT) | instid1(VALU_DEP_1)
	v_add_nc_u32_e32 v2, v42, v2
	v_lshrrev_b32_e32 v2, s37, v2
	s_delay_alu instid0(VALU_DEP_1) | instskip(NEXT) | instid1(VALU_DEP_1)
	v_mul_lo_u32 v2, v2, s38
	v_sub_nc_u32_e32 v2, v42, v2
	s_delay_alu instid0(VALU_DEP_1) | instskip(NEXT) | instid1(VALU_DEP_1)
	v_mul_lo_u32 v2, v2, s22
	v_add3_u32 v2, v2, v41, s17
	s_delay_alu instid0(VALU_DEP_1) | instskip(NEXT) | instid1(VALU_DEP_1)
	v_ashrrev_i32_e32 v3, 31, v2
	v_lshlrev_b64 v[2:3], 1, v[2:3]
	s_delay_alu instid0(VALU_DEP_1) | instskip(NEXT) | instid1(VALU_DEP_2)
	v_add_co_u32 v2, vcc_lo, s40, v2
	v_add_co_ci_u32_e32 v3, vcc_lo, s41, v3, vcc_lo
	flat_load_u16 v2, v[2:3]
	s_waitcnt vmcnt(0) lgkmcnt(0)
	v_cvt_f32_f16_e32 v2, v2
	s_delay_alu instid0(VALU_DEP_1)
	v_mul_f32_e32 v2, v59, v2
	s_branch .LBB62_47
.LBB62_46:
	v_mov_b32_e32 v2, 0
.LBB62_47:
	s_delay_alu instid0(VALU_DEP_1) | instskip(SKIP_1) | instid1(VALU_DEP_2)
	v_add_f32_e32 v1, v1, v2
	v_max_f32_e32 v3, v65, v65
	v_add_f32_e32 v2, 0x40051340, v1
	s_delay_alu instid0(VALU_DEP_1)
	v_max_f32_e32 v2, v3, v2
.LBB62_48:
	s_or_b32 exec_lo, exec_lo, s5
	v_xor_b32_e32 v40, 16, v52
	v_xor_b32_e32 v48, 8, v52
	;; [unrolled: 1-line block ×5, first 2 shown]
	v_cmp_gt_i32_e32 vcc_lo, 32, v40
	s_load_b64 s[0:1], s[0:1], 0x4
	v_lshl_add_u32 v61, v57, 4, v61
	v_bfe_u32 v0, v0, 20, 10
	s_mul_hi_i32 s7, s17, s15
	v_cndmask_b32_e32 v3, v52, v40, vcc_lo
	v_cmp_gt_i32_e32 vcc_lo, 32, v48
	v_mul_u32_u24_e32 v7, 0xa0, v61
	s_mul_i32 s6, s17, s15
	s_waitcnt lgkmcnt(0)
	v_dual_cndmask_b32 v4, v52, v48 :: v_dual_lshlrev_b32 v3, 2, v3
	v_cmp_gt_i32_e32 vcc_lo, 32, v49
	s_lshl_b64 s[8:9], s[6:7], 2
	s_mov_b64 s[6:7], src_shared_base
	ds_bpermute_b32 v3, v3, v2
	v_max_f32_e32 v2, v2, v2
	s_waitcnt lgkmcnt(0)
	s_barrier
	buffer_gl0_inv
	v_lshlrev_b32_e32 v4, 2, v4
	v_and_b32_e32 v5, 4, v58
	s_lshr_b32 s0, s0, 16
	v_mul_u32_u24_e32 v8, s1, v57
	s_mul_i32 s0, s0, s1
	s_add_u32 s1, s11, s8
	s_addc_u32 s5, s16, s9
	v_lshlrev_b32_e32 v66, 2, v5
	v_dual_mov_b32 v68, 32 :: v_dual_max_f32 v3, v3, v3
	s_delay_alu instid0(VALU_DEP_1) | instskip(SKIP_4) | instid1(VALU_DEP_2)
	v_max_f32_e32 v2, v2, v3
	ds_bpermute_b32 v3, v4, v2
	v_cndmask_b32_e32 v4, v52, v49, vcc_lo
	v_cmp_gt_i32_e32 vcc_lo, 32, v50
	s_waitcnt lgkmcnt(0)
	v_dual_max_f32 v3, v3, v3 :: v_dual_lshlrev_b32 v4, 2, v4
	s_delay_alu instid0(VALU_DEP_1) | instskip(SKIP_4) | instid1(VALU_DEP_2)
	v_max_f32_e32 v2, v2, v3
	ds_bpermute_b32 v3, v4, v2
	v_cndmask_b32_e32 v4, v52, v50, vcc_lo
	v_cmp_gt_i32_e32 vcc_lo, 32, v51
	s_waitcnt lgkmcnt(0)
	v_dual_max_f32 v3, v3, v3 :: v_dual_lshlrev_b32 v4, 2, v4
	s_delay_alu instid0(VALU_DEP_1) | instskip(SKIP_4) | instid1(VALU_DEP_1)
	v_max_f32_e32 v2, v2, v3
	ds_bpermute_b32 v3, v4, v2
	v_cndmask_b32_e32 v4, v52, v51, vcc_lo
	s_waitcnt lgkmcnt(0)
	v_max_f32_e32 v3, v3, v3
	v_max_f32_e32 v2, v2, v3
	s_delay_alu instid0(VALU_DEP_3) | instskip(SKIP_3) | instid1(VALU_DEP_1)
	v_lshlrev_b32_e32 v4, 2, v4
	ds_bpermute_b32 v3, v4, v2
	s_waitcnt lgkmcnt(0)
	v_max_f32_e32 v3, v3, v3
	v_max_f32_e32 v43, v2, v3
	s_delay_alu instid0(VALU_DEP_1) | instskip(NEXT) | instid1(VALU_DEP_1)
	v_sub_f32_e32 v2, v1, v43
	v_mul_f32_e32 v1, 0x3fb8aa3b, v2
	v_cmp_ngt_f32_e32 vcc_lo, 0xc2ce8ed0, v2
	s_delay_alu instid0(VALU_DEP_2) | instskip(SKIP_1) | instid1(VALU_DEP_2)
	v_fma_f32 v3, 0x3fb8aa3b, v2, -v1
	v_rndne_f32_e32 v4, v1
	v_fmamk_f32 v3, v2, 0x32a5705f, v3
	s_delay_alu instid0(VALU_DEP_2) | instskip(SKIP_1) | instid1(VALU_DEP_2)
	v_sub_f32_e32 v1, v1, v4
	v_cvt_i32_f32_e32 v4, v4
	v_add_f32_e32 v1, v1, v3
	v_lshl_add_u32 v3, v41, 1, v54
	s_delay_alu instid0(VALU_DEP_2) | instskip(SKIP_3) | instid1(VALU_DEP_2)
	v_exp_f32_e32 v1, v1
	s_waitcnt_depctr 0xfff
	v_ldexp_f32 v1, v1, v4
	v_mul_lo_u32 v4, s0, v41
	v_cndmask_b32_e32 v6, 0, v1, vcc_lo
	v_cmp_nlt_f32_e32 vcc_lo, 0x42b17218, v2
	v_mul_lo_u32 v1, s15, v61
	s_delay_alu instid0(VALU_DEP_4) | instskip(NEXT) | instid1(VALU_DEP_4)
	v_add3_u32 v0, v4, v8, v0
	v_cndmask_b32_e32 v2, 0x7f800000, v6, vcc_lo
	v_cmp_gt_u32_e32 vcc_lo, s10, v41
	v_lshl_or_b32 v6, v5, 2, v7
	s_delay_alu instid0(VALU_DEP_4) | instskip(NEXT) | instid1(VALU_DEP_4)
	v_lshl_add_u32 v64, v0, 4, 0x13c0
	v_cndmask_b32_e32 v59, 0, v2, vcc_lo
	v_ashrrev_i32_e32 v2, 31, v1
	v_cmp_gt_u32_e32 vcc_lo, 16, v61
	v_add_nc_u32_e32 v63, 0x80, v6
	s_delay_alu instid0(VALU_DEP_4) | instskip(NEXT) | instid1(VALU_DEP_4)
	v_cvt_f16_f32_e32 v4, v59
	v_lshlrev_b64 v[44:45], 2, v[1:2]
	ds_store_b16 v3, v4
	s_and_saveexec_b32 s6, vcc_lo
	s_cbranch_execz .LBB62_50
; %bb.49:
	v_add_co_u32 v1, s0, s1, v44
	s_delay_alu instid0(VALU_DEP_1) | instskip(SKIP_1) | instid1(VALU_DEP_3)
	v_add_co_ci_u32_e64 v2, s0, s5, v45, s0
	v_mov_b32_e32 v3, 0
	v_add_co_u32 v1, s0, v1, v66
	s_delay_alu instid0(VALU_DEP_1) | instskip(SKIP_3) | instid1(VALU_DEP_1)
	v_add_co_ci_u32_e64 v2, s0, 0, v2, s0
	ds_store_2addr_b32 v64, v3, v3 offset0:1 offset1:2
	ds_store_2addr_b32 v64, v3, v3 offset1:3
	v_add_co_u32 v1, s0, 0x80, v1
	v_add_co_ci_u32_e64 v2, s0, 0, v2, s0
	v_cmp_gt_i32_e64 s0, s10, v61
	s_delay_alu instid0(VALU_DEP_1) | instskip(NEXT) | instid1(VALU_DEP_4)
	v_cndmask_b32_e64 v2, s7, v2, s0
	v_cndmask_b32_e64 v1, v64, v1, s0
	flat_load_b128 v[1:4], v[1:2]
	s_waitcnt vmcnt(0) lgkmcnt(0)
	ds_store_b128 v63, v[1:4]
.LBB62_50:
	s_or_b32 exec_lo, exec_lo, s6
	v_lshl_add_u32 v57, v57, 2, v60
	v_and_b32_e32 v3, 28, v58
	v_lshl_add_u32 v58, v0, 4, 0x23c0
	s_delay_alu instid0(VALU_DEP_3) | instskip(NEXT) | instid1(VALU_DEP_3)
	v_mul_lo_u32 v1, s15, v57
	v_lshlrev_b32_e32 v67, 2, v3
	v_cmp_gt_u32_e64 s0, 16, v57
	s_delay_alu instid0(VALU_DEP_2) | instskip(NEXT) | instid1(VALU_DEP_4)
	v_mad_u32_u24 v60, 0xa0, v57, v67
	v_ashrrev_i32_e32 v2, 31, v1
	s_delay_alu instid0(VALU_DEP_1) | instskip(NEXT) | instid1(VALU_DEP_4)
	v_lshlrev_b64 v[46:47], 2, v[1:2]
	s_and_saveexec_b32 s6, s0
	s_cbranch_execz .LBB62_52
; %bb.51:
	s_delay_alu instid0(VALU_DEP_1) | instskip(NEXT) | instid1(VALU_DEP_1)
	v_add_co_u32 v0, s1, s1, v46
	v_add_co_ci_u32_e64 v1, s1, s5, v47, s1
	v_mov_b32_e32 v2, 0
	s_delay_alu instid0(VALU_DEP_3) | instskip(NEXT) | instid1(VALU_DEP_1)
	v_add_co_u32 v0, s1, v0, v67
	v_add_co_ci_u32_e64 v1, s1, 0, v1, s1
	v_cmp_gt_i32_e64 s1, s10, v57
	ds_store_2addr_b32 v58, v2, v2 offset0:1 offset1:2
	ds_store_2addr_b32 v58, v2, v2 offset1:3
	v_cndmask_b32_e64 v1, s7, v1, s1
	v_cndmask_b32_e64 v0, v58, v0, s1
	flat_load_b128 v[0:3], v[0:1]
	s_waitcnt vmcnt(0) lgkmcnt(0)
	ds_store_b128 v60, v[0:3]
.LBB62_52:
	s_or_b32 exec_lo, exec_lo, s6
	v_dual_sub_f32 v65, v65, v43 :: v_dual_add_nc_u32 v6, 0x400, v53
	s_waitcnt lgkmcnt(0)
	s_barrier
	buffer_gl0_inv
	v_mul_f32_e32 v4, 0x3fb8aa3b, v65
	ds_load_2addr_b64 v[20:23], v53 offset1:20
	ds_load_b128 v[12:15], v54
	ds_load_b128 v[0:3], v54 offset:16
	ds_load_2addr_b64 v[32:35], v53 offset0:40 offset1:60
	ds_load_2addr_b64 v[28:31], v53 offset0:80 offset1:100
	;; [unrolled: 1-line block ×6, first 2 shown]
	s_or_b32 s1, s17, 16
	v_fma_f32 v5, 0x3fb8aa3b, v65, -v4
	v_rndne_f32_e32 v69, v4
	s_mul_hi_i32 s9, s1, s15
	s_mul_i32 s8, s1, s15
	s_delay_alu instid0(SALU_CYCLE_1) | instskip(NEXT) | instid1(VALU_DEP_1)
	s_lshl_b64 s[8:9], s[8:9], 2
	v_dual_sub_f32 v4, v4, v69 :: v_dual_fmamk_f32 v5, v65, 0x32a5705f, v5
	v_cvt_i32_f32_e32 v69, v69
	v_cmp_ngt_f32_e64 s5, 0xc2ce8ed0, v65
	v_cmp_nlt_f32_e64 s1, 0x42b17218, v65
	s_delay_alu instid0(VALU_DEP_4) | instskip(SKIP_1) | instid1(VALU_DEP_2)
	v_add_f32_e32 v4, v4, v5
	v_add_nc_u32_e32 v5, 0x800, v53
	v_exp_f32_e32 v70, v4
	ds_load_2addr_b64 v[4:7], v5 offset0:24 offset1:44
	s_waitcnt lgkmcnt(0)
	s_barrier
	buffer_gl0_inv
	v_ldexp_f32 v69, v70, v69
	s_delay_alu instid0(VALU_DEP_1)
	v_cndmask_b32_e64 v65, 0, v69, s5
	s_add_u32 s5, s11, s8
	s_addc_u32 s6, s16, s9
	s_add_i32 s10, s10, -16
	s_and_saveexec_b32 s8, vcc_lo
	s_cbranch_execz .LBB62_54
; %bb.53:
	v_add_co_u32 v44, vcc_lo, s5, v44
	v_add_co_ci_u32_e32 v45, vcc_lo, s6, v45, vcc_lo
	s_delay_alu instid0(VALU_DEP_2) | instskip(NEXT) | instid1(VALU_DEP_2)
	v_add_co_u32 v44, vcc_lo, v44, v66
	v_add_co_ci_u32_e32 v45, vcc_lo, 0, v45, vcc_lo
	s_delay_alu instid0(VALU_DEP_2) | instskip(NEXT) | instid1(VALU_DEP_2)
	v_add_co_u32 v44, vcc_lo, 0x80, v44
	v_add_co_ci_u32_e32 v45, vcc_lo, 0, v45, vcc_lo
	v_cmp_gt_i32_e32 vcc_lo, s10, v61
	s_delay_alu instid0(VALU_DEP_3) | instskip(NEXT) | instid1(VALU_DEP_3)
	v_dual_mov_b32 v61, 0 :: v_dual_cndmask_b32 v44, v64, v44
	v_cndmask_b32_e32 v45, s7, v45, vcc_lo
	ds_store_2addr_b32 v64, v61, v61 offset0:1 offset1:2
	ds_store_2addr_b32 v64, v61, v61 offset1:3
	flat_load_b128 v[69:72], v[44:45]
	s_waitcnt vmcnt(0) lgkmcnt(0)
	ds_store_b128 v63, v[69:72]
.LBB62_54:
	s_or_b32 exec_lo, exec_lo, s8
	v_cndmask_b32_e64 v44, 0x7f800000, v65, s1
	s_and_saveexec_b32 s1, s0
	s_cbranch_execz .LBB62_56
; %bb.55:
	v_add_co_u32 v45, vcc_lo, s5, v46
	v_add_co_ci_u32_e32 v46, vcc_lo, s6, v47, vcc_lo
	s_delay_alu instid0(VALU_DEP_2) | instskip(NEXT) | instid1(VALU_DEP_2)
	v_add_co_u32 v45, vcc_lo, v45, v67
	v_add_co_ci_u32_e32 v46, vcc_lo, 0, v46, vcc_lo
	v_cmp_gt_i32_e32 vcc_lo, s10, v57
	s_delay_alu instid0(VALU_DEP_2) | instskip(NEXT) | instid1(VALU_DEP_4)
	v_dual_mov_b32 v47, 0 :: v_dual_cndmask_b32 v46, s7, v46
	v_cndmask_b32_e32 v45, v58, v45, vcc_lo
	ds_store_2addr_b32 v58, v47, v47 offset0:1 offset1:2
	ds_store_2addr_b32 v58, v47, v47 offset1:3
	flat_load_b128 v[63:66], v[45:46]
	s_waitcnt vmcnt(0) lgkmcnt(0)
	ds_store_b128 v60, v[63:66]
.LBB62_56:
	s_or_b32 exec_lo, exec_lo, s1
	s_delay_alu instid0(VALU_DEP_1)
	v_cvt_f16_f32_e32 v45, v44
	v_pk_mul_f16 v20, v20, v12 op_sel_hi:[1,0]
	v_pk_mul_f16 v21, v21, v12 op_sel_hi:[1,0]
	s_waitcnt lgkmcnt(0)
	s_barrier
	buffer_gl0_inv
	v_pk_fma_f16 v20, v55, v45, v20 op_sel_hi:[1,0,1]
	v_pk_fma_f16 v21, v56, v45, v21 op_sel_hi:[1,0,1]
	v_fmac_f32_e32 v59, v62, v44
	s_delay_alu instid0(VALU_DEP_3) | instskip(NEXT) | instid1(VALU_DEP_3)
	v_pk_fma_f16 v20, v22, v12, v20 op_sel:[0,1,0]
	v_pk_fma_f16 v12, v23, v12, v21 op_sel:[0,1,0]
	s_delay_alu instid0(VALU_DEP_3) | instskip(NEXT) | instid1(VALU_DEP_3)
	v_mov_b32_e32 v62, v59
	v_pk_fma_f16 v20, v32, v13, v20 op_sel_hi:[1,0,1]
	s_delay_alu instid0(VALU_DEP_3) | instskip(NEXT) | instid1(VALU_DEP_2)
	v_pk_fma_f16 v12, v33, v13, v12 op_sel_hi:[1,0,1]
	v_pk_fma_f16 v20, v34, v13, v20 op_sel:[0,1,0]
	s_delay_alu instid0(VALU_DEP_2) | instskip(NEXT) | instid1(VALU_DEP_2)
	v_pk_fma_f16 v12, v35, v13, v12 op_sel:[0,1,0]
	v_pk_fma_f16 v13, v28, v14, v20 op_sel_hi:[1,0,1]
	s_delay_alu instid0(VALU_DEP_2) | instskip(NEXT) | instid1(VALU_DEP_2)
	v_pk_fma_f16 v12, v29, v14, v12 op_sel_hi:[1,0,1]
	v_pk_fma_f16 v13, v30, v14, v13 op_sel:[0,1,0]
	s_delay_alu instid0(VALU_DEP_2) | instskip(NEXT) | instid1(VALU_DEP_2)
	v_pk_fma_f16 v12, v31, v14, v12 op_sel:[0,1,0]
	v_pk_fma_f16 v13, v24, v15, v13 op_sel_hi:[1,0,1]
	s_delay_alu instid0(VALU_DEP_2) | instskip(NEXT) | instid1(VALU_DEP_2)
	;; [unrolled: 6-line block ×4, first 2 shown]
	v_pk_fma_f16 v0, v17, v1, v0 op_sel_hi:[1,0,1]
	v_pk_fma_f16 v16, v18, v1, v12 op_sel:[0,1,0]
	s_delay_alu instid0(VALU_DEP_2)
	v_pk_fma_f16 v0, v19, v1, v0 op_sel:[0,1,0]
	ds_load_2addr_b64 v[12:15], v53 offset1:20
	v_pk_fma_f16 v1, v8, v2, v16 op_sel_hi:[1,0,1]
	ds_load_b128 v[16:19], v54 offset:32
	v_pk_fma_f16 v0, v9, v2, v0 op_sel_hi:[1,0,1]
	v_pk_fma_f16 v1, v10, v2, v1 op_sel:[0,1,0]
	s_delay_alu instid0(VALU_DEP_2) | instskip(SKIP_3) | instid1(VALU_DEP_2)
	v_pk_fma_f16 v0, v11, v2, v0 op_sel:[0,1,0]
	ds_load_2addr_b64 v[8:11], v53 offset0:40 offset1:60
	v_pk_fma_f16 v1, v4, v3, v1 op_sel_hi:[1,0,1]
	v_pk_fma_f16 v0, v5, v3, v0 op_sel_hi:[1,0,1]
	v_pk_fma_f16 v20, v6, v3, v1 op_sel:[0,1,0]
	s_delay_alu instid0(VALU_DEP_2)
	v_pk_fma_f16 v21, v7, v3, v0 op_sel:[0,1,0]
	ds_load_b128 v[0:3], v54 offset:48
	ds_load_2addr_b64 v[4:7], v53 offset0:80 offset1:100
	s_waitcnt lgkmcnt(3)
	v_pk_fma_f16 v12, v12, v16, v20 op_sel_hi:[1,0,1]
	v_pk_fma_f16 v13, v13, v16, v21 op_sel_hi:[1,0,1]
	s_delay_alu instid0(VALU_DEP_2) | instskip(NEXT) | instid1(VALU_DEP_2)
	v_pk_fma_f16 v20, v14, v16, v12 op_sel:[0,1,0]
	v_pk_fma_f16 v16, v15, v16, v13 op_sel:[0,1,0]
	ds_load_2addr_b64 v[12:15], v53 offset0:120 offset1:140
	s_waitcnt lgkmcnt(3)
	v_pk_fma_f16 v8, v8, v17, v20 op_sel_hi:[1,0,1]
	v_pk_fma_f16 v9, v9, v17, v16 op_sel_hi:[1,0,1]
	s_delay_alu instid0(VALU_DEP_2) | instskip(NEXT) | instid1(VALU_DEP_2)
	v_pk_fma_f16 v16, v10, v17, v8 op_sel:[0,1,0]
	v_pk_fma_f16 v17, v11, v17, v9 op_sel:[0,1,0]
	;; [unrolled: 7-line block ×3, first 2 shown]
	ds_load_2addr_b64 v[4:7], v53 offset0:200 offset1:220
	s_waitcnt lgkmcnt(2)
	v_pk_fma_f16 v12, v12, v19, v16 op_sel_hi:[1,0,1]
	v_pk_fma_f16 v13, v13, v19, v17 op_sel_hi:[1,0,1]
	v_add_nc_u32_e32 v16, 0x400, v53
	s_delay_alu instid0(VALU_DEP_3) | instskip(NEXT) | instid1(VALU_DEP_3)
	v_pk_fma_f16 v17, v14, v19, v12 op_sel:[0,1,0]
	v_pk_fma_f16 v18, v15, v19, v13 op_sel:[0,1,0]
	ds_load_2addr_b64 v[12:15], v16 offset0:112 offset1:132
	v_add_nc_u32_e32 v16, 0x800, v53
	s_waitcnt lgkmcnt(2)
	v_pk_fma_f16 v8, v8, v0, v17 op_sel_hi:[1,0,1]
	v_pk_fma_f16 v9, v9, v0, v18 op_sel_hi:[1,0,1]
	s_delay_alu instid0(VALU_DEP_2) | instskip(NEXT) | instid1(VALU_DEP_2)
	v_pk_fma_f16 v17, v10, v0, v8 op_sel:[0,1,0]
	v_pk_fma_f16 v0, v11, v0, v9 op_sel:[0,1,0]
	ds_load_2addr_b64 v[8:11], v16 offset0:24 offset1:44
	s_waitcnt lgkmcnt(0)
	s_barrier
	v_pk_fma_f16 v4, v4, v1, v17 op_sel_hi:[1,0,1]
	v_pk_fma_f16 v0, v5, v1, v0 op_sel_hi:[1,0,1]
	buffer_gl0_inv
	v_pk_fma_f16 v4, v6, v1, v4 op_sel:[0,1,0]
	v_pk_fma_f16 v0, v7, v1, v0 op_sel:[0,1,0]
	s_delay_alu instid0(VALU_DEP_2) | instskip(NEXT) | instid1(VALU_DEP_2)
	v_pk_fma_f16 v1, v12, v2, v4 op_sel_hi:[1,0,1]
	v_pk_fma_f16 v0, v13, v2, v0 op_sel_hi:[1,0,1]
	s_delay_alu instid0(VALU_DEP_2) | instskip(NEXT) | instid1(VALU_DEP_2)
	v_pk_fma_f16 v1, v14, v2, v1 op_sel:[0,1,0]
	v_pk_fma_f16 v0, v15, v2, v0 op_sel:[0,1,0]
	s_delay_alu instid0(VALU_DEP_2) | instskip(NEXT) | instid1(VALU_DEP_2)
	v_pk_fma_f16 v1, v8, v3, v1 op_sel_hi:[1,0,1]
	v_pk_fma_f16 v0, v9, v3, v0 op_sel_hi:[1,0,1]
	s_delay_alu instid0(VALU_DEP_2) | instskip(SKIP_1) | instid1(VALU_DEP_3)
	v_pk_fma_f16 v55, v10, v3, v1 op_sel:[0,1,0]
	v_mov_b32_e32 v1, v52
	v_pk_fma_f16 v56, v11, v3, v0 op_sel:[0,1,0]
.LBB62_57:
	v_cmp_lt_i32_e32 vcc_lo, v40, v68
	s_cmp_eq_u64 s[24:25], 0
	s_cselect_b32 s0, -1, 0
	s_cmp_lg_u32 s14, 0
	v_cndmask_b32_e32 v0, v1, v40, vcc_lo
	v_cmp_lt_i32_e32 vcc_lo, v48, v68
	s_cselect_b32 s1, -1, 0
	s_delay_alu instid0(SALU_CYCLE_1) | instskip(SKIP_2) | instid1(VALU_DEP_2)
	s_or_b32 s0, s1, s0
	v_cndmask_b32_e32 v2, v1, v48, vcc_lo
	v_cmp_lt_i32_e32 vcc_lo, v49, v68
	v_dual_cndmask_b32 v3, v1, v49 :: v_dual_lshlrev_b32 v2, 2, v2
	v_cmp_lt_i32_e32 vcc_lo, v50, v68
	s_delay_alu instid0(VALU_DEP_2)
	v_lshlrev_b32_e32 v3, 2, v3
	v_lshlrev_b32_e32 v0, 2, v0
	ds_bpermute_b32 v0, v0, v62
	s_waitcnt lgkmcnt(0)
	v_add_f32_e32 v0, v62, v0
	ds_bpermute_b32 v2, v2, v0
	s_waitcnt lgkmcnt(0)
	v_add_f32_e32 v0, v0, v2
	ds_bpermute_b32 v2, v3, v0
	v_cndmask_b32_e32 v3, v1, v50, vcc_lo
	v_cmp_lt_i32_e32 vcc_lo, v51, v68
	s_delay_alu instid0(VALU_DEP_2) | instskip(SKIP_3) | instid1(VALU_DEP_1)
	v_lshlrev_b32_e32 v3, 2, v3
	v_cndmask_b32_e32 v1, v1, v51, vcc_lo
	s_and_b32 vcc_lo, exec_lo, s0
	s_waitcnt lgkmcnt(0)
	v_dual_add_f32 v0, v0, v2 :: v_dual_lshlrev_b32 v1, 2, v1
	ds_bpermute_b32 v2, v3, v0
	s_waitcnt lgkmcnt(0)
	v_add_f32_e32 v0, v0, v2
	ds_bpermute_b32 v1, v1, v0
	s_waitcnt lgkmcnt(0)
	v_add_f32_e32 v44, v0, v1
	s_cbranch_vccnz .LBB62_59
; %bb.58:
	s_lshl_b64 s[0:1], s[34:35], 2
	v_dual_mov_b32 v0, 0 :: v_dual_max_f32 v1, v43, v43
	s_add_u32 s0, s24, s0
	s_addc_u32 s1, s25, s1
	global_load_b32 v0, v0, s[0:1]
	s_waitcnt vmcnt(0)
	v_max_f32_e32 v2, v0, v0
	s_delay_alu instid0(VALU_DEP_1) | instskip(NEXT) | instid1(VALU_DEP_1)
	v_max_f32_e32 v1, v1, v2
	v_sub_f32_e32 v0, v0, v1
	s_delay_alu instid0(VALU_DEP_1) | instskip(NEXT) | instid1(VALU_DEP_1)
	v_mul_f32_e32 v4, 0x3fb8aa3b, v0
	v_fma_f32 v7, 0x3fb8aa3b, v0, -v4
	v_sub_f32_e32 v2, v43, v1
	v_rndne_f32_e32 v8, v4
	v_mov_b32_e32 v43, v1
	s_delay_alu instid0(VALU_DEP_4) | instskip(NEXT) | instid1(VALU_DEP_3)
	v_fmac_f32_e32 v7, 0x32a5705f, v0
	v_dual_mul_f32 v3, 0x3fb8aa3b, v2 :: v_dual_sub_f32 v4, v4, v8
	v_cmp_ngt_f32_e32 vcc_lo, 0xc2ce8ed0, v2
	s_delay_alu instid0(VALU_DEP_2) | instskip(SKIP_1) | instid1(VALU_DEP_2)
	v_fma_f32 v5, 0x3fb8aa3b, v2, -v3
	v_rndne_f32_e32 v6, v3
	v_dual_add_f32 v4, v4, v7 :: v_dual_fmac_f32 v5, 0x32a5705f, v2
	s_delay_alu instid0(VALU_DEP_2) | instskip(NEXT) | instid1(VALU_DEP_2)
	v_sub_f32_e32 v3, v3, v6
	v_exp_f32_e32 v4, v4
	s_delay_alu instid0(VALU_DEP_1) | instskip(SKIP_2) | instid1(VALU_DEP_3)
	v_add_f32_e32 v3, v3, v5
	v_cvt_i32_f32_e32 v5, v6
	v_cvt_i32_f32_e32 v6, v8
	v_exp_f32_e32 v3, v3
	s_waitcnt_depctr 0xfff
	v_ldexp_f32 v4, v4, v6
	v_ldexp_f32 v3, v3, v5
	s_delay_alu instid0(VALU_DEP_1) | instskip(SKIP_1) | instid1(VALU_DEP_4)
	v_cndmask_b32_e32 v3, 0, v3, vcc_lo
	v_cmp_ngt_f32_e32 vcc_lo, 0xc2ce8ed0, v0
	v_cndmask_b32_e32 v4, 0, v4, vcc_lo
	v_cmp_nlt_f32_e32 vcc_lo, 0x42b17218, v2
	s_delay_alu instid0(VALU_DEP_4) | instskip(SKIP_1) | instid1(VALU_DEP_2)
	v_cndmask_b32_e32 v2, 0x7f800000, v3, vcc_lo
	v_cmp_nlt_f32_e32 vcc_lo, 0x42b17218, v0
	v_cvt_f16_f32_e32 v3, v2
	v_cndmask_b32_e32 v0, 0x7f800000, v4, vcc_lo
	s_delay_alu instid0(VALU_DEP_2) | instskip(NEXT) | instid1(VALU_DEP_2)
	v_pk_mul_f16 v55, v3, v55 op_sel_hi:[0,1]
	v_fmac_f32_e32 v0, v44, v2
	v_pk_mul_f16 v56, v3, v56 op_sel_hi:[0,1]
	s_delay_alu instid0(VALU_DEP_2)
	v_mov_b32_e32 v44, v0
.LBB62_59:
	s_mov_b32 s0, exec_lo
	v_cmpx_gt_i32_e64 s38, v42
	s_cbranch_execz .LBB62_64
; %bb.60:
	s_load_b32 s0, s[2:3], 0xd4
	v_mad_u64_u32 v[0:1], null, s33, s38, v[42:43]
	s_delay_alu instid0(VALU_DEP_1) | instskip(SKIP_1) | instid1(VALU_DEP_1)
	v_mad_u64_u32 v[2:3], null, v0, s39, s[34:35]
	s_waitcnt lgkmcnt(0)
	v_mad_u64_u32 v[0:1], null, s0, v2, s[14:15]
	s_cmp_lg_u32 s0, 1
	s_cselect_b32 s0, -1, 0
	s_and_saveexec_b32 s1, s4
	s_cbranch_execz .LBB62_62
; %bb.61:
	v_div_scale_f32 v1, null, v44, v44, 1.0
	v_div_scale_f32 v4, vcc_lo, 1.0, v44, 1.0
	v_lshrrev_b32_e32 v6, 16, v55
	s_delay_alu instid0(VALU_DEP_3) | instskip(SKIP_1) | instid1(VALU_DEP_2)
	v_rcp_f32_e32 v2, v1
	v_cvt_f32_f16_e32 v9, v55
	v_cvt_f32_f16_e32 v8, v6
	s_waitcnt_depctr 0xfff
	v_fma_f32 v3, -v1, v2, 1.0
	s_delay_alu instid0(VALU_DEP_1) | instskip(NEXT) | instid1(VALU_DEP_1)
	v_fmac_f32_e32 v2, v3, v2
	v_mul_f32_e32 v3, v4, v2
	s_delay_alu instid0(VALU_DEP_1) | instskip(NEXT) | instid1(VALU_DEP_1)
	v_fma_f32 v5, -v1, v3, v4
	v_fmac_f32_e32 v3, v5, v2
	s_delay_alu instid0(VALU_DEP_1) | instskip(SKIP_1) | instid1(VALU_DEP_2)
	v_fma_f32 v1, -v1, v3, v4
	v_lshrrev_b32_e32 v4, 16, v56
	v_div_fmas_f32 v1, v1, v2, v3
	v_mul_lo_u32 v3, 0x50, v0
	v_mov_b32_e32 v2, 0
	s_delay_alu instid0(VALU_DEP_4) | instskip(NEXT) | instid1(VALU_DEP_4)
	v_cvt_f32_f16_e32 v4, v4
	v_div_fixup_f32 v5, v1, v44, 1.0
	s_delay_alu instid0(VALU_DEP_4) | instskip(NEXT) | instid1(VALU_DEP_2)
	v_lshl_add_u32 v1, v41, 2, v3
	v_cndmask_b32_e64 v7, v5, 1.0, s0
	v_cvt_f32_f16_e32 v3, v56
	s_delay_alu instid0(VALU_DEP_3) | instskip(NEXT) | instid1(VALU_DEP_3)
	v_lshlrev_b64 v[5:6], 2, v[1:2]
	v_mul_f32_e32 v4, v7, v4
	s_delay_alu instid0(VALU_DEP_3)
	v_mul_f32_e32 v3, v7, v3
	v_mul_f32_e32 v2, v7, v8
	;; [unrolled: 1-line block ×3, first 2 shown]
	v_add_co_u32 v5, vcc_lo, s28, v5
	v_add_co_ci_u32_e32 v6, vcc_lo, s29, v6, vcc_lo
	global_store_b128 v[5:6], v[1:4], off
.LBB62_62:
	s_or_b32 exec_lo, exec_lo, s1
	v_cmp_eq_u32_e32 vcc_lo, 0, v41
	s_and_b32 s0, vcc_lo, s0
	s_delay_alu instid0(SALU_CYCLE_1)
	s_and_b32 exec_lo, exec_lo, s0
	s_cbranch_execz .LBB62_64
; %bb.63:
	v_ashrrev_i32_e32 v1, 31, v0
	s_delay_alu instid0(VALU_DEP_1) | instskip(NEXT) | instid1(VALU_DEP_1)
	v_lshlrev_b64 v[0:1], 3, v[0:1]
	v_add_co_u32 v0, vcc_lo, s30, v0
	s_delay_alu instid0(VALU_DEP_2)
	v_add_co_ci_u32_e32 v1, vcc_lo, s31, v1, vcc_lo
	global_store_b64 v[0:1], v[43:44], off
.LBB62_64:
	s_nop 0
	s_sendmsg sendmsg(MSG_DEALLOC_VGPRS)
	s_endpgm
	.section	.rodata,"a",@progbits
	.p2align	6, 0x0
	.amdhsa_kernel _ZL15flash_attn_tileILi80ELi80ELi8ELi1ELb0EEvPKcS1_S1_S1_S1_PKiPfP15HIP_vector_typeIfLj2EEffffjfiS5_IjLj3EEiiiiiiiiiiiliiliiiiil
		.amdhsa_group_segment_fixed_size 13248
		.amdhsa_private_segment_fixed_size 32
		.amdhsa_kernarg_size 464
		.amdhsa_user_sgpr_count 13
		.amdhsa_user_sgpr_dispatch_ptr 1
		.amdhsa_user_sgpr_queue_ptr 0
		.amdhsa_user_sgpr_kernarg_segment_ptr 1
		.amdhsa_user_sgpr_dispatch_id 0
		.amdhsa_user_sgpr_private_segment_size 0
		.amdhsa_wavefront_size32 1
		.amdhsa_uses_dynamic_stack 0
		.amdhsa_enable_private_segment 1
		.amdhsa_system_sgpr_workgroup_id_x 1
		.amdhsa_system_sgpr_workgroup_id_y 1
		.amdhsa_system_sgpr_workgroup_id_z 1
		.amdhsa_system_sgpr_workgroup_info 0
		.amdhsa_system_vgpr_workitem_id 2
		.amdhsa_next_free_vgpr 87
		.amdhsa_next_free_sgpr 48
		.amdhsa_reserve_vcc 1
		.amdhsa_float_round_mode_32 0
		.amdhsa_float_round_mode_16_64 0
		.amdhsa_float_denorm_mode_32 3
		.amdhsa_float_denorm_mode_16_64 3
		.amdhsa_dx10_clamp 1
		.amdhsa_ieee_mode 1
		.amdhsa_fp16_overflow 0
		.amdhsa_workgroup_processor_mode 1
		.amdhsa_memory_ordered 1
		.amdhsa_forward_progress 0
		.amdhsa_shared_vgpr_count 0
		.amdhsa_exception_fp_ieee_invalid_op 0
		.amdhsa_exception_fp_denorm_src 0
		.amdhsa_exception_fp_ieee_div_zero 0
		.amdhsa_exception_fp_ieee_overflow 0
		.amdhsa_exception_fp_ieee_underflow 0
		.amdhsa_exception_fp_ieee_inexact 0
		.amdhsa_exception_int_div_zero 0
	.end_amdhsa_kernel
	.section	.text._ZL15flash_attn_tileILi80ELi80ELi8ELi1ELb0EEvPKcS1_S1_S1_S1_PKiPfP15HIP_vector_typeIfLj2EEffffjfiS5_IjLj3EEiiiiiiiiiiiliiliiiiil,"axG",@progbits,_ZL15flash_attn_tileILi80ELi80ELi8ELi1ELb0EEvPKcS1_S1_S1_S1_PKiPfP15HIP_vector_typeIfLj2EEffffjfiS5_IjLj3EEiiiiiiiiiiiliiliiiiil,comdat
.Lfunc_end62:
	.size	_ZL15flash_attn_tileILi80ELi80ELi8ELi1ELb0EEvPKcS1_S1_S1_S1_PKiPfP15HIP_vector_typeIfLj2EEffffjfiS5_IjLj3EEiiiiiiiiiiiliiliiiiil, .Lfunc_end62-_ZL15flash_attn_tileILi80ELi80ELi8ELi1ELb0EEvPKcS1_S1_S1_S1_PKiPfP15HIP_vector_typeIfLj2EEffffjfiS5_IjLj3EEiiiiiiiiiiiliiliiiiil
                                        ; -- End function
	.section	.AMDGPU.csdata,"",@progbits
; Kernel info:
; codeLenInByte = 10740
; NumSgprs: 50
; NumVgprs: 87
; ScratchSize: 32
; MemoryBound: 0
; FloatMode: 240
; IeeeMode: 1
; LDSByteSize: 13248 bytes/workgroup (compile time only)
; SGPRBlocks: 6
; VGPRBlocks: 10
; NumSGPRsForWavesPerEU: 50
; NumVGPRsForWavesPerEU: 87
; Occupancy: 16
; WaveLimiterHint : 1
; COMPUTE_PGM_RSRC2:SCRATCH_EN: 1
; COMPUTE_PGM_RSRC2:USER_SGPR: 13
; COMPUTE_PGM_RSRC2:TRAP_HANDLER: 0
; COMPUTE_PGM_RSRC2:TGID_X_EN: 1
; COMPUTE_PGM_RSRC2:TGID_Y_EN: 1
; COMPUTE_PGM_RSRC2:TGID_Z_EN: 1
; COMPUTE_PGM_RSRC2:TIDIG_COMP_CNT: 2
	.section	.text._ZL33flash_attn_stream_k_fixup_uniformILi80ELi8ELi1EEvPfPK15HIP_vector_typeIfLj2EEiiiiiiS1_IjLj3EES5_S5_,"axG",@progbits,_ZL33flash_attn_stream_k_fixup_uniformILi80ELi8ELi1EEvPfPK15HIP_vector_typeIfLj2EEiiiiiiS1_IjLj3EES5_S5_,comdat
	.globl	_ZL33flash_attn_stream_k_fixup_uniformILi80ELi8ELi1EEvPfPK15HIP_vector_typeIfLj2EEiiiiiiS1_IjLj3EES5_S5_ ; -- Begin function _ZL33flash_attn_stream_k_fixup_uniformILi80ELi8ELi1EEvPfPK15HIP_vector_typeIfLj2EEiiiiiiS1_IjLj3EES5_S5_
	.p2align	8
	.type	_ZL33flash_attn_stream_k_fixup_uniformILi80ELi8ELi1EEvPfPK15HIP_vector_typeIfLj2EEiiiiiiS1_IjLj3EES5_S5_,@function
_ZL33flash_attn_stream_k_fixup_uniformILi80ELi8ELi1EEvPfPK15HIP_vector_typeIfLj2EEiiiiiiS1_IjLj3EES5_S5_: ; @_ZL33flash_attn_stream_k_fixup_uniformILi80ELi8ELi1EEvPfPK15HIP_vector_typeIfLj2EEiiiiiiS1_IjLj3EES5_S5_
; %bb.0:
	s_clause 0x1
	s_load_b256 s[4:11], s[0:1], 0x1c
	s_load_b128 s[16:19], s[0:1], 0x3c
	s_waitcnt lgkmcnt(0)
	s_mul_hi_u32 s2, s7, s13
	s_delay_alu instid0(SALU_CYCLE_1) | instskip(NEXT) | instid1(SALU_CYCLE_1)
	s_add_i32 s2, s13, s2
	s_lshr_b32 s2, s2, s8
	s_delay_alu instid0(SALU_CYCLE_1) | instskip(SKIP_2) | instid1(SALU_CYCLE_1)
	s_mul_i32 s3, s2, s9
	s_load_b64 s[8:9], s[0:1], 0x10
	s_sub_i32 s3, s13, s3
	s_mul_hi_u32 s7, s3, s10
	s_delay_alu instid0(SALU_CYCLE_1) | instskip(NEXT) | instid1(SALU_CYCLE_1)
	s_add_i32 s7, s3, s7
	s_lshr_b32 s7, s7, s11
	s_delay_alu instid0(SALU_CYCLE_1) | instskip(NEXT) | instid1(SALU_CYCLE_1)
	s_mul_i32 s10, s7, s16
	s_sub_i32 s3, s3, s10
	s_delay_alu instid0(SALU_CYCLE_1) | instskip(NEXT) | instid1(SALU_CYCLE_1)
	s_mul_hi_u32 s10, s3, s17
	s_add_i32 s10, s3, s10
	s_delay_alu instid0(SALU_CYCLE_1) | instskip(NEXT) | instid1(SALU_CYCLE_1)
	s_lshr_b32 s11, s10, s18
	s_mul_i32 s10, s11, s19
	s_delay_alu instid0(SALU_CYCLE_1) | instskip(NEXT) | instid1(SALU_CYCLE_1)
	s_sub_i32 s10, s3, s10
	s_lshl_b32 s3, s10, 3
	s_delay_alu instid0(SALU_CYCLE_1) | instskip(SKIP_4) | instid1(SALU_CYCLE_1)
	s_add_i32 s3, s3, s14
	s_waitcnt lgkmcnt(0)
	s_cmp_lt_i32 s3, s8
	s_cselect_b32 s3, -1, 0
	s_add_i32 s11, s11, s15
	s_cmp_lt_i32 s11, s5
	s_cselect_b32 s12, -1, 0
	s_delay_alu instid0(SALU_CYCLE_1) | instskip(NEXT) | instid1(SALU_CYCLE_1)
	s_and_b32 s3, s3, s12
	s_and_not1_b32 vcc_lo, exec_lo, s3
	s_cbranch_vccnz .LBB63_6
; %bb.1:
	s_mul_i32 s8, s2, s8
	s_mul_i32 s7, s7, s5
	s_add_i32 s8, s8, s14
	s_add_i32 s5, s11, s7
	s_mul_i32 s8, s8, s9
	s_load_b128 s[0:3], s[0:1], 0x0
	s_mul_i32 s7, s9, s10
	s_add_i32 s5, s5, s8
	s_mulk_i32 s7, 0x280
	s_mulk_i32 s5, 0x50
	s_add_i32 s10, s14, s15
	v_add3_u32 v1, s5, s7, v0
	s_mul_i32 s5, s13, s6
	s_delay_alu instid0(SALU_CYCLE_1) | instskip(NEXT) | instid1(VALU_DEP_1)
	s_add_i32 s9, s5, s6
	v_ashrrev_i32_e32 v2, 31, v1
	s_delay_alu instid0(VALU_DEP_1) | instskip(SKIP_1) | instid1(VALU_DEP_1)
	v_lshlrev_b64 v[1:2], 2, v[1:2]
	s_waitcnt lgkmcnt(0)
	v_add_co_u32 v1, vcc_lo, s0, v1
	s_delay_alu instid0(VALU_DEP_2) | instskip(SKIP_1) | instid1(SALU_CYCLE_1)
	v_add_co_ci_u32_e32 v2, vcc_lo, s1, v2, vcc_lo
	s_lshl_b32 s0, s9, 3
	s_add_i32 s0, s10, s0
	global_load_b32 v5, v[1:2], off
	s_add_i32 s0, s0, -8
	s_delay_alu instid0(SALU_CYCLE_1) | instskip(NEXT) | instid1(SALU_CYCLE_1)
	s_ashr_i32 s1, s0, 31
	s_lshl_b64 s[0:1], s[0:1], 3
	s_delay_alu instid0(SALU_CYCLE_1)
	s_add_u32 s0, s2, s0
	s_addc_u32 s1, s3, s1
	s_add_i32 s7, s9, -2
	s_load_b32 s11, s[0:1], 0x4
	s_cmp_lt_i32 s7, s5
	s_cbranch_scc1 .LBB63_4
; %bb.2:
	s_load_b32 s12, s[0:1], 0x0
	s_lshl_b32 s0, s4, 5
	s_waitcnt lgkmcnt(0)
	v_mov_b32_e32 v6, s11
	s_ashr_i32 s1, s0, 31
	s_delay_alu instid0(SALU_CYCLE_1) | instskip(NEXT) | instid1(SALU_CYCLE_1)
	s_lshl_b64 s[0:1], s[0:1], 2
	s_add_u32 s7, s2, s0
	s_addc_u32 s8, s3, s1
	s_add_i32 s13, s13, 1
	s_mul_i32 s1, s10, 0x50
	s_mul_i32 s0, s6, s13
	s_delay_alu instid0(SALU_CYCLE_1)
	s_lshl_b32 s6, s0, 3
	s_mulk_i32 s0, 0x280
	s_add_i32 s6, s10, s6
	s_add_i32 s1, s1, s0
	s_lshl_b32 s0, s4, 3
	v_add3_u32 v3, s1, v0, 0xfffffb00
	s_add_i32 s0, s6, s0
	v_mov_b32_e32 v0, s12
	s_add_i32 s4, s9, -1
	s_add_i32 s0, s0, -16
.LBB63_3:                               ; =>This Inner Loop Header: Depth=1
	s_delay_alu instid0(VALU_DEP_2) | instskip(SKIP_1) | instid1(SALU_CYCLE_1)
	v_ashrrev_i32_e32 v4, 31, v3
	s_ashr_i32 s1, s0, 31
	s_lshl_b64 s[10:11], s[0:1], 3
	s_delay_alu instid0(SALU_CYCLE_1) | instskip(NEXT) | instid1(VALU_DEP_1)
	s_add_u32 s10, s2, s10
	v_lshlrev_b64 v[7:8], 2, v[3:4]
	s_addc_u32 s11, s3, s11
	s_add_i32 s4, s4, -1
	s_add_i32 s0, s0, -8
	s_cmp_le_i32 s4, s5
	s_load_b64 s[10:11], s[10:11], 0x0
	v_add_co_u32 v7, vcc_lo, s7, v7
	v_add_co_ci_u32_e32 v8, vcc_lo, s8, v8, vcc_lo
	global_load_b32 v4, v[7:8], off
	v_max_f32_e32 v7, v0, v0
	s_waitcnt lgkmcnt(0)
	v_max_f32_e64 v8, s10, s10
	s_delay_alu instid0(VALU_DEP_1) | instskip(NEXT) | instid1(VALU_DEP_1)
	v_max_f32_e32 v7, v7, v8
	v_sub_f32_e32 v8, s10, v7
	s_delay_alu instid0(VALU_DEP_1) | instskip(NEXT) | instid1(VALU_DEP_1)
	v_dual_sub_f32 v0, v0, v7 :: v_dual_mul_f32 v9, 0x3fb8aa3b, v8
	v_fma_f32 v10, 0x3fb8aa3b, v8, -v9
	v_rndne_f32_e32 v11, v9
	s_delay_alu instid0(VALU_DEP_3) | instskip(NEXT) | instid1(VALU_DEP_2)
	v_mul_f32_e32 v12, 0x3fb8aa3b, v0
	v_dual_fmac_f32 v10, 0x32a5705f, v8 :: v_dual_sub_f32 v9, v9, v11
	v_cvt_i32_f32_e32 v11, v11
	s_delay_alu instid0(VALU_DEP_3) | instskip(SKIP_1) | instid1(VALU_DEP_4)
	v_fma_f32 v13, 0x3fb8aa3b, v0, -v12
	v_rndne_f32_e32 v14, v12
	v_add_f32_e32 v9, v9, v10
	v_cmp_ngt_f32_e32 vcc_lo, 0xc2ce8ed0, v8
	s_delay_alu instid0(VALU_DEP_3) | instskip(NEXT) | instid1(VALU_DEP_3)
	v_sub_f32_e32 v10, v12, v14
	v_exp_f32_e32 v9, v9
	s_waitcnt_depctr 0xfff
	v_ldexp_f32 v9, v9, v11
	v_cvt_i32_f32_e32 v11, v14
	s_delay_alu instid0(VALU_DEP_2) | instskip(SKIP_1) | instid1(VALU_DEP_2)
	v_cndmask_b32_e32 v9, 0, v9, vcc_lo
	v_cmp_nlt_f32_e32 vcc_lo, 0x42b17218, v8
	v_cndmask_b32_e32 v9, 0x7f800000, v9, vcc_lo
	v_cmp_ngt_f32_e32 vcc_lo, 0xc2ce8ed0, v0
	v_fmac_f32_e32 v13, 0x32a5705f, v0
	s_delay_alu instid0(VALU_DEP_1) | instskip(NEXT) | instid1(VALU_DEP_1)
	v_add_f32_e32 v10, v10, v13
	v_exp_f32_e32 v10, v10
	s_waitcnt_depctr 0xfff
	v_ldexp_f32 v10, v10, v11
	s_delay_alu instid0(VALU_DEP_1)
	v_dual_mov_b32 v11, v6 :: v_dual_cndmask_b32 v10, 0, v10
	v_cmp_le_f32_e32 vcc_lo, 0xc1a00000, v8
	s_waitcnt vmcnt(1)
	v_dual_cndmask_b32 v8, 0, v9 :: v_dual_mov_b32 v9, v5
	v_cmp_nlt_f32_e32 vcc_lo, 0x42b17218, v0
	v_cndmask_b32_e32 v5, 0x7f800000, v10, vcc_lo
	s_delay_alu instid0(VALU_DEP_3) | instskip(SKIP_2) | instid1(VALU_DEP_3)
	v_mul_f32_e32 v10, s11, v8
	v_cmp_le_f32_e32 vcc_lo, 0xc1a00000, v0
	v_mov_b32_e32 v0, v7
	v_mov_b32_e32 v6, v10
	s_waitcnt vmcnt(0)
	v_dual_cndmask_b32 v12, 0, v5 :: v_dual_mul_f32 v5, v4, v8
	s_delay_alu instid0(VALU_DEP_1) | instskip(NEXT) | instid1(VALU_DEP_2)
	v_dual_fmac_f32 v6, v11, v12 :: v_dual_add_nc_u32 v3, 0xfffffd80, v3
	v_fmac_f32_e32 v5, v9, v12
	s_cbranch_scc0 .LBB63_3
	s_branch .LBB63_5
.LBB63_4:
	s_waitcnt lgkmcnt(0)
	v_mov_b32_e32 v6, s11
.LBB63_5:
	s_waitcnt vmcnt(0)
	s_delay_alu instid0(VALU_DEP_1) | instskip(NEXT) | instid1(VALU_DEP_1)
	v_div_scale_f32 v0, null, v6, v6, v5
	v_rcp_f32_e32 v3, v0
	s_waitcnt_depctr 0xfff
	v_fma_f32 v4, -v0, v3, 1.0
	s_delay_alu instid0(VALU_DEP_1) | instskip(SKIP_1) | instid1(VALU_DEP_1)
	v_fmac_f32_e32 v3, v4, v3
	v_div_scale_f32 v4, vcc_lo, v5, v6, v5
	v_mul_f32_e32 v7, v4, v3
	s_delay_alu instid0(VALU_DEP_1) | instskip(NEXT) | instid1(VALU_DEP_1)
	v_fma_f32 v8, -v0, v7, v4
	v_fmac_f32_e32 v7, v8, v3
	s_delay_alu instid0(VALU_DEP_1) | instskip(NEXT) | instid1(VALU_DEP_1)
	v_fma_f32 v0, -v0, v7, v4
	v_div_fmas_f32 v0, v0, v3, v7
	s_delay_alu instid0(VALU_DEP_1)
	v_div_fixup_f32 v0, v0, v6, v5
	global_store_b32 v[1:2], v0, off
.LBB63_6:
	s_nop 0
	s_sendmsg sendmsg(MSG_DEALLOC_VGPRS)
	s_endpgm
	.section	.rodata,"a",@progbits
	.p2align	6, 0x0
	.amdhsa_kernel _ZL33flash_attn_stream_k_fixup_uniformILi80ELi8ELi1EEvPfPK15HIP_vector_typeIfLj2EEiiiiiiS1_IjLj3EES5_S5_
		.amdhsa_group_segment_fixed_size 0
		.amdhsa_private_segment_fixed_size 0
		.amdhsa_kernarg_size 76
		.amdhsa_user_sgpr_count 13
		.amdhsa_user_sgpr_dispatch_ptr 0
		.amdhsa_user_sgpr_queue_ptr 0
		.amdhsa_user_sgpr_kernarg_segment_ptr 1
		.amdhsa_user_sgpr_dispatch_id 0
		.amdhsa_user_sgpr_private_segment_size 0
		.amdhsa_wavefront_size32 1
		.amdhsa_uses_dynamic_stack 0
		.amdhsa_enable_private_segment 0
		.amdhsa_system_sgpr_workgroup_id_x 1
		.amdhsa_system_sgpr_workgroup_id_y 1
		.amdhsa_system_sgpr_workgroup_id_z 1
		.amdhsa_system_sgpr_workgroup_info 0
		.amdhsa_system_vgpr_workitem_id 0
		.amdhsa_next_free_vgpr 15
		.amdhsa_next_free_sgpr 20
		.amdhsa_reserve_vcc 1
		.amdhsa_float_round_mode_32 0
		.amdhsa_float_round_mode_16_64 0
		.amdhsa_float_denorm_mode_32 3
		.amdhsa_float_denorm_mode_16_64 3
		.amdhsa_dx10_clamp 1
		.amdhsa_ieee_mode 1
		.amdhsa_fp16_overflow 0
		.amdhsa_workgroup_processor_mode 1
		.amdhsa_memory_ordered 1
		.amdhsa_forward_progress 0
		.amdhsa_shared_vgpr_count 0
		.amdhsa_exception_fp_ieee_invalid_op 0
		.amdhsa_exception_fp_denorm_src 0
		.amdhsa_exception_fp_ieee_div_zero 0
		.amdhsa_exception_fp_ieee_overflow 0
		.amdhsa_exception_fp_ieee_underflow 0
		.amdhsa_exception_fp_ieee_inexact 0
		.amdhsa_exception_int_div_zero 0
	.end_amdhsa_kernel
	.section	.text._ZL33flash_attn_stream_k_fixup_uniformILi80ELi8ELi1EEvPfPK15HIP_vector_typeIfLj2EEiiiiiiS1_IjLj3EES5_S5_,"axG",@progbits,_ZL33flash_attn_stream_k_fixup_uniformILi80ELi8ELi1EEvPfPK15HIP_vector_typeIfLj2EEiiiiiiS1_IjLj3EES5_S5_,comdat
.Lfunc_end63:
	.size	_ZL33flash_attn_stream_k_fixup_uniformILi80ELi8ELi1EEvPfPK15HIP_vector_typeIfLj2EEiiiiiiS1_IjLj3EES5_S5_, .Lfunc_end63-_ZL33flash_attn_stream_k_fixup_uniformILi80ELi8ELi1EEvPfPK15HIP_vector_typeIfLj2EEiiiiiiS1_IjLj3EES5_S5_
                                        ; -- End function
	.section	.AMDGPU.csdata,"",@progbits
; Kernel info:
; codeLenInByte = 976
; NumSgprs: 22
; NumVgprs: 15
; ScratchSize: 0
; MemoryBound: 0
; FloatMode: 240
; IeeeMode: 1
; LDSByteSize: 0 bytes/workgroup (compile time only)
; SGPRBlocks: 2
; VGPRBlocks: 1
; NumSGPRsForWavesPerEU: 22
; NumVGPRsForWavesPerEU: 15
; Occupancy: 16
; WaveLimiterHint : 0
; COMPUTE_PGM_RSRC2:SCRATCH_EN: 0
; COMPUTE_PGM_RSRC2:USER_SGPR: 13
; COMPUTE_PGM_RSRC2:TRAP_HANDLER: 0
; COMPUTE_PGM_RSRC2:TGID_X_EN: 1
; COMPUTE_PGM_RSRC2:TGID_Y_EN: 1
; COMPUTE_PGM_RSRC2:TGID_Z_EN: 1
; COMPUTE_PGM_RSRC2:TIDIG_COMP_CNT: 0
	.section	.text._ZL33flash_attn_stream_k_fixup_generalILi80ELi8ELi1EEvPfPK15HIP_vector_typeIfLj2EEiiiiS1_IjLj3EES5_S5_S5_,"axG",@progbits,_ZL33flash_attn_stream_k_fixup_generalILi80ELi8ELi1EEvPfPK15HIP_vector_typeIfLj2EEiiiiS1_IjLj3EES5_S5_S5_,comdat
	.globl	_ZL33flash_attn_stream_k_fixup_generalILi80ELi8ELi1EEvPfPK15HIP_vector_typeIfLj2EEiiiiS1_IjLj3EES5_S5_S5_ ; -- Begin function _ZL33flash_attn_stream_k_fixup_generalILi80ELi8ELi1EEvPfPK15HIP_vector_typeIfLj2EEiiiiS1_IjLj3EES5_S5_S5_
	.p2align	8
	.type	_ZL33flash_attn_stream_k_fixup_generalILi80ELi8ELi1EEvPfPK15HIP_vector_typeIfLj2EEiiiiS1_IjLj3EES5_S5_S5_,@function
_ZL33flash_attn_stream_k_fixup_generalILi80ELi8ELi1EEvPfPK15HIP_vector_typeIfLj2EEiiiiS1_IjLj3EES5_S5_S5_: ; @_ZL33flash_attn_stream_k_fixup_generalILi80ELi8ELi1EEvPfPK15HIP_vector_typeIfLj2EEiiiiS1_IjLj3EES5_S5_S5_
; %bb.0:
	s_clause 0x1
	s_load_b128 s[4:7], s[0:1], 0x10
	s_load_b32 s20, s[0:1], 0x50
	s_mov_b32 s2, 0
	s_waitcnt lgkmcnt(0)
	s_mul_hi_i32 s3, s7, s13
	s_mul_i32 s12, s7, s13
	s_cmp_lg_u64 s[2:3], 0
	s_cbranch_scc0 .LBB64_21
; %bb.1:
	v_cvt_f32_ubyte0_e32 v1, 0
	v_cvt_f32_u32_e32 v2, s20
	s_sub_u32 s10, 0, s20
	s_subb_u32 s11, 0, 0
	s_delay_alu instid0(VALU_DEP_1) | instskip(NEXT) | instid1(VALU_DEP_1)
	v_fmamk_f32 v1, v1, 0x4f800000, v2
	v_rcp_f32_e32 v1, v1
	s_waitcnt_depctr 0xfff
	v_mul_f32_e32 v1, 0x5f7ffffc, v1
	s_delay_alu instid0(VALU_DEP_1) | instskip(NEXT) | instid1(VALU_DEP_1)
	v_mul_f32_e32 v2, 0x2f800000, v1
	v_trunc_f32_e32 v2, v2
	s_delay_alu instid0(VALU_DEP_1) | instskip(SKIP_1) | instid1(VALU_DEP_2)
	v_fmamk_f32 v1, v2, 0xcf800000, v1
	v_cvt_u32_f32_e32 v2, v2
	v_cvt_u32_f32_e32 v1, v1
	s_delay_alu instid0(VALU_DEP_2) | instskip(NEXT) | instid1(VALU_DEP_2)
	v_readfirstlane_b32 s8, v2
	v_readfirstlane_b32 s9, v1
	s_delay_alu instid0(VALU_DEP_2) | instskip(NEXT) | instid1(VALU_DEP_1)
	s_mul_i32 s16, s10, s8
	s_mul_hi_u32 s18, s10, s9
	s_mul_i32 s17, s11, s9
	s_add_i32 s16, s18, s16
	s_mul_i32 s19, s10, s9
	s_add_i32 s16, s16, s17
	s_mul_hi_u32 s18, s9, s19
	s_mul_hi_u32 s21, s8, s19
	s_mul_i32 s17, s8, s19
	s_mul_hi_u32 s19, s9, s16
	s_mul_i32 s9, s9, s16
	s_mul_hi_u32 s22, s8, s16
	s_add_u32 s9, s18, s9
	s_addc_u32 s18, 0, s19
	s_add_u32 s9, s9, s17
	s_mul_i32 s16, s8, s16
	s_addc_u32 s9, s18, s21
	s_addc_u32 s17, s22, 0
	s_add_u32 s9, s9, s16
	s_addc_u32 s16, 0, s17
	v_add_co_u32 v1, s9, v1, s9
	s_delay_alu instid0(VALU_DEP_1) | instskip(SKIP_1) | instid1(VALU_DEP_1)
	s_cmp_lg_u32 s9, 0
	s_addc_u32 s8, s8, s16
	v_readfirstlane_b32 s9, v1
	s_mul_i32 s16, s10, s8
	s_delay_alu instid0(VALU_DEP_1)
	s_mul_hi_u32 s17, s10, s9
	s_mul_i32 s11, s11, s9
	s_add_i32 s16, s17, s16
	s_mul_i32 s10, s10, s9
	s_add_i32 s16, s16, s11
	s_mul_hi_u32 s17, s8, s10
	s_mul_i32 s18, s8, s10
	s_mul_hi_u32 s10, s9, s10
	s_mul_hi_u32 s19, s9, s16
	s_mul_i32 s9, s9, s16
	s_mul_hi_u32 s11, s8, s16
	s_add_u32 s9, s10, s9
	s_addc_u32 s10, 0, s19
	s_add_u32 s9, s9, s18
	s_mul_i32 s16, s8, s16
	s_addc_u32 s9, s10, s17
	s_addc_u32 s10, s11, 0
	s_add_u32 s9, s9, s16
	s_addc_u32 s10, 0, s10
	v_add_co_u32 v1, s9, v1, s9
	s_delay_alu instid0(VALU_DEP_1) | instskip(SKIP_2) | instid1(SALU_CYCLE_1)
	s_cmp_lg_u32 s9, 0
	s_addc_u32 s16, s8, s10
	s_ashr_i32 s8, s3, 31
	s_add_u32 s10, s12, s8
	s_addc_u32 s11, s3, s8
	v_readfirstlane_b32 s3, v1
	s_mov_b32 s9, s8
	s_delay_alu instid0(SALU_CYCLE_1) | instskip(NEXT) | instid1(SALU_CYCLE_1)
	s_xor_b64 s[10:11], s[10:11], s[8:9]
	s_mul_i32 s18, s10, s16
	s_delay_alu instid0(VALU_DEP_1)
	s_mul_hi_u32 s19, s10, s3
	s_mul_hi_u32 s17, s10, s16
	s_mul_hi_u32 s22, s11, s3
	s_mul_i32 s3, s11, s3
	s_add_u32 s18, s19, s18
	s_addc_u32 s17, 0, s17
	s_mul_hi_u32 s21, s11, s16
	s_add_u32 s3, s18, s3
	s_mul_i32 s16, s11, s16
	s_addc_u32 s3, s17, s22
	s_addc_u32 s17, s21, 0
	s_add_u32 s3, s3, s16
	s_addc_u32 s16, 0, s17
	s_mul_i32 s18, s20, s3
	s_add_u32 s17, s3, 1
	v_sub_co_u32 v1, s10, s10, s18
	s_mul_hi_u32 s18, s20, s3
	s_addc_u32 s19, s16, 0
	s_mul_i32 s21, s20, s16
	s_delay_alu instid0(VALU_DEP_1)
	v_sub_co_u32 v2, s22, v1, s20
	s_add_u32 s23, s3, 2
	s_addc_u32 s24, s16, 0
	s_add_i32 s18, s18, s21
	s_cmp_lg_u32 s10, 0
	v_readfirstlane_b32 s10, v2
	s_subb_u32 s11, s11, s18
	s_cmp_lg_u32 s22, 0
	s_subb_u32 s18, s11, 0
	s_delay_alu instid0(VALU_DEP_1) | instskip(SKIP_4) | instid1(SALU_CYCLE_1)
	s_cmp_ge_u32 s10, s20
	s_cselect_b32 s10, -1, 0
	s_cmp_eq_u32 s18, 0
	v_readfirstlane_b32 s18, v1
	s_cselect_b32 s10, s10, -1
	s_cmp_lg_u32 s10, 0
	s_cselect_b32 s10, s23, s17
	s_cselect_b32 s17, s24, s19
	s_cmp_ge_u32 s18, s20
	s_cselect_b32 s18, -1, 0
	s_cmp_eq_u32 s11, 0
	s_cselect_b32 s11, s18, -1
	s_delay_alu instid0(SALU_CYCLE_1) | instskip(SKIP_2) | instid1(SALU_CYCLE_1)
	s_cmp_lg_u32 s11, 0
	s_cselect_b32 s11, s17, s16
	s_cselect_b32 s10, s10, s3
	s_xor_b64 s[10:11], s[10:11], s[8:9]
	s_delay_alu instid0(SALU_CYCLE_1)
	s_sub_u32 s16, s10, s8
	s_load_b128 s[8:11], s[0:1], 0x44
	s_and_not1_b32 vcc_lo, exec_lo, s2
	s_cbranch_vccnz .LBB64_3
.LBB64_2:
	v_cvt_f32_u32_e32 v1, s20
	s_sub_i32 s3, 0, s20
	s_delay_alu instid0(VALU_DEP_1) | instskip(SKIP_2) | instid1(VALU_DEP_1)
	v_rcp_iflag_f32_e32 v1, v1
	s_waitcnt_depctr 0xfff
	v_mul_f32_e32 v1, 0x4f7ffffe, v1
	v_cvt_u32_f32_e32 v1, v1
	s_delay_alu instid0(VALU_DEP_1) | instskip(NEXT) | instid1(VALU_DEP_1)
	v_readfirstlane_b32 s2, v1
	s_mul_i32 s3, s3, s2
	s_delay_alu instid0(SALU_CYCLE_1) | instskip(NEXT) | instid1(SALU_CYCLE_1)
	s_mul_hi_u32 s3, s2, s3
	s_add_i32 s2, s2, s3
	s_delay_alu instid0(SALU_CYCLE_1) | instskip(NEXT) | instid1(SALU_CYCLE_1)
	s_mul_hi_u32 s2, s12, s2
	s_mul_i32 s3, s2, s20
	s_waitcnt lgkmcnt(0)
	s_add_i32 s11, s2, 1
	s_sub_i32 s3, s12, s3
	s_delay_alu instid0(SALU_CYCLE_1)
	s_sub_i32 s12, s3, s20
	s_cmp_ge_u32 s3, s20
	s_cselect_b32 s2, s11, s2
	s_cselect_b32 s3, s12, s3
	s_add_i32 s11, s2, 1
	s_cmp_ge_u32 s3, s20
	s_cselect_b32 s16, s11, s2
.LBB64_3:
	s_waitcnt lgkmcnt(0)
	s_add_i32 s11, s13, 1
	s_mov_b32 s2, 0
	s_mul_hi_i32 s3, s7, s11
	s_mul_i32 s11, s7, s11
	s_cmp_lg_u64 s[2:3], 0
	s_cbranch_scc0 .LBB64_22
; %bb.4:
	v_cvt_f32_ubyte0_e32 v1, 0
	v_cvt_f32_u32_e32 v2, s20
	s_sub_u32 s18, 0, s20
	s_subb_u32 s19, 0, 0
	s_delay_alu instid0(VALU_DEP_1) | instskip(NEXT) | instid1(VALU_DEP_1)
	v_fmamk_f32 v1, v1, 0x4f800000, v2
	v_rcp_f32_e32 v1, v1
	s_waitcnt_depctr 0xfff
	v_mul_f32_e32 v1, 0x5f7ffffc, v1
	s_delay_alu instid0(VALU_DEP_1) | instskip(NEXT) | instid1(VALU_DEP_1)
	v_mul_f32_e32 v2, 0x2f800000, v1
	v_trunc_f32_e32 v2, v2
	s_delay_alu instid0(VALU_DEP_1) | instskip(SKIP_1) | instid1(VALU_DEP_2)
	v_fmamk_f32 v1, v2, 0xcf800000, v1
	v_cvt_u32_f32_e32 v2, v2
	v_cvt_u32_f32_e32 v1, v1
	s_delay_alu instid0(VALU_DEP_2) | instskip(NEXT) | instid1(VALU_DEP_2)
	v_readfirstlane_b32 s12, v2
	v_readfirstlane_b32 s17, v1
	s_delay_alu instid0(VALU_DEP_2) | instskip(NEXT) | instid1(VALU_DEP_1)
	s_mul_i32 s21, s18, s12
	s_mul_hi_u32 s23, s18, s17
	s_mul_i32 s22, s19, s17
	s_add_i32 s21, s23, s21
	s_mul_i32 s24, s18, s17
	s_add_i32 s21, s21, s22
	s_mul_hi_u32 s23, s17, s24
	s_mul_hi_u32 s25, s12, s24
	s_mul_i32 s22, s12, s24
	s_mul_hi_u32 s24, s17, s21
	s_mul_i32 s17, s17, s21
	s_mul_hi_u32 s26, s12, s21
	s_add_u32 s17, s23, s17
	s_addc_u32 s23, 0, s24
	s_add_u32 s17, s17, s22
	s_mul_i32 s21, s12, s21
	s_addc_u32 s17, s23, s25
	s_addc_u32 s22, s26, 0
	s_add_u32 s17, s17, s21
	s_addc_u32 s21, 0, s22
	v_add_co_u32 v1, s17, v1, s17
	s_delay_alu instid0(VALU_DEP_1) | instskip(SKIP_1) | instid1(VALU_DEP_1)
	s_cmp_lg_u32 s17, 0
	s_addc_u32 s12, s12, s21
	v_readfirstlane_b32 s17, v1
	s_mul_i32 s21, s18, s12
	s_delay_alu instid0(VALU_DEP_1)
	s_mul_hi_u32 s22, s18, s17
	s_mul_i32 s19, s19, s17
	s_add_i32 s21, s22, s21
	s_mul_i32 s18, s18, s17
	s_add_i32 s21, s21, s19
	s_mul_hi_u32 s22, s12, s18
	s_mul_i32 s23, s12, s18
	s_mul_hi_u32 s18, s17, s18
	s_mul_hi_u32 s24, s17, s21
	s_mul_i32 s17, s17, s21
	s_mul_hi_u32 s19, s12, s21
	s_add_u32 s17, s18, s17
	s_addc_u32 s18, 0, s24
	s_add_u32 s17, s17, s23
	s_mul_i32 s21, s12, s21
	s_addc_u32 s17, s18, s22
	s_addc_u32 s18, s19, 0
	s_add_u32 s17, s17, s21
	s_addc_u32 s18, 0, s18
	v_add_co_u32 v1, s17, v1, s17
	s_delay_alu instid0(VALU_DEP_1) | instskip(SKIP_2) | instid1(SALU_CYCLE_1)
	s_cmp_lg_u32 s17, 0
	s_addc_u32 s12, s12, s18
	s_ashr_i32 s18, s3, 31
	s_add_u32 s22, s11, s18
	s_addc_u32 s23, s3, s18
	v_readfirstlane_b32 s3, v1
	s_mov_b32 s19, s18
	s_delay_alu instid0(SALU_CYCLE_1) | instskip(NEXT) | instid1(SALU_CYCLE_1)
	s_xor_b64 s[22:23], s[22:23], s[18:19]
	s_mul_i32 s21, s22, s12
	s_delay_alu instid0(VALU_DEP_1)
	s_mul_hi_u32 s24, s22, s3
	s_mul_hi_u32 s17, s22, s12
	;; [unrolled: 1-line block ×3, first 2 shown]
	s_mul_i32 s3, s23, s3
	s_add_u32 s21, s24, s21
	s_addc_u32 s17, 0, s17
	s_mul_hi_u32 s25, s23, s12
	s_add_u32 s3, s21, s3
	s_mul_i32 s12, s23, s12
	s_addc_u32 s3, s17, s26
	s_addc_u32 s17, s25, 0
	s_add_u32 s3, s3, s12
	s_addc_u32 s12, 0, s17
	s_mul_i32 s21, s20, s3
	s_add_u32 s17, s3, 1
	v_sub_co_u32 v1, s21, s22, s21
	s_mul_hi_u32 s22, s20, s3
	s_addc_u32 s24, s12, 0
	s_mul_i32 s25, s20, s12
	s_delay_alu instid0(VALU_DEP_1)
	v_sub_co_u32 v2, s26, v1, s20
	s_add_u32 s27, s3, 2
	s_addc_u32 s28, s12, 0
	s_add_i32 s22, s22, s25
	s_cmp_lg_u32 s21, 0
	v_readfirstlane_b32 s21, v2
	s_subb_u32 s22, s23, s22
	s_cmp_lg_u32 s26, 0
	s_subb_u32 s23, s22, 0
	s_delay_alu instid0(VALU_DEP_1) | instskip(SKIP_4) | instid1(SALU_CYCLE_1)
	s_cmp_ge_u32 s21, s20
	s_cselect_b32 s21, -1, 0
	s_cmp_eq_u32 s23, 0
	v_readfirstlane_b32 s23, v1
	s_cselect_b32 s21, s21, -1
	s_cmp_lg_u32 s21, 0
	s_cselect_b32 s17, s27, s17
	s_cselect_b32 s21, s28, s24
	s_cmp_ge_u32 s23, s20
	s_cselect_b32 s23, -1, 0
	s_cmp_eq_u32 s22, 0
	s_cselect_b32 s22, s23, -1
	s_delay_alu instid0(SALU_CYCLE_1) | instskip(SKIP_2) | instid1(SALU_CYCLE_1)
	s_cmp_lg_u32 s22, 0
	s_cselect_b32 s23, s21, s12
	s_cselect_b32 s22, s17, s3
	s_xor_b64 s[22:23], s[22:23], s[18:19]
	s_delay_alu instid0(SALU_CYCLE_1)
	s_sub_u32 s18, s22, s18
	s_and_not1_b32 vcc_lo, exec_lo, s2
	s_cbranch_vccnz .LBB64_6
.LBB64_5:
	v_cvt_f32_u32_e32 v1, s20
	s_sub_i32 s3, 0, s20
	s_delay_alu instid0(VALU_DEP_1) | instskip(SKIP_2) | instid1(VALU_DEP_1)
	v_rcp_iflag_f32_e32 v1, v1
	s_waitcnt_depctr 0xfff
	v_mul_f32_e32 v1, 0x4f7ffffe, v1
	v_cvt_u32_f32_e32 v1, v1
	s_delay_alu instid0(VALU_DEP_1) | instskip(NEXT) | instid1(VALU_DEP_1)
	v_readfirstlane_b32 s2, v1
	s_mul_i32 s3, s3, s2
	s_delay_alu instid0(SALU_CYCLE_1) | instskip(NEXT) | instid1(SALU_CYCLE_1)
	s_mul_hi_u32 s3, s2, s3
	s_add_i32 s2, s2, s3
	s_delay_alu instid0(SALU_CYCLE_1) | instskip(NEXT) | instid1(SALU_CYCLE_1)
	s_mul_hi_u32 s2, s11, s2
	s_mul_i32 s3, s2, s20
	s_delay_alu instid0(SALU_CYCLE_1)
	s_sub_i32 s3, s11, s3
	s_add_i32 s11, s2, 1
	s_sub_i32 s12, s3, s20
	s_cmp_ge_u32 s3, s20
	s_cselect_b32 s2, s11, s2
	s_cselect_b32 s3, s12, s3
	s_add_i32 s11, s2, 1
	s_cmp_ge_u32 s3, s20
	s_cselect_b32 s18, s11, s2
.LBB64_6:
	s_delay_alu instid0(SALU_CYCLE_1) | instskip(SKIP_3) | instid1(SALU_CYCLE_1)
	s_cmp_eq_u32 s16, s18
	s_mul_hi_u32 s2, s16, s8
	s_cselect_b32 s3, -1, 0
	s_add_i32 s2, s2, s16
	s_lshr_b32 s11, s2, s9
	s_delay_alu instid0(SALU_CYCLE_1) | instskip(NEXT) | instid1(SALU_CYCLE_1)
	s_mul_i32 s2, s11, s10
	s_cmp_eq_u32 s2, s16
	s_mul_hi_u32 s2, s18, s8
	s_cselect_b32 s12, -1, 0
	s_add_i32 s2, s2, s18
	s_delay_alu instid0(SALU_CYCLE_1) | instskip(NEXT) | instid1(SALU_CYCLE_1)
	s_lshr_b32 s2, s2, s9
	s_cmp_eq_u32 s11, s2
	s_mul_i32 s2, s2, s10
	s_cselect_b32 s17, -1, 0
	s_cmp_lg_u32 s2, s18
	s_cselect_b32 s2, -1, 0
	s_or_b32 s3, s3, s12
	s_and_b32 s2, s17, s2
	s_delay_alu instid0(SALU_CYCLE_1) | instskip(NEXT) | instid1(SALU_CYCLE_1)
	s_or_b32 s2, s3, s2
	s_and_b32 vcc_lo, exec_lo, s2
	s_cbranch_vccnz .LBB64_24
; %bb.7:
	s_load_b256 s[24:31], s[0:1], 0x20
	s_waitcnt lgkmcnt(0)
	s_mul_hi_u32 s2, s16, s24
	s_delay_alu instid0(SALU_CYCLE_1) | instskip(NEXT) | instid1(SALU_CYCLE_1)
	s_add_i32 s2, s2, s16
	s_lshr_b32 s17, s2, s25
	s_load_b32 s2, s[0:1], 0x40
	s_mul_i32 s3, s17, s26
	s_delay_alu instid0(SALU_CYCLE_1) | instskip(NEXT) | instid1(SALU_CYCLE_1)
	s_sub_i32 s3, s16, s3
	s_mul_hi_u32 s12, s3, s27
	s_delay_alu instid0(SALU_CYCLE_1) | instskip(NEXT) | instid1(SALU_CYCLE_1)
	s_add_i32 s12, s3, s12
	s_lshr_b32 s19, s12, s28
	s_delay_alu instid0(SALU_CYCLE_1) | instskip(NEXT) | instid1(SALU_CYCLE_1)
	s_mul_i32 s12, s19, s29
	s_sub_i32 s3, s3, s12
	s_delay_alu instid0(SALU_CYCLE_1) | instskip(NEXT) | instid1(SALU_CYCLE_1)
	s_mul_hi_u32 s12, s3, s30
	s_add_i32 s12, s3, s12
	s_delay_alu instid0(SALU_CYCLE_1) | instskip(SKIP_3) | instid1(SALU_CYCLE_1)
	s_lshr_b32 s21, s12, s31
	s_mov_b32 s12, 0
	s_waitcnt lgkmcnt(0)
	s_mul_i32 s2, s21, s2
	s_sub_i32 s2, s3, s2
	s_delay_alu instid0(SALU_CYCLE_1) | instskip(NEXT) | instid1(SALU_CYCLE_1)
	s_mul_hi_u32 s3, s2, s8
	s_add_i32 s2, s2, s3
	s_delay_alu instid0(SALU_CYCLE_1) | instskip(NEXT) | instid1(SALU_CYCLE_1)
	s_lshr_b32 s18, s2, s9
	s_lshl_b32 s2, s18, 3
	s_delay_alu instid0(SALU_CYCLE_1) | instskip(NEXT) | instid1(SALU_CYCLE_1)
	s_add_i32 s2, s2, s14
	s_cmp_lt_i32 s2, s4
	s_cselect_b32 s2, -1, 0
	s_add_i32 s21, s21, s15
	s_delay_alu instid0(SALU_CYCLE_1) | instskip(SKIP_1) | instid1(SALU_CYCLE_1)
	s_cmp_lt_i32 s21, s6
	s_cselect_b32 s3, -1, 0
	s_and_b32 s2, s2, s3
	s_delay_alu instid0(SALU_CYCLE_1)
	s_and_not1_b32 vcc_lo, exec_lo, s2
	s_cbranch_vccnz .LBB64_24
; %bb.8:
	s_load_b128 s[0:3], s[0:1], 0x0
	s_lshl_b32 s22, s20, 5
	s_mov_b32 s23, s12
	s_add_i32 s15, s14, s15
	s_lshl_b64 s[22:23], s[22:23], 2
	s_mul_i32 s4, s17, s4
	s_mul_i32 s19, s19, s6
	v_cvt_f32_ubyte0_e32 v3, 0
	v_cvt_f32_u32_e32 v4, s20
	s_waitcnt lgkmcnt(0)
	s_add_u32 s6, s2, s22
	s_addc_u32 s17, s3, s23
	s_add_i32 s4, s4, s14
	s_add_i32 s14, s21, s19
	s_mul_i32 s4, s4, s5
	s_mul_i32 s5, s5, s18
	s_add_i32 s4, s14, s4
	s_mulk_i32 s5, 0x280
	s_mulk_i32 s4, 0x50
	s_delay_alu instid0(SALU_CYCLE_1) | instskip(NEXT) | instid1(VALU_DEP_1)
	v_add3_u32 v1, s5, s4, v0
	v_ashrrev_i32_e32 v2, 31, v1
	s_delay_alu instid0(VALU_DEP_1) | instskip(NEXT) | instid1(VALU_DEP_1)
	v_lshlrev_b64 v[1:2], 2, v[1:2]
	v_add_co_u32 v1, vcc_lo, s0, v1
	s_delay_alu instid0(VALU_DEP_2) | instskip(SKIP_1) | instid1(SALU_CYCLE_1)
	v_add_co_ci_u32_e32 v2, vcc_lo, s1, v2, vcc_lo
	s_lshl_b32 s0, s13, 3
	s_add_i32 s0, s0, s15
	global_load_b32 v5, v[1:2], off
	s_ashr_i32 s1, s0, 31
	s_delay_alu instid0(SALU_CYCLE_1) | instskip(NEXT) | instid1(SALU_CYCLE_1)
	s_lshl_b64 s[0:1], s[0:1], 3
	s_add_u32 s0, s2, s0
	s_addc_u32 s1, s3, s1
	s_add_i32 s18, s13, -1
	s_load_b64 s[0:1], s[0:1], 0x0
	v_fmac_f32_e32 v4, 0x4f800000, v3
	s_sub_i32 s14, 0, s20
	s_delay_alu instid0(VALU_DEP_1)
	v_rcp_f32_e32 v3, v4
	s_waitcnt_depctr 0xfff
	v_mul_f32_e32 v6, 0x5f7ffffc, v3
	v_cvt_f32_u32_e32 v3, s20
	s_waitcnt lgkmcnt(0)
	v_mov_b32_e32 v8, s0
	s_delay_alu instid0(VALU_DEP_3) | instskip(NEXT) | instid1(VALU_DEP_3)
	v_mul_f32_e32 v4, 0x2f800000, v6
	v_rcp_iflag_f32_e32 v7, v3
	s_delay_alu instid0(VALU_DEP_1) | instskip(SKIP_1) | instid1(VALU_DEP_2)
	v_trunc_f32_e32 v9, v4
	v_mad_u64_u32 v[3:4], null, 0x50, s15, v[0:1]
	v_fmac_f32_e32 v6, 0xcf800000, v9
	s_waitcnt_depctr 0xfff
	v_dual_mul_f32 v10, 0x4f7ffffe, v7 :: v_dual_mov_b32 v7, s1
	v_cvt_u32_f32_e32 v4, v9
	v_cvt_u32_f32_e32 v0, v6
	s_delay_alu instid0(VALU_DEP_3)
	v_cvt_u32_f32_e32 v6, v10
.LBB64_9:                               ; =>This Inner Loop Header: Depth=1
	s_mul_hi_i32 s13, s18, s7
	s_mul_i32 s4, s18, s7
	s_cmp_lg_u64 s[12:13], 0
	s_mov_b32 s5, -1
                                        ; implicit-def: $sgpr0_sgpr1
	s_cbranch_scc0 .LBB64_11
; %bb.10:                               ;   in Loop: Header=BB64_9 Depth=1
	v_readfirstlane_b32 s0, v0
	v_readfirstlane_b32 s1, v4
	s_sub_u32 s5, 0, s20
	s_subb_u32 s19, 0, 0
	s_delay_alu instid0(VALU_DEP_2) | instskip(NEXT) | instid1(VALU_DEP_1)
	s_mul_hi_u32 s21, s5, s0
	s_mul_i32 s22, s5, s1
	s_mul_i32 s23, s19, s0
	s_add_i32 s21, s21, s22
	s_mul_i32 s22, s5, s0
	s_add_i32 s21, s21, s23
	s_mul_hi_u32 s23, s0, s22
	s_mul_i32 s24, s0, s21
	s_mul_hi_u32 s0, s0, s21
	s_add_u32 s23, s23, s24
	s_mul_i32 s25, s1, s22
	s_addc_u32 s0, 0, s0
	s_mul_hi_u32 s22, s1, s22
	s_mul_hi_u32 s24, s1, s21
	s_add_u32 s23, s23, s25
	s_addc_u32 s0, s0, s22
	s_mul_i32 s21, s1, s21
	s_addc_u32 s22, s24, 0
	s_add_u32 s0, s0, s21
	s_addc_u32 s21, 0, s22
	v_add_co_u32 v9, s0, v0, s0
	s_delay_alu instid0(VALU_DEP_1) | instskip(SKIP_1) | instid1(VALU_DEP_1)
	s_cmp_lg_u32 s0, 0
	s_addc_u32 s1, s1, s21
	v_readfirstlane_b32 s0, v9
	s_mul_i32 s21, s5, s1
	s_delay_alu instid0(VALU_DEP_1)
	s_mul_hi_u32 s22, s5, s0
	s_mul_i32 s19, s19, s0
	s_add_i32 s21, s22, s21
	s_mul_i32 s5, s5, s0
	s_add_i32 s21, s21, s19
	s_mul_hi_u32 s19, s1, s5
	s_mul_i32 s23, s1, s5
	s_mul_i32 s24, s0, s21
	s_mul_hi_u32 s5, s0, s5
	s_mul_hi_u32 s0, s0, s21
	s_add_u32 s5, s5, s24
	s_addc_u32 s0, 0, s0
	s_mul_hi_u32 s22, s1, s21
	s_add_u32 s5, s5, s23
	s_addc_u32 s0, s0, s19
	s_mul_i32 s5, s1, s21
	s_addc_u32 s19, s22, 0
	s_add_u32 s0, s0, s5
	s_addc_u32 s5, 0, s19
	v_add_co_u32 v9, s0, v9, s0
	s_delay_alu instid0(VALU_DEP_1) | instskip(SKIP_2) | instid1(SALU_CYCLE_1)
	s_cmp_lg_u32 s0, 0
	s_addc_u32 s5, s1, s5
	s_ashr_i32 s0, s13, 31
	s_add_u32 s22, s4, s0
	s_addc_u32 s23, s13, s0
	v_readfirstlane_b32 s13, v9
	s_mov_b32 s1, s0
	s_delay_alu instid0(SALU_CYCLE_1) | instskip(NEXT) | instid1(SALU_CYCLE_1)
	s_xor_b64 s[22:23], s[22:23], s[0:1]
	s_mul_i32 s19, s22, s5
	s_delay_alu instid0(VALU_DEP_1)
	s_mul_hi_u32 s21, s22, s13
	s_mul_hi_u32 s24, s22, s5
	s_add_u32 s19, s21, s19
	s_mul_i32 s25, s23, s13
	s_addc_u32 s21, 0, s24
	s_mul_hi_u32 s13, s23, s13
	s_mul_hi_u32 s24, s23, s5
	s_add_u32 s19, s19, s25
	s_addc_u32 s13, s21, s13
	s_mul_i32 s5, s23, s5
	s_addc_u32 s19, s24, 0
	s_add_u32 s5, s13, s5
	s_addc_u32 s13, 0, s19
	s_mul_i32 s21, s20, s5
	s_add_u32 s19, s5, 1
	v_sub_co_u32 v9, s21, s22, s21
	s_addc_u32 s22, s13, 0
	s_mul_i32 s25, s20, s13
	s_mul_hi_u32 s27, s20, s5
	s_delay_alu instid0(VALU_DEP_1)
	v_sub_co_u32 v10, s26, v9, s20
	s_add_u32 s24, s5, 2
	s_addc_u32 s28, s13, 0
	s_add_i32 s27, s27, s25
	s_cmp_lg_u32 s21, 0
	v_readfirstlane_b32 s21, v10
	s_subb_u32 s23, s23, s27
	s_cmp_lg_u32 s26, 0
	s_subb_u32 s25, s23, 0
	s_delay_alu instid0(VALU_DEP_1) | instskip(SKIP_4) | instid1(SALU_CYCLE_1)
	s_cmp_ge_u32 s21, s20
	s_cselect_b32 s21, -1, 0
	s_cmp_eq_u32 s25, 0
	v_readfirstlane_b32 s25, v9
	s_cselect_b32 s21, s21, -1
	s_cmp_lg_u32 s21, 0
	s_cselect_b32 s19, s24, s19
	s_cselect_b32 s21, s28, s22
	s_cmp_ge_u32 s25, s20
	s_cselect_b32 s22, -1, 0
	s_cmp_eq_u32 s23, 0
	s_cselect_b32 s22, s22, -1
	s_delay_alu instid0(SALU_CYCLE_1) | instskip(SKIP_4) | instid1(SALU_CYCLE_1)
	s_cmp_lg_u32 s22, 0
	s_cselect_b32 s23, s21, s13
	s_cselect_b32 s22, s19, s5
	s_mov_b32 s5, 0
	s_xor_b64 s[22:23], s[22:23], s[0:1]
	s_sub_u32 s0, s22, s0
.LBB64_11:                              ;   in Loop: Header=BB64_9 Depth=1
	s_and_not1_b32 vcc_lo, exec_lo, s5
	s_cbranch_vccnz .LBB64_13
; %bb.12:                               ;   in Loop: Header=BB64_9 Depth=1
	v_readfirstlane_b32 s0, v6
	s_delay_alu instid0(VALU_DEP_1) | instskip(NEXT) | instid1(SALU_CYCLE_1)
	s_mul_i32 s1, s14, s0
	s_mul_hi_u32 s1, s0, s1
	s_delay_alu instid0(SALU_CYCLE_1) | instskip(NEXT) | instid1(SALU_CYCLE_1)
	s_add_i32 s0, s0, s1
	s_mul_hi_u32 s0, s4, s0
	s_delay_alu instid0(SALU_CYCLE_1) | instskip(NEXT) | instid1(SALU_CYCLE_1)
	s_mul_i32 s1, s0, s20
	s_sub_i32 s1, s4, s1
	s_add_i32 s4, s0, 1
	s_sub_i32 s5, s1, s20
	s_cmp_ge_u32 s1, s20
	s_cselect_b32 s0, s4, s0
	s_cselect_b32 s1, s5, s1
	s_add_i32 s4, s0, 1
	s_cmp_ge_u32 s1, s20
	s_cselect_b32 s0, s4, s0
.LBB64_13:                              ;   in Loop: Header=BB64_9 Depth=1
	s_delay_alu instid0(SALU_CYCLE_1)
	s_cmp_lg_u32 s16, s0
	s_cbranch_scc0 .LBB64_17
; %bb.14:                               ;   in Loop: Header=BB64_9 Depth=1
	s_add_i32 s1, s18, s20
	s_mov_b32 s5, s12
	s_lshl_b32 s1, s1, 3
	s_mov_b32 s19, s16
	s_add_i32 s4, s1, s15
	s_mul_hi_u32 s1, s0, s8
	s_lshl_b64 s[4:5], s[4:5], 3
	s_delay_alu instid0(SALU_CYCLE_1) | instskip(SKIP_2) | instid1(SALU_CYCLE_1)
	s_add_u32 s4, s2, s4
	s_addc_u32 s5, s3, s5
	s_add_i32 s1, s1, s0
	s_lshr_b32 s1, s1, s9
	s_delay_alu instid0(SALU_CYCLE_1) | instskip(NEXT) | instid1(SALU_CYCLE_1)
	s_mul_i32 s13, s1, s10
	s_cmp_eq_u32 s13, s0
	s_cselect_b32 s13, -1, 0
	s_cmp_lt_u32 s1, s11
	s_cselect_b32 s1, -1, 0
	s_delay_alu instid0(SALU_CYCLE_1)
	s_or_b32 s1, s1, s13
	s_mov_b32 s13, -1
	s_and_b32 vcc_lo, exec_lo, s1
	s_mov_b32 s1, s18
	s_cbranch_vccnz .LBB64_16
; %bb.15:                               ;   in Loop: Header=BB64_9 Depth=1
	s_add_i32 s1, s18, -1
	s_mov_b32 s13, 0
	s_mov_b32 s19, s0
.LBB64_16:                              ;   in Loop: Header=BB64_9 Depth=1
	v_mad_u64_u32 v[9:10], null, 0x280, s18, v[3:4]
	s_load_b64 s[4:5], s[4:5], 0x0
	s_delay_alu instid0(VALU_DEP_1) | instskip(NEXT) | instid1(VALU_DEP_1)
	v_ashrrev_i32_e32 v10, 31, v9
	v_lshlrev_b64 v[9:10], 2, v[9:10]
	s_delay_alu instid0(VALU_DEP_1) | instskip(NEXT) | instid1(VALU_DEP_2)
	v_add_co_u32 v9, vcc_lo, s6, v9
	v_add_co_ci_u32_e32 v10, vcc_lo, s17, v10, vcc_lo
	s_waitcnt lgkmcnt(0)
	v_max_f32_e64 v11, s4, s4
	global_load_b32 v10, v[9:10], off
	v_max_f32_e32 v9, v8, v8
	s_delay_alu instid0(VALU_DEP_1) | instskip(NEXT) | instid1(VALU_DEP_1)
	v_max_f32_e32 v9, v9, v11
	v_sub_f32_e32 v12, v8, v9
	s_delay_alu instid0(VALU_DEP_1) | instskip(NEXT) | instid1(VALU_DEP_1)
	v_dual_mul_f32 v14, 0x3fb8aa3b, v12 :: v_dual_sub_f32 v11, s4, v9
	v_rndne_f32_e32 v18, v14
	s_delay_alu instid0(VALU_DEP_2) | instskip(SKIP_2) | instid1(VALU_DEP_4)
	v_mul_f32_e32 v13, 0x3fb8aa3b, v11
	v_fma_f32 v17, 0x3fb8aa3b, v12, -v14
	v_cmp_ngt_f32_e32 vcc_lo, 0xc2ce8ed0, v11
	v_sub_f32_e32 v14, v14, v18
	s_delay_alu instid0(VALU_DEP_4) | instskip(SKIP_2) | instid1(VALU_DEP_3)
	v_fma_f32 v15, 0x3fb8aa3b, v11, -v13
	v_rndne_f32_e32 v16, v13
	v_fmac_f32_e32 v17, 0x32a5705f, v12
	v_fmac_f32_e32 v15, 0x32a5705f, v11
	s_delay_alu instid0(VALU_DEP_2) | instskip(NEXT) | instid1(VALU_DEP_1)
	v_dual_sub_f32 v13, v13, v16 :: v_dual_add_f32 v14, v14, v17
	v_add_f32_e32 v13, v13, v15
	s_delay_alu instid0(VALU_DEP_2) | instskip(SKIP_2) | instid1(VALU_DEP_3)
	v_exp_f32_e32 v14, v14
	v_cvt_i32_f32_e32 v15, v16
	v_cvt_i32_f32_e32 v16, v18
	v_exp_f32_e32 v13, v13
	s_waitcnt_depctr 0xfff
	v_ldexp_f32 v14, v14, v16
	v_ldexp_f32 v13, v13, v15
	s_delay_alu instid0(VALU_DEP_1) | instskip(SKIP_1) | instid1(VALU_DEP_4)
	v_cndmask_b32_e32 v13, 0, v13, vcc_lo
	v_cmp_ngt_f32_e32 vcc_lo, 0xc2ce8ed0, v12
	v_cndmask_b32_e32 v14, 0, v14, vcc_lo
	v_cmp_nlt_f32_e32 vcc_lo, 0x42b17218, v11
	s_delay_alu instid0(VALU_DEP_4) | instskip(SKIP_1) | instid1(VALU_DEP_4)
	v_cndmask_b32_e32 v13, 0x7f800000, v13, vcc_lo
	v_cmp_nlt_f32_e32 vcc_lo, 0x42b17218, v12
	v_cndmask_b32_e32 v14, 0x7f800000, v14, vcc_lo
	v_cmp_le_f32_e32 vcc_lo, 0xc1a00000, v11
	s_delay_alu instid0(VALU_DEP_4) | instskip(SKIP_1) | instid1(VALU_DEP_4)
	v_cndmask_b32_e32 v11, 0, v13, vcc_lo
	v_cmp_le_f32_e32 vcc_lo, 0xc1a00000, v12
	v_cndmask_b32_e32 v12, 0, v14, vcc_lo
	s_waitcnt vmcnt(0)
	s_delay_alu instid0(VALU_DEP_3) | instskip(NEXT) | instid1(VALU_DEP_1)
	v_mul_f32_e32 v10, v10, v11
	v_dual_mul_f32 v11, s5, v11 :: v_dual_fmac_f32 v10, v5, v12
	s_delay_alu instid0(VALU_DEP_1)
	v_fmac_f32_e32 v11, v7, v12
	s_cbranch_execz .LBB64_18
	s_branch .LBB64_19
.LBB64_17:                              ;   in Loop: Header=BB64_9 Depth=1
                                        ; implicit-def: $sgpr13
                                        ; implicit-def: $vgpr10
                                        ; implicit-def: $vgpr9
                                        ; implicit-def: $vgpr11
                                        ; implicit-def: $sgpr1
                                        ; implicit-def: $sgpr19
.LBB64_18:                              ;   in Loop: Header=BB64_9 Depth=1
	s_waitcnt vmcnt(0)
	v_dual_mov_b32 v11, v7 :: v_dual_mov_b32 v10, v5
	v_mov_b32_e32 v9, v8
	s_add_i32 s1, s18, -1
	s_mov_b32 s13, 0
	s_mov_b32 s19, s16
.LBB64_19:                              ;   in Loop: Header=BB64_9 Depth=1
	s_and_not1_b32 vcc_lo, exec_lo, s13
	s_cbranch_vccz .LBB64_23
; %bb.20:                               ;   in Loop: Header=BB64_9 Depth=1
	v_dual_mov_b32 v7, v11 :: v_dual_mov_b32 v8, v9
	s_waitcnt vmcnt(0)
	v_mov_b32_e32 v5, v10
	s_mov_b32 s16, s19
	s_mov_b32 s18, s1
	s_branch .LBB64_9
.LBB64_21:
                                        ; implicit-def: $sgpr16_sgpr17
	s_load_b128 s[8:11], s[0:1], 0x44
	s_branch .LBB64_2
.LBB64_22:
                                        ; implicit-def: $sgpr18_sgpr19
	s_branch .LBB64_5
.LBB64_23:
	v_div_scale_f32 v0, null, v11, v11, v10
	s_delay_alu instid0(VALU_DEP_1) | instskip(SKIP_2) | instid1(VALU_DEP_1)
	v_rcp_f32_e32 v3, v0
	s_waitcnt_depctr 0xfff
	v_fma_f32 v4, -v0, v3, 1.0
	v_fmac_f32_e32 v3, v4, v3
	v_div_scale_f32 v4, vcc_lo, v10, v11, v10
	s_waitcnt vmcnt(0)
	s_delay_alu instid0(VALU_DEP_1) | instskip(NEXT) | instid1(VALU_DEP_1)
	v_mul_f32_e32 v5, v4, v3
	v_fma_f32 v6, -v0, v5, v4
	s_delay_alu instid0(VALU_DEP_1) | instskip(NEXT) | instid1(VALU_DEP_1)
	v_fmac_f32_e32 v5, v6, v3
	v_fma_f32 v0, -v0, v5, v4
	s_delay_alu instid0(VALU_DEP_1) | instskip(NEXT) | instid1(VALU_DEP_1)
	v_div_fmas_f32 v0, v0, v3, v5
	v_div_fixup_f32 v0, v0, v11, v10
	global_store_b32 v[1:2], v0, off
.LBB64_24:
	s_nop 0
	s_sendmsg sendmsg(MSG_DEALLOC_VGPRS)
	s_endpgm
	.section	.rodata,"a",@progbits
	.p2align	6, 0x0
	.amdhsa_kernel _ZL33flash_attn_stream_k_fixup_generalILi80ELi8ELi1EEvPfPK15HIP_vector_typeIfLj2EEiiiiS1_IjLj3EES5_S5_S5_
		.amdhsa_group_segment_fixed_size 0
		.amdhsa_private_segment_fixed_size 0
		.amdhsa_kernarg_size 336
		.amdhsa_user_sgpr_count 13
		.amdhsa_user_sgpr_dispatch_ptr 0
		.amdhsa_user_sgpr_queue_ptr 0
		.amdhsa_user_sgpr_kernarg_segment_ptr 1
		.amdhsa_user_sgpr_dispatch_id 0
		.amdhsa_user_sgpr_private_segment_size 0
		.amdhsa_wavefront_size32 1
		.amdhsa_uses_dynamic_stack 0
		.amdhsa_enable_private_segment 0
		.amdhsa_system_sgpr_workgroup_id_x 1
		.amdhsa_system_sgpr_workgroup_id_y 1
		.amdhsa_system_sgpr_workgroup_id_z 1
		.amdhsa_system_sgpr_workgroup_info 0
		.amdhsa_system_vgpr_workitem_id 0
		.amdhsa_next_free_vgpr 19
		.amdhsa_next_free_sgpr 32
		.amdhsa_reserve_vcc 1
		.amdhsa_float_round_mode_32 0
		.amdhsa_float_round_mode_16_64 0
		.amdhsa_float_denorm_mode_32 3
		.amdhsa_float_denorm_mode_16_64 3
		.amdhsa_dx10_clamp 1
		.amdhsa_ieee_mode 1
		.amdhsa_fp16_overflow 0
		.amdhsa_workgroup_processor_mode 1
		.amdhsa_memory_ordered 1
		.amdhsa_forward_progress 0
		.amdhsa_shared_vgpr_count 0
		.amdhsa_exception_fp_ieee_invalid_op 0
		.amdhsa_exception_fp_denorm_src 0
		.amdhsa_exception_fp_ieee_div_zero 0
		.amdhsa_exception_fp_ieee_overflow 0
		.amdhsa_exception_fp_ieee_underflow 0
		.amdhsa_exception_fp_ieee_inexact 0
		.amdhsa_exception_int_div_zero 0
	.end_amdhsa_kernel
	.section	.text._ZL33flash_attn_stream_k_fixup_generalILi80ELi8ELi1EEvPfPK15HIP_vector_typeIfLj2EEiiiiS1_IjLj3EES5_S5_S5_,"axG",@progbits,_ZL33flash_attn_stream_k_fixup_generalILi80ELi8ELi1EEvPfPK15HIP_vector_typeIfLj2EEiiiiS1_IjLj3EES5_S5_S5_,comdat
.Lfunc_end64:
	.size	_ZL33flash_attn_stream_k_fixup_generalILi80ELi8ELi1EEvPfPK15HIP_vector_typeIfLj2EEiiiiS1_IjLj3EES5_S5_S5_, .Lfunc_end64-_ZL33flash_attn_stream_k_fixup_generalILi80ELi8ELi1EEvPfPK15HIP_vector_typeIfLj2EEiiiiS1_IjLj3EES5_S5_S5_
                                        ; -- End function
	.section	.AMDGPU.csdata,"",@progbits
; Kernel info:
; codeLenInByte = 3220
; NumSgprs: 34
; NumVgprs: 19
; ScratchSize: 0
; MemoryBound: 0
; FloatMode: 240
; IeeeMode: 1
; LDSByteSize: 0 bytes/workgroup (compile time only)
; SGPRBlocks: 4
; VGPRBlocks: 2
; NumSGPRsForWavesPerEU: 34
; NumVGPRsForWavesPerEU: 19
; Occupancy: 16
; WaveLimiterHint : 0
; COMPUTE_PGM_RSRC2:SCRATCH_EN: 0
; COMPUTE_PGM_RSRC2:USER_SGPR: 13
; COMPUTE_PGM_RSRC2:TRAP_HANDLER: 0
; COMPUTE_PGM_RSRC2:TGID_X_EN: 1
; COMPUTE_PGM_RSRC2:TGID_Y_EN: 1
; COMPUTE_PGM_RSRC2:TGID_Z_EN: 1
; COMPUTE_PGM_RSRC2:TIDIG_COMP_CNT: 0
	.section	.text._ZL15flash_attn_tileILi80ELi80ELi4ELi1ELb0EEvPKcS1_S1_S1_S1_PKiPfP15HIP_vector_typeIfLj2EEffffjfiS5_IjLj3EEiiiiiiiiiiiliiliiiiil,"axG",@progbits,_ZL15flash_attn_tileILi80ELi80ELi4ELi1ELb0EEvPKcS1_S1_S1_S1_PKiPfP15HIP_vector_typeIfLj2EEffffjfiS5_IjLj3EEiiiiiiiiiiiliiliiiiil,comdat
	.globl	_ZL15flash_attn_tileILi80ELi80ELi4ELi1ELb0EEvPKcS1_S1_S1_S1_PKiPfP15HIP_vector_typeIfLj2EEffffjfiS5_IjLj3EEiiiiiiiiiiiliiliiiiil ; -- Begin function _ZL15flash_attn_tileILi80ELi80ELi4ELi1ELb0EEvPKcS1_S1_S1_S1_PKiPfP15HIP_vector_typeIfLj2EEffffjfiS5_IjLj3EEiiiiiiiiiiiliiliiiiil
	.p2align	8
	.type	_ZL15flash_attn_tileILi80ELi80ELi4ELi1ELb0EEvPKcS1_S1_S1_S1_PKiPfP15HIP_vector_typeIfLj2EEffffjfiS5_IjLj3EEiiiiiiiiiiiliiliiiiil,@function
_ZL15flash_attn_tileILi80ELi80ELi4ELi1ELb0EEvPKcS1_S1_S1_S1_PKiPfP15HIP_vector_typeIfLj2EEffffjfiS5_IjLj3EEiiiiiiiiiiiliiliiiiil: ; @_ZL15flash_attn_tileILi80ELi80ELi4ELi1ELb0EEvPKcS1_S1_S1_S1_PKiPfP15HIP_vector_typeIfLj2EEffffjfiS5_IjLj3EEiiiiiiiiiiiliiliiiiil
; %bb.0:
	s_clause 0x1
	s_load_b128 s[36:39], s[2:3], 0x5c
	s_load_b64 s[42:43], s[2:3], 0x80
	s_mov_b64 s[40:41], 0
	s_waitcnt lgkmcnt(0)
	v_cvt_f32_u32_e32 v1, s39
	s_sub_i32 s5, 0, s39
	s_delay_alu instid0(VALU_DEP_1) | instskip(SKIP_2) | instid1(VALU_DEP_1)
	v_rcp_iflag_f32_e32 v1, v1
	s_waitcnt_depctr 0xfff
	v_mul_f32_e32 v1, 0x4f7ffffe, v1
	v_cvt_u32_f32_e32 v1, v1
	s_delay_alu instid0(VALU_DEP_1) | instskip(NEXT) | instid1(VALU_DEP_1)
	v_readfirstlane_b32 s4, v1
	s_mul_i32 s5, s5, s4
	s_delay_alu instid0(SALU_CYCLE_1) | instskip(NEXT) | instid1(SALU_CYCLE_1)
	s_mul_hi_u32 s5, s4, s5
	s_add_i32 s4, s4, s5
	s_delay_alu instid0(SALU_CYCLE_1) | instskip(NEXT) | instid1(SALU_CYCLE_1)
	s_mul_hi_u32 s4, s15, s4
	s_mul_i32 s5, s4, s39
	s_add_i32 s6, s4, 1
	s_sub_i32 s5, s15, s5
	s_delay_alu instid0(SALU_CYCLE_1)
	s_sub_i32 s7, s5, s39
	s_cmp_ge_u32 s5, s39
	s_cselect_b32 s4, s6, s4
	s_cselect_b32 s5, s7, s5
	s_add_i32 s6, s4, 1
	s_cmp_ge_u32 s5, s39
	s_cselect_b32 s12, s6, s4
	s_abs_i32 s4, s43
	s_abs_i32 s8, s39
	v_cvt_f32_u32_e32 v1, s4
	s_sub_i32 s6, 0, s4
	s_xor_b32 s7, s39, s43
	s_delay_alu instid0(SALU_CYCLE_1) | instskip(NEXT) | instid1(VALU_DEP_1)
	s_ashr_i32 s7, s7, 31
	v_rcp_iflag_f32_e32 v1, v1
	s_waitcnt_depctr 0xfff
	v_mul_f32_e32 v1, 0x4f7ffffe, v1
	s_delay_alu instid0(VALU_DEP_1) | instskip(NEXT) | instid1(VALU_DEP_1)
	v_cvt_u32_f32_e32 v1, v1
	v_readfirstlane_b32 s5, v1
	s_delay_alu instid0(VALU_DEP_1) | instskip(NEXT) | instid1(SALU_CYCLE_1)
	s_mul_i32 s6, s6, s5
	s_mul_hi_u32 s6, s5, s6
	s_delay_alu instid0(SALU_CYCLE_1) | instskip(SKIP_4) | instid1(SALU_CYCLE_1)
	s_add_i32 s5, s5, s6
	s_mul_i32 s6, s12, s39
	s_mul_hi_u32 s5, s8, s5
	s_sub_i32 s34, s15, s6
	s_mul_i32 s9, s5, s4
	s_sub_i32 s6, s8, s9
	s_add_i32 s8, s5, 1
	s_sub_i32 s9, s6, s4
	s_cmp_ge_u32 s6, s4
	s_cselect_b32 s5, s8, s5
	s_cselect_b32 s6, s9, s6
	s_add_i32 s8, s5, 1
	s_cmp_ge_u32 s6, s4
	s_cselect_b32 s4, s8, s5
	s_delay_alu instid0(SALU_CYCLE_1) | instskip(NEXT) | instid1(SALU_CYCLE_1)
	s_xor_b32 s4, s4, s7
	s_sub_i32 s33, s4, s7
	s_clause 0x1
	s_load_b512 s[16:31], s[2:3], 0x0
	s_load_b64 s[6:7], s[2:3], 0xb8
	s_abs_i32 s15, s33
	s_delay_alu instid0(SALU_CYCLE_1) | instskip(SKIP_1) | instid1(VALU_DEP_1)
	v_cvt_f32_u32_e32 v1, s15
	s_sub_i32 s5, 0, s15
	v_rcp_iflag_f32_e32 v1, v1
	s_waitcnt_depctr 0xfff
	v_mul_f32_e32 v1, 0x4f7ffffe, v1
	s_waitcnt lgkmcnt(0)
	s_cmp_eq_u64 s[22:23], 0
	s_delay_alu instid0(VALU_DEP_1) | instskip(NEXT) | instid1(VALU_DEP_1)
	v_cvt_u32_f32_e32 v1, v1
	v_readfirstlane_b32 s4, v1
	s_delay_alu instid0(VALU_DEP_1) | instskip(NEXT) | instid1(SALU_CYCLE_1)
	s_mul_i32 s5, s5, s4
	s_mul_hi_u32 s5, s4, s5
	s_cbranch_scc1 .LBB65_2
; %bb.1:
	s_abs_i32 s6, s6
	s_abs_i32 s10, s12
	v_cvt_f32_u32_e32 v1, s6
	s_sub_i32 s9, 0, s6
	s_delay_alu instid0(VALU_DEP_1) | instskip(SKIP_2) | instid1(VALU_DEP_1)
	v_rcp_iflag_f32_e32 v1, v1
	s_waitcnt_depctr 0xfff
	v_mul_f32_e32 v1, 0x4f7ffffe, v1
	v_cvt_u32_f32_e32 v1, v1
	s_delay_alu instid0(VALU_DEP_1) | instskip(NEXT) | instid1(VALU_DEP_1)
	v_readfirstlane_b32 s8, v1
	s_mul_i32 s9, s9, s8
	s_delay_alu instid0(SALU_CYCLE_1) | instskip(NEXT) | instid1(SALU_CYCLE_1)
	s_mul_hi_u32 s9, s8, s9
	s_add_i32 s11, s8, s9
	s_load_b64 s[8:9], s[2:3], 0xc8
	s_mul_hi_u32 s11, s10, s11
	s_delay_alu instid0(SALU_CYCLE_1) | instskip(NEXT) | instid1(SALU_CYCLE_1)
	s_mul_i32 s11, s11, s6
	s_sub_i32 s10, s10, s11
	s_ashr_i32 s11, s12, 31
	s_sub_i32 s35, s10, s6
	s_cmp_ge_u32 s10, s6
	s_cselect_b32 s10, s35, s10
	s_delay_alu instid0(SALU_CYCLE_1) | instskip(SKIP_2) | instid1(SALU_CYCLE_1)
	s_sub_i32 s35, s10, s6
	s_cmp_ge_u32 s10, s6
	s_cselect_b32 s6, s35, s10
	s_xor_b32 s6, s6, s11
	s_delay_alu instid0(SALU_CYCLE_1)
	s_sub_i32 s6, s6, s11
	s_waitcnt lgkmcnt(0)
	s_mul_i32 s9, s6, s9
	s_mul_hi_u32 s10, s6, s8
	s_ashr_i32 s11, s6, 31
	s_add_i32 s9, s10, s9
	s_mul_i32 s11, s11, s8
	s_mul_i32 s6, s6, s8
	s_add_i32 s9, s9, s11
	s_add_u32 s40, s22, s6
	s_addc_u32 s41, s23, s9
.LBB65_2:
	s_clause 0x1
	s_load_b128 s[8:11], s[2:3], 0x40
	s_load_b32 s6, s[2:3], 0x50
	v_mov_b32_e32 v60, 1.0
	s_abs_i32 s23, s34
	s_waitcnt lgkmcnt(0)
	v_cmp_le_f32_e64 s9, s9, 0
	s_delay_alu instid0(VALU_DEP_1)
	s_and_b32 vcc_lo, exec_lo, s9
	s_add_i32 s9, s4, s5
	s_cbranch_vccnz .LBB65_4
; %bb.3:
	s_sub_i32 s4, s34, s6
	s_add_i32 s5, s34, 1
	s_lshl_b32 s4, s4, 1
	v_mov_b32_e32 v1, s10
	s_or_b32 s4, s4, 1
	s_cmp_lt_u32 s34, s6
	s_cselect_b32 vcc_lo, -1, 0
	s_delay_alu instid0(VALU_DEP_1)
	v_cndmask_b32_e32 v3, s11, v1, vcc_lo
	s_and_b32 s6, vcc_lo, exec_lo
	s_cselect_b32 s4, s5, s4
	s_mov_b32 s5, 0x3e76c4e1
	v_cvt_f32_i32_e32 v1, s4
	v_cmp_neq_f32_e32 vcc_lo, 1.0, v3
	s_delay_alu instid0(VALU_DEP_2) | instskip(NEXT) | instid1(VALU_DEP_1)
	v_cndmask_b32_e32 v4, 1.0, v1, vcc_lo
	v_cmp_eq_f32_e32 vcc_lo, 0, v4
	v_cndmask_b32_e64 v5, |v3|, 1.0, vcc_lo
	s_delay_alu instid0(VALU_DEP_1) | instskip(NEXT) | instid1(VALU_DEP_1)
	v_frexp_mant_f32_e32 v1, v5
	v_cmp_gt_f32_e64 s4, 0x3f2aaaab, v1
	s_delay_alu instid0(VALU_DEP_1) | instskip(NEXT) | instid1(VALU_DEP_1)
	v_cndmask_b32_e64 v2, 1.0, 2.0, s4
	v_mul_f32_e32 v1, v1, v2
	s_delay_alu instid0(VALU_DEP_1) | instskip(SKIP_1) | instid1(VALU_DEP_2)
	v_add_f32_e32 v2, 1.0, v1
	v_add_f32_e32 v7, -1.0, v1
	v_rcp_f32_e32 v6, v2
	s_waitcnt_depctr 0xfff
	v_mul_f32_e32 v8, v7, v6
	s_delay_alu instid0(VALU_DEP_1) | instskip(NEXT) | instid1(VALU_DEP_1)
	v_dual_add_f32 v9, -1.0, v2 :: v_dual_mul_f32 v10, v2, v8
	v_sub_f32_e32 v1, v1, v9
	v_cndmask_b32_e64 v3, v3, 1.0, vcc_lo
	s_delay_alu instid0(VALU_DEP_3) | instskip(NEXT) | instid1(VALU_DEP_2)
	v_fma_f32 v2, v8, v2, -v10
	v_cmp_eq_f32_e64 s6, 0, v3
	s_delay_alu instid0(VALU_DEP_2) | instskip(NEXT) | instid1(VALU_DEP_1)
	v_fmac_f32_e32 v2, v8, v1
	v_add_f32_e32 v1, v10, v2
	s_delay_alu instid0(VALU_DEP_1) | instskip(NEXT) | instid1(VALU_DEP_1)
	v_dual_sub_f32 v10, v1, v10 :: v_dual_sub_f32 v9, v7, v1
	v_dual_sub_f32 v2, v10, v2 :: v_dual_sub_f32 v7, v7, v9
	s_delay_alu instid0(VALU_DEP_1) | instskip(NEXT) | instid1(VALU_DEP_1)
	v_sub_f32_e32 v1, v7, v1
	v_add_f32_e32 v1, v2, v1
	s_delay_alu instid0(VALU_DEP_1) | instskip(NEXT) | instid1(VALU_DEP_1)
	v_add_f32_e32 v1, v9, v1
	v_mul_f32_e32 v1, v6, v1
	s_delay_alu instid0(VALU_DEP_1) | instskip(NEXT) | instid1(VALU_DEP_1)
	v_add_f32_e32 v6, v8, v1
	v_sub_f32_e32 v2, v6, v8
	v_mul_f32_e32 v7, v6, v6
	s_delay_alu instid0(VALU_DEP_2) | instskip(NEXT) | instid1(VALU_DEP_2)
	v_sub_f32_e32 v8, v1, v2
	v_fma_f32 v9, v6, v6, -v7
	s_delay_alu instid0(VALU_DEP_2) | instskip(NEXT) | instid1(VALU_DEP_1)
	v_add_f32_e32 v1, v8, v8
	v_fmac_f32_e32 v9, v6, v1
	v_cvt_f64_f32_e32 v[1:2], v5
	s_delay_alu instid0(VALU_DEP_2) | instskip(NEXT) | instid1(VALU_DEP_1)
	v_add_f32_e32 v10, v7, v9
	v_fmaak_f32 v11, s5, v10, 0x3e91f4c4
	v_sub_f32_e32 v7, v10, v7
	v_mul_f32_e32 v14, v6, v10
	s_delay_alu instid0(VALU_DEP_3) | instskip(NEXT) | instid1(VALU_DEP_3)
	v_fmaak_f32 v11, v10, v11, 0x3ecccdef
	v_sub_f32_e32 v7, v9, v7
	s_delay_alu instid0(VALU_DEP_2) | instskip(NEXT) | instid1(VALU_DEP_1)
	v_mul_f32_e32 v12, v10, v11
	v_fma_f32 v9, v10, v11, -v12
	s_delay_alu instid0(VALU_DEP_1) | instskip(NEXT) | instid1(VALU_DEP_1)
	v_fmac_f32_e32 v9, v7, v11
	v_add_f32_e32 v11, v12, v9
	v_frexp_exp_i32_f64_e32 v1, v[1:2]
	s_delay_alu instid0(VALU_DEP_2) | instskip(NEXT) | instid1(VALU_DEP_1)
	v_sub_f32_e32 v12, v11, v12
	v_sub_f32_e32 v2, v9, v12
	v_fma_f32 v12, v10, v6, -v14
	s_delay_alu instid0(VALU_DEP_2) | instskip(NEXT) | instid1(VALU_DEP_2)
	v_add_f32_e32 v2, 0x31739010, v2
	v_dual_add_f32 v13, 0x3f2aaaaa, v11 :: v_dual_fmac_f32 v12, v10, v8
	v_ldexp_f32 v8, v8, 1
	s_delay_alu instid0(VALU_DEP_2) | instskip(NEXT) | instid1(VALU_DEP_1)
	v_dual_add_f32 v9, 0xbf2aaaaa, v13 :: v_dual_fmac_f32 v12, v7, v6
	v_sub_f32_e32 v9, v11, v9
	s_delay_alu instid0(VALU_DEP_1) | instskip(NEXT) | instid1(VALU_DEP_3)
	v_add_f32_e32 v2, v2, v9
	v_add_f32_e32 v9, v14, v12
	s_delay_alu instid0(VALU_DEP_2) | instskip(NEXT) | instid1(VALU_DEP_1)
	v_add_f32_e32 v7, v13, v2
	v_sub_f32_e32 v10, v13, v7
	s_delay_alu instid0(VALU_DEP_3) | instskip(SKIP_2) | instid1(VALU_DEP_4)
	v_mul_f32_e32 v11, v9, v7
	v_sub_f32_e32 v13, v9, v14
	v_subrev_co_ci_u32_e64 v1, s4, 0, v1, s4
	v_add_f32_e32 v2, v2, v10
	s_delay_alu instid0(VALU_DEP_4) | instskip(NEXT) | instid1(VALU_DEP_4)
	v_fma_f32 v10, v9, v7, -v11
	v_sub_f32_e32 v12, v12, v13
	s_delay_alu instid0(VALU_DEP_4) | instskip(NEXT) | instid1(VALU_DEP_3)
	v_cvt_f32_i32_e32 v1, v1
	v_fmac_f32_e32 v10, v9, v2
	v_ldexp_f32 v2, v6, 1
	s_delay_alu instid0(VALU_DEP_2) | instskip(NEXT) | instid1(VALU_DEP_1)
	v_fmac_f32_e32 v10, v12, v7
	v_add_f32_e32 v6, v11, v10
	s_delay_alu instid0(VALU_DEP_1) | instskip(NEXT) | instid1(VALU_DEP_1)
	v_add_f32_e32 v7, v2, v6
	v_dual_sub_f32 v2, v7, v2 :: v_dual_sub_f32 v9, v6, v11
	s_delay_alu instid0(VALU_DEP_1) | instskip(NEXT) | instid1(VALU_DEP_2)
	v_sub_f32_e32 v2, v6, v2
	v_sub_f32_e32 v9, v10, v9
	s_delay_alu instid0(VALU_DEP_1) | instskip(NEXT) | instid1(VALU_DEP_1)
	v_add_f32_e32 v6, v8, v9
	v_dual_mul_f32 v11, 0x3f317218, v1 :: v_dual_add_f32 v2, v6, v2
	s_delay_alu instid0(VALU_DEP_1) | instskip(NEXT) | instid1(VALU_DEP_2)
	v_fma_f32 v10, 0x3f317218, v1, -v11
	v_add_f32_e32 v8, v7, v2
	s_delay_alu instid0(VALU_DEP_1) | instskip(NEXT) | instid1(VALU_DEP_1)
	v_sub_f32_e32 v7, v8, v7
	v_dual_fmamk_f32 v1, v1, 0xb102e308, v10 :: v_dual_sub_f32 v2, v2, v7
	s_delay_alu instid0(VALU_DEP_1) | instskip(NEXT) | instid1(VALU_DEP_1)
	v_add_f32_e32 v6, v11, v1
	v_add_f32_e32 v9, v6, v8
	s_delay_alu instid0(VALU_DEP_1) | instskip(NEXT) | instid1(VALU_DEP_1)
	v_dual_sub_f32 v11, v6, v11 :: v_dual_sub_f32 v10, v9, v6
	v_sub_f32_e32 v12, v9, v10
	s_delay_alu instid0(VALU_DEP_2) | instskip(NEXT) | instid1(VALU_DEP_2)
	v_sub_f32_e32 v1, v1, v11
	v_dual_sub_f32 v7, v8, v10 :: v_dual_sub_f32 v6, v6, v12
	s_delay_alu instid0(VALU_DEP_2) | instskip(NEXT) | instid1(VALU_DEP_2)
	v_add_f32_e32 v8, v1, v2
	v_add_f32_e32 v6, v7, v6
	s_delay_alu instid0(VALU_DEP_1) | instskip(NEXT) | instid1(VALU_DEP_1)
	v_add_f32_e32 v6, v8, v6
	v_dual_sub_f32 v7, v8, v1 :: v_dual_add_f32 v10, v9, v6
	s_delay_alu instid0(VALU_DEP_1) | instskip(SKIP_1) | instid1(VALU_DEP_3)
	v_sub_f32_e32 v8, v8, v7
	v_sub_f32_e32 v2, v2, v7
	;; [unrolled: 1-line block ×3, first 2 shown]
	s_delay_alu instid0(VALU_DEP_3) | instskip(NEXT) | instid1(VALU_DEP_1)
	v_sub_f32_e32 v1, v1, v8
	v_add_f32_e32 v1, v2, v1
	s_delay_alu instid0(VALU_DEP_3) | instskip(NEXT) | instid1(VALU_DEP_1)
	v_sub_f32_e32 v2, v6, v7
	v_add_f32_e32 v1, v1, v2
	s_delay_alu instid0(VALU_DEP_1) | instskip(NEXT) | instid1(VALU_DEP_1)
	v_add_f32_e32 v2, v10, v1
	v_mul_f32_e32 v7, v4, v2
	v_sub_f32_e32 v6, v2, v10
	s_delay_alu instid0(VALU_DEP_2) | instskip(NEXT) | instid1(VALU_DEP_2)
	v_fma_f32 v2, v4, v2, -v7
	v_sub_f32_e32 v1, v1, v6
	v_cmp_class_f32_e64 s4, v7, 0x204
	s_delay_alu instid0(VALU_DEP_2) | instskip(NEXT) | instid1(VALU_DEP_1)
	v_fmac_f32_e32 v2, v4, v1
	v_add_f32_e32 v1, v7, v2
	s_delay_alu instid0(VALU_DEP_1) | instskip(NEXT) | instid1(VALU_DEP_1)
	v_cndmask_b32_e64 v6, v1, v7, s4
	v_cmp_eq_f32_e64 s4, 0x42b17218, v6
	s_delay_alu instid0(VALU_DEP_1) | instskip(SKIP_1) | instid1(VALU_DEP_2)
	v_cndmask_b32_e64 v8, 0, 0x37000000, s4
	v_cmp_neq_f32_e64 s4, 0x7f800000, |v6|
	v_sub_f32_e32 v9, v6, v8
	v_trunc_f32_e32 v6, v4
	s_delay_alu instid0(VALU_DEP_2) | instskip(NEXT) | instid1(VALU_DEP_1)
	v_mul_f32_e32 v10, 0x3fb8aa3b, v9
	v_fma_f32 v11, 0x3fb8aa3b, v9, -v10
	v_rndne_f32_e32 v12, v10
	s_delay_alu instid0(VALU_DEP_1) | instskip(NEXT) | instid1(VALU_DEP_1)
	v_dual_fmamk_f32 v11, v9, 0x32a5705f, v11 :: v_dual_sub_f32 v10, v10, v12
	v_add_f32_e32 v10, v10, v11
	v_sub_f32_e32 v1, v1, v7
	v_cvt_i32_f32_e32 v7, v12
	s_delay_alu instid0(VALU_DEP_3) | instskip(NEXT) | instid1(VALU_DEP_2)
	v_exp_f32_e32 v10, v10
	v_sub_f32_e32 v1, v2, v1
	s_delay_alu instid0(VALU_DEP_1)
	v_cndmask_b32_e64 v1, 0, v1, s4
	v_cmp_ngt_f32_e64 s4, 0xc2ce8ed0, v9
	s_waitcnt_depctr 0xfff
	v_ldexp_f32 v2, v10, v7
	v_mul_f32_e32 v7, 0.5, v4
	v_add_f32_e32 v1, v8, v1
	s_delay_alu instid0(VALU_DEP_3) | instskip(NEXT) | instid1(VALU_DEP_3)
	v_cndmask_b32_e64 v2, 0, v2, s4
	v_trunc_f32_e32 v10, v7
	v_cmp_nlt_f32_e64 s4, 0x42b17218, v9
	s_delay_alu instid0(VALU_DEP_2) | instskip(NEXT) | instid1(VALU_DEP_2)
	v_cmp_neq_f32_e64 s5, v10, v7
	v_cndmask_b32_e64 v2, 0x7f800000, v2, s4
	v_cmp_eq_f32_e64 s4, v6, v4
	s_delay_alu instid0(VALU_DEP_2) | instskip(NEXT) | instid1(VALU_DEP_2)
	v_fma_f32 v1, v2, v1, v2
	s_and_b32 vcc_lo, s4, s5
	v_cmp_class_f32_e64 s5, v2, 0x204
	v_cndmask_b32_e32 v6, 1.0, v3, vcc_lo
	s_delay_alu instid0(VALU_DEP_2) | instskip(SKIP_1) | instid1(VALU_DEP_2)
	v_cndmask_b32_e64 v1, v1, v2, s5
	v_cmp_gt_f32_e64 s5, 0, v4
	v_bfi_b32 v1, 0x7fffffff, v1, v6
	s_delay_alu instid0(VALU_DEP_2)
	s_xor_b32 s5, s5, s6
	v_cndmask_b32_e32 v6, 0, v3, vcc_lo
	v_cndmask_b32_e64 v2, 0x7f800000, 0, s5
	v_cmp_eq_f32_e32 vcc_lo, 0x7f800000, v5
	v_cndmask_b32_e64 v4, 0x7fc00000, v1, s4
	v_cmp_gt_f32_e64 s4, 0, v3
	s_delay_alu instid0(VALU_DEP_4) | instskip(SKIP_1) | instid1(VALU_DEP_2)
	v_bfi_b32 v2, 0x7fffffff, v2, v6
	s_or_b32 vcc_lo, vcc_lo, s6
	v_cndmask_b32_e64 v1, v1, v4, s4
	s_delay_alu instid0(VALU_DEP_1) | instskip(SKIP_1) | instid1(VALU_DEP_2)
	v_cndmask_b32_e32 v1, v1, v2, vcc_lo
	v_cmp_o_f32_e32 vcc_lo, v3, v3
	v_cndmask_b32_e32 v60, 0x7fc00000, v1, vcc_lo
.LBB65_4:
	v_and_b32_e32 v43, 0x3ff, v0
	v_bfe_u32 v58, v0, 10, 10
	s_lshl_b32 s5, s13, 2
	s_delay_alu instid0(VALU_DEP_2) | instskip(NEXT) | instid1(VALU_DEP_2)
	v_cmp_gt_u32_e64 s4, 20, v43
	v_add_nc_u32_e32 v44, s5, v58
	v_lshlrev_b32_e32 v66, 4, v43
	s_mul_hi_u32 s5, s23, s9
	s_delay_alu instid0(VALU_DEP_3)
	s_and_saveexec_b32 s6, s4
	s_cbranch_execz .LBB65_6
; %bb.5:
	s_load_b128 s[44:47], s[2:3], 0x70
	v_mul_hi_u32 v1, s36, v44
	v_mul_u32_u24_e32 v7, 40, v58
	v_lshlrev_b32_e32 v8, 1, v43
	s_delay_alu instid0(VALU_DEP_3) | instskip(NEXT) | instid1(VALU_DEP_1)
	v_add_nc_u32_e32 v1, v44, v1
	v_lshrrev_b32_e32 v1, s37, v1
	s_delay_alu instid0(VALU_DEP_1)
	v_mul_lo_u32 v1, v1, s38
	s_waitcnt lgkmcnt(0)
	s_mul_i32 s9, s12, s46
	s_mul_i32 s10, s34, s45
	s_ashr_i32 s11, s9, 31
	s_add_u32 s9, s16, s9
	s_addc_u32 s11, s17, s11
	s_ashr_i32 s16, s10, 31
	s_add_u32 s9, s9, s10
	s_addc_u32 s10, s11, s16
	s_ashr_i32 s11, s44, 31
	v_sub_nc_u32_e32 v5, v44, v1
	v_alignbit_b32 v3, s11, s44, 2
	s_lshr_b32 s11, s11, 2
	s_delay_alu instid0(VALU_DEP_1) | instskip(NEXT) | instid1(VALU_DEP_1)
	v_mad_u64_u32 v[1:2], null, v3, v5, 0
	v_mad_u64_u32 v[3:4], null, s11, v5, v[2:3]
	s_delay_alu instid0(VALU_DEP_1) | instskip(NEXT) | instid1(VALU_DEP_1)
	v_mov_b32_e32 v2, v3
	v_lshlrev_b64 v[1:2], 2, v[1:2]
	s_delay_alu instid0(VALU_DEP_1) | instskip(NEXT) | instid1(VALU_DEP_2)
	v_add_co_u32 v1, vcc_lo, s9, v1
	v_add_co_ci_u32_e32 v2, vcc_lo, s10, v2, vcc_lo
	s_delay_alu instid0(VALU_DEP_2) | instskip(NEXT) | instid1(VALU_DEP_2)
	v_add_co_u32 v1, vcc_lo, v1, v66
	v_add_co_ci_u32_e32 v2, vcc_lo, 0, v2, vcc_lo
	global_load_b128 v[1:4], v[1:2], off
	s_waitcnt vmcnt(0)
	v_fma_mixlo_f16 v6, v3, s8, 0
	v_fma_mixlo_f16 v5, v1, s8, 0
	v_add_lshl_u32 v1, v7, v8, 2
	s_delay_alu instid0(VALU_DEP_3) | instskip(NEXT) | instid1(VALU_DEP_3)
	v_fma_mixhi_f16 v6, v4, s8, 0
	v_fma_mixhi_f16 v5, v2, s8, 0
	ds_store_b64 v1, v[5:6] offset:3264
.LBB65_6:
	s_or_b32 exec_lo, exec_lo, s6
	s_ashr_i32 s35, s34, 31
	s_ashr_i32 s6, s33, 31
	s_cmp_eq_u64 s[26:27], 0
	s_waitcnt lgkmcnt(0)
	s_barrier
	buffer_gl0_inv
	s_cbranch_scc1 .LBB65_8
; %bb.7:
	s_load_b32 s8, s[2:3], 0xd0
	s_mov_b32 s9, 0
	s_waitcnt lgkmcnt(0)
	s_mul_i32 s8, s8, s12
	s_delay_alu instid0(SALU_CYCLE_1) | instskip(NEXT) | instid1(SALU_CYCLE_1)
	s_add_i32 s8, s8, s13
	s_lshl_b64 s[8:9], s[8:9], 2
	s_delay_alu instid0(SALU_CYCLE_1)
	s_add_u32 s8, s26, s8
	s_addc_u32 s9, s27, s9
	s_load_b32 s42, s[8:9], 0x0
.LBB65_8:
	s_clause 0x2
	s_load_b64 s[26:27], s[2:3], 0x8c
	s_load_b128 s[8:11], s[2:3], 0x98
	s_load_b64 s[44:45], s[2:3], 0xa8
	s_ashr_i32 s17, s7, 1
	s_ashr_i32 s7, s12, 31
	s_mul_i32 s16, s5, s15
	v_dual_mov_b32 v57, 0 :: v_dual_lshlrev_b32 v54, 3, v43
	v_lshl_add_u32 v69, v58, 5, v43
	v_lshrrev_b32_e32 v68, 2, v43
	v_lshlrev_b32_e32 v59, 2, v43
	v_mul_u32_u24_e32 v64, 0x60, v43
	v_mul_u32_u24_e32 v65, 0xa0, v58
	v_lshl_add_u32 v55, v58, 6, 0xf40
	v_lshrrev_b32_e32 v63, 1, v43
	v_lshrrev_b32_e32 v61, 3, v43
	v_mbcnt_lo_u32_b32 v53, -1, 0
	s_waitcnt lgkmcnt(0)
	s_ashr_i32 s22, s26, 2
	s_ashr_i32 s13, s10, 2
	s_mul_i32 s9, s12, s9
	s_mul_hi_u32 s10, s12, s8
	s_mul_i32 s26, s7, s8
	s_add_i32 s9, s10, s9
	s_mul_i32 s8, s12, s8
	s_add_i32 s9, s9, s26
	s_add_u32 s8, s18, s8
	s_addc_u32 s9, s19, s9
	s_sub_i32 s10, s23, s16
	s_xor_b32 s6, s35, s6
	s_add_i32 s16, s5, 1
	s_sub_i32 s18, s10, s15
	s_cmp_ge_u32 s10, s15
	s_mul_i32 s7, s7, s44
	s_cselect_b32 s5, s16, s5
	s_cselect_b32 s10, s18, s10
	s_add_i32 s16, s5, 1
	s_cmp_ge_u32 s10, s15
	s_mul_i32 s10, s12, s45
	s_cselect_b32 s5, s16, s5
	s_mul_hi_u32 s15, s12, s44
	s_xor_b32 s5, s5, s6
	s_mul_i32 s16, s12, s44
	s_sub_i32 s5, s5, s6
	s_delay_alu instid0(SALU_CYCLE_1)
	s_mul_i32 s6, s5, s27
	s_mul_i32 s5, s5, s11
	s_ashr_i32 s19, s6, 31
	s_add_u32 s18, s8, s6
	s_addc_u32 s19, s9, s19
	s_add_i32 s6, s15, s10
	s_delay_alu instid0(SALU_CYCLE_1)
	s_add_i32 s6, s6, s7
	s_add_u32 s7, s20, s16
	s_addc_u32 s6, s21, s6
	s_ashr_i32 s8, s5, 31
	s_add_u32 s9, s7, s5
	s_addc_u32 s15, s6, s8
	s_lshl_b32 s16, s14, 5
	s_sub_i32 s20, s42, 32
	s_delay_alu instid0(SALU_CYCLE_1)
	s_cmp_ge_i32 s16, s20
	s_cbranch_scc1 .LBB65_23
; %bb.9:
	v_mul_hi_u32 v2, s36, v44
	v_dual_mov_b32 v56, 0 :: v_dual_and_b32 v9, 12, v59
	v_lshl_add_u32 v4, v58, 3, v68
	v_lshl_add_u32 v6, v58, 4, v63
	;; [unrolled: 1-line block ×3, first 2 shown]
	s_delay_alu instid0(VALU_DEP_4)
	v_lshlrev_b32_e32 v8, 2, v9
	v_mul_lo_u32 v1, s22, v69
	v_dual_mov_b32 v79, 0xfeffffff :: v_dual_add_nc_u32 v2, v44, v2
	v_mul_lo_u32 v3, s22, v4
	v_mul_lo_u32 v5, s13, v10
	;; [unrolled: 1-line block ×3, first 2 shown]
	s_delay_alu instid0(VALU_DEP_4) | instskip(SKIP_3) | instid1(VALU_DEP_4)
	v_lshrrev_b32_e32 v2, s37, v2
	v_mad_u32_u24 v73, 0x60, v4, v8
	v_dual_mov_b32 v57, 0 :: v_dual_and_b32 v72, 4, v59
	v_dual_mov_b32 v78, 0 :: v_dual_and_b32 v11, 28, v59
	v_mul_lo_u32 v12, v2, s38
	v_mul_u32_u24_e32 v13, 0xa0, v6
	v_cmp_gt_u32_e64 s6, 16, v6
	v_ashrrev_i32_e32 v2, 31, v1
	v_ashrrev_i32_e32 v4, 31, v3
	;; [unrolled: 1-line block ×3, first 2 shown]
	v_lshlrev_b32_e32 v14, 2, v11
	v_lshl_or_b32 v13, v72, 2, v13
	v_sub_nc_u32_e32 v8, v44, v12
	v_lshlrev_b64 v[45:46], 2, v[1:2]
	v_lshlrev_b64 v[47:48], 2, v[3:4]
	;; [unrolled: 1-line block ×3, first 2 shown]
	v_cmp_gt_u32_e64 s5, 32, v69
	v_mad_u64_u32 v[41:42], null, v8, s17, v[43:44]
	v_ashrrev_i32_e32 v8, 31, v7
	v_mad_u32_u24 v70, 0x60, v69, 64
	s_cmp_lg_u64 s[40:41], 0
	v_lshl_add_u32 v71, v43, 1, v55
	v_add_nc_u32_e32 v74, 0x80, v13
	v_lshlrev_b64 v[49:50], 2, v[7:8]
	v_mad_u32_u24 v42, 0xa0, v10, v14
	v_lshlrev_b32_e32 v75, 2, v9
	v_lshlrev_b32_e32 v76, 2, v11
	v_mbcnt_lo_u32_b32 v77, -1, 0
	s_cselect_b32 s21, -1, 0
	s_add_u32 s10, s2, 0xd0
	s_addc_u32 s11, s3, 0
.LBB65_10:                              ; =>This Inner Loop Header: Depth=1
	s_mul_hi_i32 s27, s16, s22
	s_mul_i32 s26, s16, s22
	s_delay_alu instid0(SALU_CYCLE_1) | instskip(NEXT) | instid1(SALU_CYCLE_1)
	s_lshl_b64 s[26:27], s[26:27], 2
	s_add_u32 s7, s18, s26
	s_addc_u32 s8, s19, s27
	s_and_saveexec_b32 s23, s5
	s_cbranch_execz .LBB65_12
; %bb.11:                               ;   in Loop: Header=BB65_10 Depth=1
	v_add_co_u32 v1, vcc_lo, s7, v45
	v_add_co_ci_u32_e32 v2, vcc_lo, s8, v46, vcc_lo
	global_load_b128 v[1:4], v[1:2], off offset:64
	s_waitcnt vmcnt(0)
	ds_store_b128 v70, v[1:4]
.LBB65_12:                              ;   in Loop: Header=BB65_10 Depth=1
	s_or_b32 exec_lo, exec_lo, s23
	v_add_co_u32 v1, vcc_lo, s7, v47
	v_add_co_ci_u32_e32 v2, vcc_lo, s8, v48, vcc_lo
	s_delay_alu instid0(VALU_DEP_2) | instskip(NEXT) | instid1(VALU_DEP_2)
	v_add_co_u32 v1, vcc_lo, v1, v75
	v_add_co_ci_u32_e32 v2, vcc_lo, 0, v2, vcc_lo
	global_load_b128 v[3:6], v[1:2], off
	s_waitcnt vmcnt(0)
	ds_store_b128 v73, v[3:6]
	s_waitcnt lgkmcnt(0)
	s_barrier
	buffer_gl0_inv
	ds_load_b128 v[4:7], v64
	ds_load_b128 v[8:11], v65 offset:3264
	v_mov_b32_e32 v3, 0
	s_waitcnt lgkmcnt(0)
	;;#ASMSTART
	v_dot2_f32_f16 v3, v4, v8, v3
	;;#ASMEND
	;;#ASMSTART
	v_dot2_f32_f16 v3, v5, v9, v3
	;;#ASMEND
	;;#ASMSTART
	v_dot2_f32_f16 v3, v6, v10, v3
	;;#ASMEND
	;;#ASMSTART
	v_dot2_f32_f16 v3, v7, v11, v3
	;;#ASMEND
	ds_load_b128 v[4:7], v64 offset:16
	ds_load_b128 v[8:11], v65 offset:3280
	s_waitcnt lgkmcnt(0)
	;;#ASMSTART
	v_dot2_f32_f16 v3, v4, v8, v3
	;;#ASMEND
	;;#ASMSTART
	v_dot2_f32_f16 v3, v5, v9, v3
	;;#ASMEND
	;;#ASMSTART
	v_dot2_f32_f16 v3, v6, v10, v3
	;;#ASMEND
	;;#ASMSTART
	v_dot2_f32_f16 v3, v7, v11, v3
	;;#ASMEND
	ds_load_b128 v[4:7], v64 offset:32
	ds_load_b128 v[8:11], v65 offset:3296
	;; [unrolled: 15-line block ×4, first 2 shown]
	s_waitcnt lgkmcnt(0)
	;;#ASMSTART
	v_dot2_f32_f16 v3, v4, v8, v3
	;;#ASMEND
	;;#ASMSTART
	v_dot2_f32_f16 v3, v5, v9, v3
	;;#ASMEND
	;; [unrolled: 3-line block ×4, first 2 shown]
	s_barrier
	buffer_gl0_inv
	s_and_saveexec_b32 s23, s5
	s_cbranch_execz .LBB65_14
; %bb.13:                               ;   in Loop: Header=BB65_10 Depth=1
	v_add_co_u32 v4, vcc_lo, s7, v45
	v_add_co_ci_u32_e32 v5, vcc_lo, s8, v46, vcc_lo
	global_load_b128 v[4:7], v[4:5], off offset:144
	s_waitcnt vmcnt(0)
	ds_store_b128 v70, v[4:7]
.LBB65_14:                              ;   in Loop: Header=BB65_10 Depth=1
	s_or_b32 exec_lo, exec_lo, s23
	global_load_b128 v[4:7], v[1:2], off offset:80
	s_and_not1_b32 vcc_lo, exec_lo, s21
	s_waitcnt vmcnt(0)
	ds_store_b128 v73, v[4:7]
	s_waitcnt lgkmcnt(0)
	s_barrier
	buffer_gl0_inv
	ds_load_b128 v[4:7], v64
	ds_load_b128 v[8:11], v65 offset:3344
	s_waitcnt lgkmcnt(0)
	;;#ASMSTART
	v_dot2_f32_f16 v3, v4, v8, v3
	;;#ASMEND
	;;#ASMSTART
	v_dot2_f32_f16 v3, v5, v9, v3
	;;#ASMEND
	;;#ASMSTART
	v_dot2_f32_f16 v3, v6, v10, v3
	;;#ASMEND
	;;#ASMSTART
	v_dot2_f32_f16 v3, v7, v11, v3
	;;#ASMEND
	ds_load_b128 v[4:7], v64 offset:16
	ds_load_b128 v[8:11], v65 offset:3360
	s_waitcnt lgkmcnt(0)
	;;#ASMSTART
	v_dot2_f32_f16 v3, v4, v8, v3
	;;#ASMEND
	;;#ASMSTART
	v_dot2_f32_f16 v3, v5, v9, v3
	;;#ASMEND
	;;#ASMSTART
	v_dot2_f32_f16 v3, v6, v10, v3
	;;#ASMEND
	;;#ASMSTART
	v_dot2_f32_f16 v3, v7, v11, v3
	;;#ASMEND
	ds_load_b128 v[4:7], v64 offset:32
	;; [unrolled: 15-line block ×4, first 2 shown]
	ds_load_b128 v[8:11], v65 offset:3408
	s_waitcnt lgkmcnt(0)
	;;#ASMSTART
	v_dot2_f32_f16 v3, v4, v8, v3
	;;#ASMEND
	;;#ASMSTART
	v_dot2_f32_f16 v3, v5, v9, v3
	;;#ASMEND
	;; [unrolled: 3-line block ×4, first 2 shown]
	s_cbranch_vccnz .LBB65_16
; %bb.15:                               ;   in Loop: Header=BB65_10 Depth=1
	v_add_nc_u32_e32 v1, s16, v41
	s_delay_alu instid0(VALU_DEP_1) | instskip(NEXT) | instid1(VALU_DEP_1)
	v_ashrrev_i32_e32 v2, 31, v1
	v_lshlrev_b64 v[1:2], 1, v[1:2]
	s_delay_alu instid0(VALU_DEP_1) | instskip(NEXT) | instid1(VALU_DEP_2)
	v_add_co_u32 v1, vcc_lo, s40, v1
	v_add_co_ci_u32_e32 v2, vcc_lo, s41, v2, vcc_lo
	flat_load_u16 v1, v[1:2]
	s_waitcnt vmcnt(0) lgkmcnt(0)
	v_cvt_f32_f16_e32 v1, v1
	s_delay_alu instid0(VALU_DEP_1)
	v_mul_f32_e32 v1, v60, v1
	s_branch .LBB65_17
.LBB65_16:                              ;   in Loop: Header=BB65_10 Depth=1
	v_mov_b32_e32 v1, 0
.LBB65_17:                              ;   in Loop: Header=BB65_10 Depth=1
	v_xor_b32_e32 v2, 16, v77
	s_mul_hi_i32 s27, s16, s13
	s_mul_i32 s26, s16, s13
	v_lshlrev_b32_e32 v82, 2, v72
	s_lshl_b64 s[26:27], s[26:27], 2
	v_cmp_gt_i32_e32 vcc_lo, 32, v2
	v_add_f32_e32 v1, v3, v1
	s_add_u32 s7, s9, s26
	s_addc_u32 s8, s15, s27
	v_dual_cndmask_b32 v2, v77, v2 :: v_dual_max_f32 v3, v79, v79
	s_delay_alu instid0(VALU_DEP_2)
	v_add_f32_e32 v4, 0x40051340, v1
	s_barrier
	buffer_gl0_inv
	v_dual_max_f32 v3, v3, v4 :: v_dual_lshlrev_b32 v2, 2, v2
	v_xor_b32_e32 v4, 8, v77
	ds_bpermute_b32 v2, v2, v3
	v_cmp_gt_i32_e32 vcc_lo, 32, v4
	v_cndmask_b32_e32 v4, v77, v4, vcc_lo
	s_delay_alu instid0(VALU_DEP_1) | instskip(SKIP_2) | instid1(VALU_DEP_1)
	v_lshlrev_b32_e32 v4, 2, v4
	s_waitcnt lgkmcnt(0)
	v_max_f32_e32 v2, v2, v2
	v_max_f32_e32 v2, v3, v2
	ds_bpermute_b32 v3, v4, v2
	v_xor_b32_e32 v4, 4, v77
	s_delay_alu instid0(VALU_DEP_1) | instskip(SKIP_2) | instid1(VALU_DEP_1)
	v_cmp_gt_i32_e32 vcc_lo, 32, v4
	v_cndmask_b32_e32 v4, v77, v4, vcc_lo
	s_waitcnt lgkmcnt(0)
	v_dual_max_f32 v3, v3, v3 :: v_dual_lshlrev_b32 v4, 2, v4
	s_delay_alu instid0(VALU_DEP_1) | instskip(SKIP_2) | instid1(VALU_DEP_1)
	v_max_f32_e32 v2, v2, v3
	ds_bpermute_b32 v3, v4, v2
	v_xor_b32_e32 v4, 2, v77
	v_cmp_gt_i32_e32 vcc_lo, 32, v4
	v_cndmask_b32_e32 v4, v77, v4, vcc_lo
	s_waitcnt lgkmcnt(0)
	s_delay_alu instid0(VALU_DEP_1) | instskip(NEXT) | instid1(VALU_DEP_1)
	v_dual_max_f32 v3, v3, v3 :: v_dual_lshlrev_b32 v4, 2, v4
	v_max_f32_e32 v2, v2, v3
	ds_bpermute_b32 v3, v4, v2
	v_xor_b32_e32 v4, 1, v77
	s_delay_alu instid0(VALU_DEP_1) | instskip(SKIP_2) | instid1(VALU_DEP_1)
	v_cmp_gt_i32_e32 vcc_lo, 32, v4
	v_cndmask_b32_e32 v4, v77, v4, vcc_lo
	s_waitcnt lgkmcnt(0)
	v_dual_max_f32 v3, v3, v3 :: v_dual_lshlrev_b32 v4, 2, v4
	s_delay_alu instid0(VALU_DEP_1) | instskip(SKIP_3) | instid1(VALU_DEP_1)
	v_max_f32_e32 v2, v2, v3
	ds_bpermute_b32 v3, v4, v2
	s_waitcnt lgkmcnt(0)
	v_max_f32_e32 v3, v3, v3
	v_max_f32_e32 v67, v2, v3
	s_delay_alu instid0(VALU_DEP_1) | instskip(NEXT) | instid1(VALU_DEP_1)
	v_sub_f32_e32 v1, v1, v67
	v_mul_f32_e32 v2, 0x3fb8aa3b, v1
	v_cmp_ngt_f32_e32 vcc_lo, 0xc2ce8ed0, v1
	s_delay_alu instid0(VALU_DEP_2) | instskip(SKIP_1) | instid1(VALU_DEP_1)
	v_fma_f32 v3, 0x3fb8aa3b, v1, -v2
	v_rndne_f32_e32 v4, v2
	v_dual_fmac_f32 v3, 0x32a5705f, v1 :: v_dual_sub_f32 v2, v2, v4
	s_delay_alu instid0(VALU_DEP_1) | instskip(SKIP_1) | instid1(VALU_DEP_2)
	v_add_f32_e32 v2, v2, v3
	v_cvt_i32_f32_e32 v3, v4
	v_exp_f32_e32 v2, v2
	s_waitcnt_depctr 0xfff
	v_ldexp_f32 v2, v2, v3
	s_delay_alu instid0(VALU_DEP_1) | instskip(SKIP_1) | instid1(VALU_DEP_2)
	v_cndmask_b32_e32 v2, 0, v2, vcc_lo
	v_cmp_nlt_f32_e32 vcc_lo, 0x42b17218, v1
	v_cndmask_b32_e32 v62, 0x7f800000, v2, vcc_lo
	s_delay_alu instid0(VALU_DEP_1)
	v_cvt_f16_f32_e32 v1, v62
	ds_store_b16 v71, v1
	s_and_saveexec_b32 s23, s6
	s_cbranch_execz .LBB65_19
; %bb.18:                               ;   in Loop: Header=BB65_10 Depth=1
	v_add_co_u32 v1, vcc_lo, s7, v49
	v_add_co_ci_u32_e32 v2, vcc_lo, s8, v50, vcc_lo
	s_delay_alu instid0(VALU_DEP_2) | instskip(NEXT) | instid1(VALU_DEP_2)
	v_add_co_u32 v1, vcc_lo, v1, v82
	v_add_co_ci_u32_e32 v2, vcc_lo, 0, v2, vcc_lo
	global_load_b128 v[1:4], v[1:2], off offset:128
	s_waitcnt vmcnt(0)
	ds_store_b128 v74, v[1:4]
.LBB65_19:                              ;   in Loop: Header=BB65_10 Depth=1
	s_or_b32 exec_lo, exec_lo, s23
	v_add_co_u32 v1, vcc_lo, s7, v51
	v_add_co_ci_u32_e32 v2, vcc_lo, s8, v52, vcc_lo
	v_add_nc_u32_e32 v81, 0x400, v54
	s_delay_alu instid0(VALU_DEP_3) | instskip(NEXT) | instid1(VALU_DEP_3)
	v_add_co_u32 v1, vcc_lo, v1, v76
	v_add_co_ci_u32_e32 v2, vcc_lo, 0, v2, vcc_lo
	v_dual_sub_f32 v79, v79, v67 :: v_dual_add_nc_u32 v80, 0x800, v54
	s_or_b32 s8, s16, 16
	global_load_b128 v[1:4], v[1:2], off
	s_mul_hi_i32 s27, s8, s13
	s_mul_i32 s26, s8, s13
	v_cmp_ngt_f32_e32 vcc_lo, 0xc2ce8ed0, v79
	v_cmp_nlt_f32_e64 s7, 0x42b17218, v79
	s_lshl_b64 s[26:27], s[26:27], 2
	s_delay_alu instid0(SALU_CYCLE_1)
	s_add_u32 s23, s9, s26
	s_addc_u32 s26, s15, s27
	s_waitcnt vmcnt(0)
	ds_store_b128 v42, v[1:4]
	s_waitcnt lgkmcnt(0)
	s_barrier
	buffer_gl0_inv
	ds_load_2addr_b64 v[37:40], v54 offset1:20
	ds_load_b128 v[17:20], v55
	ds_load_b128 v[1:4], v55 offset:16
	ds_load_2addr_b64 v[33:36], v54 offset0:40 offset1:60
	ds_load_2addr_b64 v[29:32], v54 offset0:80 offset1:100
	ds_load_2addr_b64 v[25:28], v54 offset0:120 offset1:140
	ds_load_2addr_b64 v[21:24], v54 offset0:160 offset1:180
	ds_load_2addr_b64 v[13:16], v54 offset0:200 offset1:220
	ds_load_2addr_b64 v[9:12], v81 offset0:112 offset1:132
	ds_load_2addr_b64 v[5:8], v80 offset0:24 offset1:44
	s_waitcnt lgkmcnt(0)
	s_barrier
	buffer_gl0_inv
	s_and_saveexec_b32 s27, s6
	s_cbranch_execz .LBB65_21
; %bb.20:                               ;   in Loop: Header=BB65_10 Depth=1
	v_add_co_u32 v83, s8, s23, v49
	s_delay_alu instid0(VALU_DEP_1) | instskip(NEXT) | instid1(VALU_DEP_2)
	v_add_co_ci_u32_e64 v84, s8, s26, v50, s8
	v_add_co_u32 v82, s8, v83, v82
	s_delay_alu instid0(VALU_DEP_1)
	v_add_co_ci_u32_e64 v83, s8, 0, v84, s8
	global_load_b128 v[82:85], v[82:83], off offset:128
	s_waitcnt vmcnt(0)
	ds_store_b128 v74, v[82:85]
.LBB65_21:                              ;   in Loop: Header=BB65_10 Depth=1
	s_or_b32 exec_lo, exec_lo, s27
	v_add_co_u32 v82, s8, s23, v51
	s_delay_alu instid0(VALU_DEP_1) | instskip(SKIP_1) | instid1(VALU_DEP_3)
	v_add_co_ci_u32_e64 v83, s8, s26, v52, s8
	v_mul_f32_e32 v86, 0x3fb8aa3b, v79
	v_add_co_u32 v82, s8, v82, v76
	s_delay_alu instid0(VALU_DEP_1) | instskip(NEXT) | instid1(VALU_DEP_3)
	v_add_co_ci_u32_e64 v83, s8, 0, v83, s8
	v_fma_f32 v87, 0x3fb8aa3b, v79, -v86
	v_rndne_f32_e32 v88, v86
	v_pk_mul_f16 v37, v37, v17 op_sel_hi:[1,0]
	global_load_b128 v[82:85], v[82:83], off
	v_pk_mul_f16 v38, v38, v17 op_sel_hi:[1,0]
	v_fmac_f32_e32 v87, 0x32a5705f, v79
	v_sub_f32_e32 v79, v86, v88
	v_cvt_i32_f32_e32 v86, v88
	s_delay_alu instid0(VALU_DEP_2) | instskip(NEXT) | instid1(VALU_DEP_1)
	v_add_f32_e32 v79, v79, v87
	v_exp_f32_e32 v79, v79
	s_waitcnt_depctr 0xfff
	v_ldexp_f32 v79, v79, v86
	s_delay_alu instid0(VALU_DEP_1) | instskip(NEXT) | instid1(VALU_DEP_1)
	v_cndmask_b32_e32 v79, 0, v79, vcc_lo
	v_cndmask_b32_e64 v79, 0x7f800000, v79, s7
	s_delay_alu instid0(VALU_DEP_1) | instskip(SKIP_1) | instid1(VALU_DEP_2)
	v_cvt_f16_f32_e32 v86, v79
	v_fmac_f32_e32 v62, v78, v79
	v_pk_fma_f16 v37, v56, v86, v37 op_sel_hi:[1,0,1]
	v_pk_fma_f16 v38, v57, v86, v38 op_sel_hi:[1,0,1]
	s_delay_alu instid0(VALU_DEP_2) | instskip(NEXT) | instid1(VALU_DEP_2)
	v_pk_fma_f16 v37, v39, v17, v37 op_sel:[0,1,0]
	v_pk_fma_f16 v17, v40, v17, v38 op_sel:[0,1,0]
	s_delay_alu instid0(VALU_DEP_2) | instskip(NEXT) | instid1(VALU_DEP_2)
	v_pk_fma_f16 v33, v33, v18, v37 op_sel_hi:[1,0,1]
	v_pk_fma_f16 v17, v34, v18, v17 op_sel_hi:[1,0,1]
	s_delay_alu instid0(VALU_DEP_2) | instskip(NEXT) | instid1(VALU_DEP_2)
	v_pk_fma_f16 v33, v35, v18, v33 op_sel:[0,1,0]
	v_pk_fma_f16 v17, v36, v18, v17 op_sel:[0,1,0]
	s_delay_alu instid0(VALU_DEP_2) | instskip(NEXT) | instid1(VALU_DEP_2)
	;; [unrolled: 6-line block ×7, first 2 shown]
	v_pk_fma_f16 v2, v5, v4, v2 op_sel_hi:[1,0,1]
	v_pk_fma_f16 v1, v6, v4, v1 op_sel_hi:[1,0,1]
	s_delay_alu instid0(VALU_DEP_2) | instskip(NEXT) | instid1(VALU_DEP_2)
	v_pk_fma_f16 v21, v7, v4, v2 op_sel:[0,1,0]
	v_pk_fma_f16 v22, v8, v4, v1 op_sel:[0,1,0]
	s_waitcnt vmcnt(0)
	ds_store_b128 v42, v[82:85]
	s_waitcnt lgkmcnt(0)
	s_barrier
	buffer_gl0_inv
	ds_load_2addr_b64 v[13:16], v54 offset1:20
	ds_load_b128 v[17:20], v55 offset:32
	ds_load_2addr_b64 v[9:12], v54 offset0:40 offset1:60
	ds_load_b128 v[1:4], v55 offset:48
	ds_load_2addr_b64 v[5:8], v54 offset0:80 offset1:100
	s_waitcnt lgkmcnt(3)
	v_pk_fma_f16 v13, v13, v17, v21 op_sel_hi:[1,0,1]
	v_pk_fma_f16 v14, v14, v17, v22 op_sel_hi:[1,0,1]
	s_delay_alu instid0(VALU_DEP_2) | instskip(NEXT) | instid1(VALU_DEP_2)
	v_pk_fma_f16 v21, v15, v17, v13 op_sel:[0,1,0]
	v_pk_fma_f16 v17, v16, v17, v14 op_sel:[0,1,0]
	ds_load_2addr_b64 v[13:16], v54 offset0:120 offset1:140
	s_waitcnt lgkmcnt(3)
	v_pk_fma_f16 v9, v9, v18, v21 op_sel_hi:[1,0,1]
	v_pk_fma_f16 v10, v10, v18, v17 op_sel_hi:[1,0,1]
	s_delay_alu instid0(VALU_DEP_2) | instskip(NEXT) | instid1(VALU_DEP_2)
	v_pk_fma_f16 v17, v11, v18, v9 op_sel:[0,1,0]
	v_pk_fma_f16 v18, v12, v18, v10 op_sel:[0,1,0]
	;; [unrolled: 7-line block ×5, first 2 shown]
	ds_load_2addr_b64 v[9:12], v80 offset0:24 offset1:44
	s_waitcnt lgkmcnt(0)
	s_barrier
	v_pk_fma_f16 v5, v5, v2, v17 op_sel_hi:[1,0,1]
	v_pk_fma_f16 v1, v6, v2, v1 op_sel_hi:[1,0,1]
	buffer_gl0_inv
	s_load_b32 s7, s[10:11], 0x4
	v_pk_fma_f16 v5, v7, v2, v5 op_sel:[0,1,0]
	v_pk_fma_f16 v1, v8, v2, v1 op_sel:[0,1,0]
	s_delay_alu instid0(VALU_DEP_2) | instskip(NEXT) | instid1(VALU_DEP_2)
	v_pk_fma_f16 v2, v13, v3, v5 op_sel_hi:[1,0,1]
	v_pk_fma_f16 v1, v14, v3, v1 op_sel_hi:[1,0,1]
	s_delay_alu instid0(VALU_DEP_2) | instskip(NEXT) | instid1(VALU_DEP_2)
	v_pk_fma_f16 v2, v15, v3, v2 op_sel:[0,1,0]
	v_pk_fma_f16 v1, v16, v3, v1 op_sel:[0,1,0]
	s_delay_alu instid0(VALU_DEP_2) | instskip(NEXT) | instid1(VALU_DEP_2)
	v_pk_fma_f16 v2, v9, v4, v2 op_sel_hi:[1,0,1]
	v_pk_fma_f16 v1, v10, v4, v1 op_sel_hi:[1,0,1]
	s_waitcnt lgkmcnt(0)
	s_lshl_b32 s7, s7, 5
	s_delay_alu instid0(VALU_DEP_2) | instskip(NEXT) | instid1(VALU_DEP_2)
	v_pk_fma_f16 v56, v11, v4, v2 op_sel:[0,1,0]
	v_pk_fma_f16 v57, v12, v4, v1 op_sel:[0,1,0]
	s_add_i32 s16, s7, s16
	s_delay_alu instid0(SALU_CYCLE_1)
	s_cmp_lt_i32 s16, s20
	s_cbranch_scc0 .LBB65_24
; %bb.22:                               ;   in Loop: Header=BB65_10 Depth=1
	v_dual_mov_b32 v79, v67 :: v_dual_mov_b32 v78, v62
	s_branch .LBB65_10
.LBB65_23:
	v_dual_mov_b32 v67, 0xfeffffff :: v_dual_mov_b32 v62, 0
	v_mov_b32_e32 v56, 0
.LBB65_24:
	s_cmp_gt_i32 s42, s16
	s_cbranch_scc1 .LBB65_26
; %bb.25:
	v_mbcnt_lo_u32_b32 v1, -1, 0
	v_mov_b32_e32 v70, 32
	s_delay_alu instid0(VALU_DEP_2)
	v_xor_b32_e32 v48, 16, v1
	v_xor_b32_e32 v49, 8, v1
	;; [unrolled: 1-line block ×5, first 2 shown]
	v_mov_b32_e32 v45, v67
	s_cbranch_execz .LBB65_27
	s_branch .LBB65_41
.LBB65_26:
                                        ; implicit-def: $vgpr1
                                        ; implicit-def: $vgpr70
                                        ; implicit-def: $vgpr48
                                        ; implicit-def: $vgpr49
                                        ; implicit-def: $vgpr50
                                        ; implicit-def: $vgpr51
                                        ; implicit-def: $vgpr52
	s_delay_alu instid0(VALU_DEP_2)
	v_mov_b32_e32 v45, v67
.LBB65_27:
	v_mul_lo_u32 v1, s22, v69
	s_mul_hi_i32 s7, s16, s22
	s_mul_i32 s6, s16, s22
	s_sub_i32 s8, s42, s16
	s_lshl_b64 s[6:7], s[6:7], 2
	v_cmp_gt_u32_e64 s5, 32, v69
	v_mad_u32_u24 v7, 0x60, v69, 64
	v_cmp_gt_i32_e32 vcc_lo, s8, v69
	v_ashrrev_i32_e32 v2, 31, v1
	s_add_u32 s10, s18, s6
	s_addc_u32 s11, s19, s7
	s_mov_b64 s[6:7], src_private_base
	s_delay_alu instid0(VALU_DEP_1)
	v_lshlrev_b64 v[4:5], 2, v[1:2]
	s_and_saveexec_b32 s18, s5
	s_cbranch_execz .LBB65_29
; %bb.28:
	s_delay_alu instid0(VALU_DEP_1) | instskip(NEXT) | instid1(VALU_DEP_1)
	v_add_co_u32 v2, s6, s10, v4
	v_add_co_ci_u32_e64 v3, s6, s11, v5, s6
	s_delay_alu instid0(VALU_DEP_2) | instskip(SKIP_1) | instid1(VALU_DEP_3)
	v_add_co_u32 v6, s6, v2, 64
	v_mov_b32_e32 v1, 0
	v_add_co_ci_u32_e64 v8, s6, 0, v3, s6
	s_delay_alu instid0(VALU_DEP_1) | instskip(NEXT) | instid1(VALU_DEP_4)
	v_cndmask_b32_e32 v9, s7, v8, vcc_lo
	v_cndmask_b32_e32 v8, 0, v6, vcc_lo
	s_delay_alu instid0(VALU_DEP_4)
	v_mov_b32_e32 v2, v1
	v_mov_b32_e32 v3, v1
	s_clause 0x1
	scratch_store_b32 off, v1, off
	scratch_store_b96 off, v[1:3], off offset:4
	flat_load_b128 v[8:11], v[8:9]
	s_waitcnt vmcnt(0) lgkmcnt(0)
	ds_store_b128 v7, v[8:11]
.LBB65_29:
	s_or_b32 exec_lo, exec_lo, s18
	v_lshl_add_u32 v6, v58, 3, v68
	s_delay_alu instid0(VALU_DEP_1) | instskip(NEXT) | instid1(VALU_DEP_1)
	v_mul_lo_u32 v1, s22, v6
	v_ashrrev_i32_e32 v2, 31, v1
	s_delay_alu instid0(VALU_DEP_1) | instskip(NEXT) | instid1(VALU_DEP_1)
	v_lshlrev_b64 v[1:2], 2, v[1:2]
	v_add_co_u32 v3, s6, s10, v1
	v_mov_b32_e32 v1, 0
	v_and_b32_e32 v15, 48, v66
	s_delay_alu instid0(VALU_DEP_4) | instskip(NEXT) | instid1(VALU_DEP_2)
	v_add_co_ci_u32_e64 v2, s6, s11, v2, s6
	v_add_co_u32 v8, s6, v3, v15
	s_delay_alu instid0(VALU_DEP_1)
	v_add_co_ci_u32_e64 v9, s6, 0, v2, s6
	v_mov_b32_e32 v2, v1
	v_cmp_gt_i32_e64 s6, s8, v6
	v_mov_b32_e32 v3, v1
	s_clause 0x1
	scratch_store_b32 off, v1, off
	scratch_store_b96 off, v[1:3], off offset:4
	v_cndmask_b32_e64 v11, s7, v9, s6
	v_cndmask_b32_e64 v10, 0, v8, s6
	flat_load_b128 v[11:14], v[10:11]
	v_mad_u32_u24 v10, 0x60, v6, v15
	v_mov_b32_e32 v6, v1
	s_waitcnt vmcnt(0) lgkmcnt(0)
	ds_store_b128 v10, v[11:14]
	s_waitcnt lgkmcnt(0)
	s_waitcnt_vscnt null, 0x0
	s_barrier
	buffer_gl0_inv
	ds_load_b128 v[11:14], v64
	ds_load_b128 v[15:18], v65 offset:3264
	s_waitcnt lgkmcnt(0)
	;;#ASMSTART
	v_dot2_f32_f16 v6, v11, v15, v6
	;;#ASMEND
	;;#ASMSTART
	v_dot2_f32_f16 v6, v12, v16, v6
	;;#ASMEND
	;;#ASMSTART
	v_dot2_f32_f16 v6, v13, v17, v6
	;;#ASMEND
	;;#ASMSTART
	v_dot2_f32_f16 v6, v14, v18, v6
	;;#ASMEND
	ds_load_b128 v[11:14], v64 offset:16
	ds_load_b128 v[15:18], v65 offset:3280
	s_waitcnt lgkmcnt(0)
	;;#ASMSTART
	v_dot2_f32_f16 v6, v11, v15, v6
	;;#ASMEND
	;;#ASMSTART
	v_dot2_f32_f16 v6, v12, v16, v6
	;;#ASMEND
	;;#ASMSTART
	v_dot2_f32_f16 v6, v13, v17, v6
	;;#ASMEND
	;;#ASMSTART
	v_dot2_f32_f16 v6, v14, v18, v6
	;;#ASMEND
	ds_load_b128 v[11:14], v64 offset:32
	ds_load_b128 v[15:18], v65 offset:3296
	s_waitcnt lgkmcnt(0)
	;;#ASMSTART
	v_dot2_f32_f16 v6, v11, v15, v6
	;;#ASMEND
	;;#ASMSTART
	v_dot2_f32_f16 v6, v12, v16, v6
	;;#ASMEND
	;;#ASMSTART
	v_dot2_f32_f16 v6, v13, v17, v6
	;;#ASMEND
	;;#ASMSTART
	v_dot2_f32_f16 v6, v14, v18, v6
	;;#ASMEND
	ds_load_b128 v[11:14], v64 offset:48
	ds_load_b128 v[15:18], v65 offset:3312
	s_waitcnt lgkmcnt(0)
	;;#ASMSTART
	v_dot2_f32_f16 v6, v11, v15, v6
	;;#ASMEND
	;;#ASMSTART
	v_dot2_f32_f16 v6, v12, v16, v6
	;;#ASMEND
	;;#ASMSTART
	v_dot2_f32_f16 v6, v13, v17, v6
	;;#ASMEND
	;;#ASMSTART
	v_dot2_f32_f16 v6, v14, v18, v6
	;;#ASMEND
	ds_load_b128 v[11:14], v64 offset:64
	ds_load_b128 v[15:18], v65 offset:3328
	s_waitcnt lgkmcnt(0)
	;;#ASMSTART
	v_dot2_f32_f16 v6, v11, v15, v6
	;;#ASMEND
	;;#ASMSTART
	v_dot2_f32_f16 v6, v12, v16, v6
	;;#ASMEND
	;; [unrolled: 3-line block ×4, first 2 shown]
	s_barrier
	buffer_gl0_inv
	s_and_saveexec_b32 s18, s5
	s_cbranch_execz .LBB65_31
; %bb.30:
	v_add_co_u32 v4, s5, s10, v4
	s_delay_alu instid0(VALU_DEP_1) | instskip(SKIP_4) | instid1(VALU_DEP_1)
	v_add_co_ci_u32_e64 v5, s5, s11, v5, s5
	s_clause 0x1
	scratch_store_b32 off, v1, off
	scratch_store_b96 off, v[1:3], off offset:4
	v_add_co_u32 v4, s5, 0x90, v4
	v_add_co_ci_u32_e64 v5, s5, 0, v5, s5
	s_delay_alu instid0(VALU_DEP_2) | instskip(NEXT) | instid1(VALU_DEP_2)
	v_cndmask_b32_e32 v4, 0, v4, vcc_lo
	v_cndmask_b32_e32 v5, s7, v5, vcc_lo
	flat_load_b128 v[11:14], v[4:5]
	s_waitcnt vmcnt(0) lgkmcnt(0)
	ds_store_b128 v7, v[11:14]
.LBB65_31:
	s_or_b32 exec_lo, exec_lo, s18
	v_add_co_u32 v4, vcc_lo, 0x50, v8
	v_add_co_ci_u32_e32 v5, vcc_lo, 0, v9, vcc_lo
	s_clause 0x1
	scratch_store_b32 off, v1, off
	scratch_store_b96 off, v[1:3], off offset:4
	v_cndmask_b32_e64 v4, 0, v4, s6
	s_mov_b32 s5, exec_lo
	v_cndmask_b32_e64 v5, s7, v5, s6
	flat_load_b128 v[1:4], v[4:5]
	s_waitcnt vmcnt(0) lgkmcnt(0)
	ds_store_b128 v10, v[1:4]
	s_waitcnt lgkmcnt(0)
	s_waitcnt_vscnt null, 0x0
	s_barrier
	buffer_gl0_inv
	ds_load_b128 v[1:4], v64
	ds_load_b128 v[7:10], v65 offset:3344
	s_waitcnt lgkmcnt(0)
	;;#ASMSTART
	v_dot2_f32_f16 v6, v1, v7, v6
	;;#ASMEND
	;;#ASMSTART
	v_dot2_f32_f16 v6, v2, v8, v6
	;;#ASMEND
	;;#ASMSTART
	v_dot2_f32_f16 v6, v3, v9, v6
	;;#ASMEND
	;;#ASMSTART
	v_dot2_f32_f16 v6, v4, v10, v6
	;;#ASMEND
	ds_load_b128 v[1:4], v64 offset:16
	ds_load_b128 v[7:10], v65 offset:3360
	s_waitcnt lgkmcnt(0)
	;;#ASMSTART
	v_dot2_f32_f16 v6, v1, v7, v6
	;;#ASMEND
	;;#ASMSTART
	v_dot2_f32_f16 v6, v2, v8, v6
	;;#ASMEND
	;;#ASMSTART
	v_dot2_f32_f16 v6, v3, v9, v6
	;;#ASMEND
	;;#ASMSTART
	v_dot2_f32_f16 v6, v4, v10, v6
	;;#ASMEND
	ds_load_b128 v[1:4], v64 offset:32
	;; [unrolled: 15-line block ×4, first 2 shown]
	ds_load_b128 v[7:10], v65 offset:3408
	v_mov_b32_e32 v1, v67
	s_waitcnt lgkmcnt(0)
	;;#ASMSTART
	v_dot2_f32_f16 v6, v2, v7, v6
	;;#ASMEND
	;;#ASMSTART
	v_dot2_f32_f16 v6, v3, v8, v6
	;;#ASMEND
	;; [unrolled: 3-line block ×4, first 2 shown]
	v_cmpx_gt_i32_e64 s8, v43
	s_cbranch_execz .LBB65_36
; %bb.32:
	s_cmp_eq_u64 s[40:41], 0
	s_cbranch_scc1 .LBB65_34
; %bb.33:
	v_mul_hi_u32 v1, s36, v44
	s_delay_alu instid0(VALU_DEP_1) | instskip(NEXT) | instid1(VALU_DEP_1)
	v_add_nc_u32_e32 v1, v44, v1
	v_lshrrev_b32_e32 v1, s37, v1
	s_delay_alu instid0(VALU_DEP_1) | instskip(NEXT) | instid1(VALU_DEP_1)
	v_mul_lo_u32 v1, v1, s38
	v_sub_nc_u32_e32 v1, v44, v1
	s_delay_alu instid0(VALU_DEP_1) | instskip(NEXT) | instid1(VALU_DEP_1)
	v_mul_lo_u32 v1, v1, s17
	v_add3_u32 v1, v1, v43, s16
	s_delay_alu instid0(VALU_DEP_1) | instskip(NEXT) | instid1(VALU_DEP_1)
	v_ashrrev_i32_e32 v2, 31, v1
	v_lshlrev_b64 v[1:2], 1, v[1:2]
	s_delay_alu instid0(VALU_DEP_1) | instskip(NEXT) | instid1(VALU_DEP_2)
	v_add_co_u32 v1, vcc_lo, s40, v1
	v_add_co_ci_u32_e32 v2, vcc_lo, s41, v2, vcc_lo
	flat_load_u16 v1, v[1:2]
	s_waitcnt vmcnt(0) lgkmcnt(0)
	v_cvt_f32_f16_e32 v1, v1
	s_delay_alu instid0(VALU_DEP_1)
	v_mul_f32_e32 v1, v60, v1
	s_branch .LBB65_35
.LBB65_34:
	v_mov_b32_e32 v1, 0
.LBB65_35:
	s_delay_alu instid0(VALU_DEP_1) | instskip(NEXT) | instid1(VALU_DEP_1)
	v_add_f32_e32 v6, v6, v1
	v_dual_max_f32 v2, v67, v67 :: v_dual_add_f32 v1, 0x40051340, v6
	s_delay_alu instid0(VALU_DEP_1)
	v_max_f32_e32 v1, v2, v1
.LBB65_36:
	s_or_b32 exec_lo, exec_lo, s5
	v_xor_b32_e32 v48, 16, v53
	v_xor_b32_e32 v49, 8, v53
	;; [unrolled: 1-line block ×5, first 2 shown]
	v_cmp_gt_i32_e32 vcc_lo, 32, v48
	s_load_b64 s[6:7], s[0:1], 0x4
	v_lshl_add_u32 v63, v58, 4, v63
	s_mul_hi_i32 s1, s16, s13
	s_mul_i32 s0, s16, s13
	v_cndmask_b32_e32 v2, v53, v48, vcc_lo
	v_cmp_gt_i32_e32 vcc_lo, 32, v49
	s_lshl_b64 s[10:11], s[0:1], 2
	v_bfe_u32 v0, v0, 20, 10
	v_lshl_add_u32 v5, v43, 1, v55
	s_waitcnt lgkmcnt(0)
	v_cndmask_b32_e32 v3, v53, v49, vcc_lo
	v_cmp_gt_i32_e32 vcc_lo, 32, v50
	s_barrier
	buffer_gl0_inv
	v_dual_mov_b32 v70, 32 :: v_dual_lshlrev_b32 v3, 2, v3
	v_lshlrev_b32_e32 v2, 2, v2
	s_lshr_b32 s1, s6, 16
	ds_bpermute_b32 v2, v2, v1
	v_max_f32_e32 v1, v1, v1
	s_mul_i32 s1, s1, s7
	s_add_u32 s5, s9, s10
	s_addc_u32 s10, s15, s11
	s_waitcnt lgkmcnt(0)
	v_max_f32_e32 v2, v2, v2
	s_delay_alu instid0(VALU_DEP_1) | instskip(SKIP_4) | instid1(VALU_DEP_2)
	v_max_f32_e32 v1, v1, v2
	ds_bpermute_b32 v2, v3, v1
	v_cndmask_b32_e32 v3, v53, v50, vcc_lo
	v_cmp_gt_i32_e32 vcc_lo, 32, v51
	s_waitcnt lgkmcnt(0)
	v_dual_max_f32 v2, v2, v2 :: v_dual_lshlrev_b32 v3, 2, v3
	s_delay_alu instid0(VALU_DEP_1) | instskip(SKIP_4) | instid1(VALU_DEP_2)
	v_max_f32_e32 v1, v1, v2
	ds_bpermute_b32 v2, v3, v1
	v_cndmask_b32_e32 v3, v53, v51, vcc_lo
	v_cmp_gt_i32_e32 vcc_lo, 32, v52
	s_waitcnt lgkmcnt(0)
	v_dual_max_f32 v2, v2, v2 :: v_dual_lshlrev_b32 v3, 2, v3
	s_delay_alu instid0(VALU_DEP_1) | instskip(SKIP_3) | instid1(VALU_DEP_1)
	v_max_f32_e32 v1, v1, v2
	ds_bpermute_b32 v2, v3, v1
	v_cndmask_b32_e32 v3, v53, v52, vcc_lo
	s_waitcnt lgkmcnt(0)
	v_dual_max_f32 v2, v2, v2 :: v_dual_lshlrev_b32 v3, 2, v3
	s_delay_alu instid0(VALU_DEP_1) | instskip(SKIP_3) | instid1(VALU_DEP_1)
	v_max_f32_e32 v1, v1, v2
	ds_bpermute_b32 v2, v3, v1
	s_waitcnt lgkmcnt(0)
	v_max_f32_e32 v2, v2, v2
	v_max_f32_e32 v45, v1, v2
	s_delay_alu instid0(VALU_DEP_1) | instskip(NEXT) | instid1(VALU_DEP_1)
	v_dual_sub_f32 v1, v6, v45 :: v_dual_and_b32 v6, 4, v59
	v_mul_f32_e32 v2, 0x3fb8aa3b, v1
	v_cmp_ngt_f32_e32 vcc_lo, 0xc2ce8ed0, v1
	v_cmp_nlt_f32_e64 s0, 0x42b17218, v1
	s_delay_alu instid0(VALU_DEP_4) | instskip(NEXT) | instid1(VALU_DEP_4)
	v_lshlrev_b32_e32 v66, 2, v6
	v_fma_f32 v3, 0x3fb8aa3b, v1, -v2
	v_rndne_f32_e32 v4, v2
	s_delay_alu instid0(VALU_DEP_1) | instskip(NEXT) | instid1(VALU_DEP_1)
	v_dual_fmac_f32 v3, 0x32a5705f, v1 :: v_dual_sub_f32 v2, v2, v4
	v_add_f32_e32 v2, v2, v3
	v_cvt_i32_f32_e32 v3, v4
	v_mul_u32_u24_e32 v4, 0xa0, v63
	s_delay_alu instid0(VALU_DEP_3) | instskip(SKIP_3) | instid1(VALU_DEP_2)
	v_exp_f32_e32 v2, v2
	s_waitcnt_depctr 0xfff
	v_ldexp_f32 v2, v2, v3
	v_mul_lo_u32 v3, s13, v63
	v_cndmask_b32_e32 v2, 0, v2, vcc_lo
	v_cmp_gt_u32_e32 vcc_lo, 16, v63
	s_delay_alu instid0(VALU_DEP_2) | instskip(SKIP_3) | instid1(VALU_DEP_3)
	v_cndmask_b32_e64 v1, 0x7f800000, v2, s0
	v_cmp_gt_u32_e64 s0, s8, v43
	v_lshl_or_b32 v2, v6, 2, v4
	v_ashrrev_i32_e32 v4, 31, v3
	v_cndmask_b32_e64 v60, 0, v1, s0
	s_delay_alu instid0(VALU_DEP_3) | instskip(NEXT) | instid1(VALU_DEP_3)
	v_add_nc_u32_e32 v64, 0x80, v2
	v_lshlrev_b64 v[41:42], 2, v[3:4]
	v_mul_u32_u24_e32 v1, s7, v58
	v_mul_u32_u24_e32 v2, s1, v43
	v_cvt_f16_f32_e32 v7, v60
	s_mov_b64 s[0:1], src_private_base
	ds_store_b16 v5, v7
	s_and_saveexec_b32 s6, vcc_lo
	s_cbranch_execz .LBB65_38
; %bb.37:
	v_add_co_u32 v3, s0, s5, v41
	s_delay_alu instid0(VALU_DEP_1) | instskip(NEXT) | instid1(VALU_DEP_2)
	v_add_co_ci_u32_e64 v4, s0, s10, v42, s0
	v_add_co_u32 v5, s0, v3, v66
	s_delay_alu instid0(VALU_DEP_1) | instskip(SKIP_1) | instid1(VALU_DEP_3)
	v_add_co_ci_u32_e64 v4, s0, 0, v4, s0
	v_mov_b32_e32 v3, 0
	v_add_co_u32 v6, s0, 0x80, v5
	s_delay_alu instid0(VALU_DEP_1) | instskip(SKIP_1) | instid1(VALU_DEP_4)
	v_add_co_ci_u32_e64 v7, s0, 0, v4, s0
	v_cmp_gt_i32_e64 s0, s8, v63
	v_mov_b32_e32 v4, v3
	v_mov_b32_e32 v5, v3
	s_clause 0x1
	scratch_store_b32 off, v3, off
	scratch_store_b96 off, v[3:5], off offset:4
	v_cndmask_b32_e64 v7, s1, v7, s0
	v_cndmask_b32_e64 v6, 0, v6, s0
	flat_load_b128 v[3:6], v[6:7]
	s_waitcnt vmcnt(0) lgkmcnt(0)
	ds_store_b128 v64, v[3:6]
.LBB65_38:
	s_or_b32 exec_lo, exec_lo, s6
	v_lshl_add_u32 v65, v58, 2, v61
	v_dual_mov_b32 v40, 0 :: v_dual_add_nc_u32 v1, v2, v1
	v_dual_sub_f32 v61, v67, v45 :: v_dual_and_b32 v2, 28, v59
	s_delay_alu instid0(VALU_DEP_3) | instskip(NEXT) | instid1(VALU_DEP_3)
	v_mul_lo_u32 v3, s13, v65
	v_add_lshl_u32 v0, v1, v0, 4
	s_mov_b64 s[6:7], src_shared_base
	s_delay_alu instid0(VALU_DEP_3) | instskip(SKIP_4) | instid1(VALU_DEP_1)
	v_lshlrev_b32_e32 v69, 2, v2
	v_add_nc_u32_e32 v58, 0x800, v54
	v_add_nc_u32_e32 v59, 0x400, v54
	;; [unrolled: 1-line block ×3, first 2 shown]
	v_ashrrev_i32_e32 v4, 31, v3
	v_lshlrev_b64 v[46:47], 2, v[3:4]
	v_add_nc_u32_e32 v4, 0x1000, v0
	s_delay_alu instid0(VALU_DEP_2) | instskip(NEXT) | instid1(VALU_DEP_1)
	v_add_co_u32 v1, s0, s5, v46
	v_add_co_ci_u32_e64 v2, s0, s10, v47, s0
	s_or_b32 s5, s16, 16
	s_delay_alu instid0(VALU_DEP_2) | instskip(NEXT) | instid1(VALU_DEP_1)
	v_add_co_u32 v3, s0, v1, v69
	v_add_co_ci_u32_e64 v1, s0, 0, v2, s0
	v_cmp_gt_i32_e64 s0, s8, v65
	v_add_nc_u32_e32 v2, 0x1044, v0
	ds_store_2addr_b32 v2, v40, v40 offset1:1
	ds_store_2addr_b32 v4, v40, v40 offset0:16 offset1:19
	v_mul_f32_e32 v4, 0x3fb8aa3b, v61
	v_cndmask_b32_e64 v1, s7, v1, s0
	v_cndmask_b32_e64 v0, v68, v3, s0
	v_mad_u32_u24 v67, 0xa0, v65, v69
	v_cmp_ngt_f32_e64 s0, 0xc2ce8ed0, v61
	v_fma_f32 v5, 0x3fb8aa3b, v61, -v4
	v_rndne_f32_e32 v6, v4
	flat_load_b128 v[0:3], v[0:1]
	s_mul_hi_i32 s11, s5, s13
	s_mul_i32 s10, s5, s13
	v_dual_fmac_f32 v5, 0x32a5705f, v61 :: v_dual_sub_f32 v4, v4, v6
	s_lshl_b64 s[10:11], s[10:11], 2
	s_delay_alu instid0(VALU_DEP_1) | instskip(SKIP_1) | instid1(VALU_DEP_2)
	v_add_f32_e32 v4, v4, v5
	v_cvt_i32_f32_e32 v5, v6
	v_exp_f32_e32 v4, v4
	s_waitcnt_depctr 0xfff
	v_ldexp_f32 v71, v4, v5
	s_delay_alu instid0(VALU_DEP_1) | instskip(SKIP_1) | instid1(VALU_DEP_1)
	v_cndmask_b32_e64 v71, 0, v71, s0
	v_cmp_nlt_f32_e64 s0, 0x42b17218, v61
	v_cndmask_b32_e64 v61, 0x7f800000, v71, s0
	s_add_u32 s0, s9, s10
	s_addc_u32 s5, s15, s11
	s_add_i32 s8, s8, -16
	s_waitcnt vmcnt(0) lgkmcnt(0)
	ds_store_b128 v67, v[0:3]
	s_waitcnt lgkmcnt(0)
	s_waitcnt_vscnt null, 0x0
	s_barrier
	buffer_gl0_inv
	ds_load_2addr_b64 v[36:39], v54 offset1:20
	ds_load_b128 v[16:19], v55
	ds_load_b128 v[0:3], v55 offset:16
	ds_load_2addr_b64 v[32:35], v54 offset0:40 offset1:60
	ds_load_2addr_b64 v[28:31], v54 offset0:80 offset1:100
	;; [unrolled: 1-line block ×7, first 2 shown]
	s_waitcnt lgkmcnt(0)
	s_barrier
	buffer_gl0_inv
	s_and_saveexec_b32 s6, vcc_lo
	s_cbranch_execz .LBB65_40
; %bb.39:
	v_add_co_u32 v41, vcc_lo, s0, v41
	v_add_co_ci_u32_e32 v42, vcc_lo, s5, v42, vcc_lo
	s_delay_alu instid0(VALU_DEP_2) | instskip(NEXT) | instid1(VALU_DEP_2)
	v_add_co_u32 v41, vcc_lo, v41, v66
	v_add_co_ci_u32_e32 v42, vcc_lo, 0, v42, vcc_lo
	s_delay_alu instid0(VALU_DEP_2) | instskip(NEXT) | instid1(VALU_DEP_2)
	v_add_co_u32 v66, vcc_lo, 0x80, v41
	v_add_co_ci_u32_e32 v71, vcc_lo, 0, v42, vcc_lo
	v_cmp_gt_i32_e32 vcc_lo, s8, v63
	v_mov_b32_e32 v41, v40
	v_mov_b32_e32 v42, v40
	s_delay_alu instid0(VALU_DEP_4)
	v_cndmask_b32_e32 v72, s1, v71, vcc_lo
	v_cndmask_b32_e32 v71, 0, v66, vcc_lo
	s_clause 0x1
	scratch_store_b32 off, v40, off
	scratch_store_b96 off, v[40:42], off offset:4
	flat_load_b128 v[71:74], v[71:72]
	s_waitcnt vmcnt(0) lgkmcnt(0)
	ds_store_b128 v64, v[71:74]
.LBB65_40:
	s_or_b32 exec_lo, exec_lo, s6
	v_add_co_u32 v41, vcc_lo, s0, v46
	v_add_co_ci_u32_e32 v42, vcc_lo, s5, v47, vcc_lo
	ds_store_2addr_b32 v68, v40, v40 offset0:1 offset1:2
	ds_store_2addr_b32 v68, v40, v40 offset1:3
	v_add_co_u32 v41, vcc_lo, v41, v69
	v_add_co_ci_u32_e32 v42, vcc_lo, 0, v42, vcc_lo
	v_cmp_gt_i32_e32 vcc_lo, s8, v65
	v_cvt_f16_f32_e32 v40, v61
	v_pk_mul_f16 v36, v36, v16 op_sel_hi:[1,0]
	v_pk_mul_f16 v37, v37, v16 op_sel_hi:[1,0]
	v_fmac_f32_e32 v60, v62, v61
	v_cndmask_b32_e32 v42, s7, v42, vcc_lo
	v_cndmask_b32_e32 v41, v68, v41, vcc_lo
	v_pk_fma_f16 v36, v56, v40, v36 op_sel_hi:[1,0,1]
	v_pk_fma_f16 v37, v57, v40, v37 op_sel_hi:[1,0,1]
	v_mov_b32_e32 v62, v60
	flat_load_b128 v[63:66], v[41:42]
	v_pk_fma_f16 v36, v38, v16, v36 op_sel:[0,1,0]
	v_pk_fma_f16 v16, v39, v16, v37 op_sel:[0,1,0]
	s_delay_alu instid0(VALU_DEP_2) | instskip(NEXT) | instid1(VALU_DEP_2)
	v_pk_fma_f16 v32, v32, v17, v36 op_sel_hi:[1,0,1]
	v_pk_fma_f16 v16, v33, v17, v16 op_sel_hi:[1,0,1]
	s_delay_alu instid0(VALU_DEP_2) | instskip(NEXT) | instid1(VALU_DEP_2)
	v_pk_fma_f16 v32, v34, v17, v32 op_sel:[0,1,0]
	v_pk_fma_f16 v16, v35, v17, v16 op_sel:[0,1,0]
	s_delay_alu instid0(VALU_DEP_2) | instskip(NEXT) | instid1(VALU_DEP_2)
	v_pk_fma_f16 v17, v28, v18, v32 op_sel_hi:[1,0,1]
	v_pk_fma_f16 v16, v29, v18, v16 op_sel_hi:[1,0,1]
	s_delay_alu instid0(VALU_DEP_2) | instskip(NEXT) | instid1(VALU_DEP_2)
	;; [unrolled: 6-line block ×7, first 2 shown]
	v_pk_fma_f16 v20, v6, v3, v1 op_sel:[0,1,0]
	v_pk_fma_f16 v21, v7, v3, v0 op_sel:[0,1,0]
	s_waitcnt vmcnt(0) lgkmcnt(0)
	ds_store_b128 v67, v[63:66]
	s_waitcnt lgkmcnt(0)
	s_waitcnt_vscnt null, 0x0
	s_barrier
	buffer_gl0_inv
	ds_load_2addr_b64 v[12:15], v54 offset1:20
	ds_load_b128 v[16:19], v55 offset:32
	ds_load_2addr_b64 v[8:11], v54 offset0:40 offset1:60
	ds_load_b128 v[0:3], v55 offset:48
	ds_load_2addr_b64 v[4:7], v54 offset0:80 offset1:100
	s_waitcnt lgkmcnt(3)
	v_pk_fma_f16 v12, v12, v16, v20 op_sel_hi:[1,0,1]
	v_pk_fma_f16 v13, v13, v16, v21 op_sel_hi:[1,0,1]
	s_delay_alu instid0(VALU_DEP_2) | instskip(NEXT) | instid1(VALU_DEP_2)
	v_pk_fma_f16 v20, v14, v16, v12 op_sel:[0,1,0]
	v_pk_fma_f16 v16, v15, v16, v13 op_sel:[0,1,0]
	ds_load_2addr_b64 v[12:15], v54 offset0:120 offset1:140
	s_waitcnt lgkmcnt(3)
	v_pk_fma_f16 v8, v8, v17, v20 op_sel_hi:[1,0,1]
	v_pk_fma_f16 v9, v9, v17, v16 op_sel_hi:[1,0,1]
	s_delay_alu instid0(VALU_DEP_2) | instskip(NEXT) | instid1(VALU_DEP_2)
	v_pk_fma_f16 v16, v10, v17, v8 op_sel:[0,1,0]
	v_pk_fma_f16 v17, v11, v17, v9 op_sel:[0,1,0]
	;; [unrolled: 7-line block ×5, first 2 shown]
	ds_load_2addr_b64 v[8:11], v58 offset0:24 offset1:44
	s_waitcnt lgkmcnt(0)
	s_barrier
	v_pk_fma_f16 v4, v4, v1, v16 op_sel_hi:[1,0,1]
	v_pk_fma_f16 v0, v5, v1, v0 op_sel_hi:[1,0,1]
	buffer_gl0_inv
	v_pk_fma_f16 v4, v6, v1, v4 op_sel:[0,1,0]
	v_pk_fma_f16 v0, v7, v1, v0 op_sel:[0,1,0]
	s_delay_alu instid0(VALU_DEP_2) | instskip(NEXT) | instid1(VALU_DEP_2)
	v_pk_fma_f16 v1, v12, v2, v4 op_sel_hi:[1,0,1]
	v_pk_fma_f16 v0, v13, v2, v0 op_sel_hi:[1,0,1]
	s_delay_alu instid0(VALU_DEP_2) | instskip(NEXT) | instid1(VALU_DEP_2)
	v_pk_fma_f16 v1, v14, v2, v1 op_sel:[0,1,0]
	v_pk_fma_f16 v0, v15, v2, v0 op_sel:[0,1,0]
	s_delay_alu instid0(VALU_DEP_2) | instskip(NEXT) | instid1(VALU_DEP_2)
	v_pk_fma_f16 v1, v8, v3, v1 op_sel_hi:[1,0,1]
	v_pk_fma_f16 v0, v9, v3, v0 op_sel_hi:[1,0,1]
	s_delay_alu instid0(VALU_DEP_2) | instskip(SKIP_1) | instid1(VALU_DEP_3)
	v_pk_fma_f16 v56, v10, v3, v1 op_sel:[0,1,0]
	v_mov_b32_e32 v1, v53
	v_pk_fma_f16 v57, v11, v3, v0 op_sel:[0,1,0]
.LBB65_41:
	v_cmp_lt_i32_e32 vcc_lo, v48, v70
	s_cmp_eq_u64 s[24:25], 0
	s_cselect_b32 s0, -1, 0
	s_cmp_lg_u32 s14, 0
	v_cndmask_b32_e32 v0, v1, v48, vcc_lo
	v_cmp_lt_i32_e32 vcc_lo, v49, v70
	s_cselect_b32 s1, -1, 0
	s_delay_alu instid0(SALU_CYCLE_1) | instskip(SKIP_2) | instid1(VALU_DEP_2)
	s_or_b32 s0, s1, s0
	v_cndmask_b32_e32 v2, v1, v49, vcc_lo
	v_cmp_lt_i32_e32 vcc_lo, v50, v70
	v_lshlrev_b32_e32 v2, 2, v2
	v_cndmask_b32_e32 v3, v1, v50, vcc_lo
	v_cmp_lt_i32_e32 vcc_lo, v51, v70
	s_delay_alu instid0(VALU_DEP_2)
	v_lshlrev_b32_e32 v3, 2, v3
	v_lshlrev_b32_e32 v0, 2, v0
	ds_bpermute_b32 v0, v0, v62
	s_waitcnt lgkmcnt(0)
	v_add_f32_e32 v0, v62, v0
	ds_bpermute_b32 v2, v2, v0
	s_waitcnt lgkmcnt(0)
	v_add_f32_e32 v0, v0, v2
	ds_bpermute_b32 v2, v3, v0
	v_cndmask_b32_e32 v3, v1, v51, vcc_lo
	v_cmp_lt_i32_e32 vcc_lo, v52, v70
	s_delay_alu instid0(VALU_DEP_2) | instskip(SKIP_3) | instid1(VALU_DEP_1)
	v_lshlrev_b32_e32 v3, 2, v3
	v_cndmask_b32_e32 v1, v1, v52, vcc_lo
	s_and_b32 vcc_lo, exec_lo, s0
	s_waitcnt lgkmcnt(0)
	v_dual_add_f32 v0, v0, v2 :: v_dual_lshlrev_b32 v1, 2, v1
	ds_bpermute_b32 v2, v3, v0
	s_waitcnt lgkmcnt(0)
	v_add_f32_e32 v0, v0, v2
	ds_bpermute_b32 v1, v1, v0
	s_waitcnt lgkmcnt(0)
	v_add_f32_e32 v46, v0, v1
	s_cbranch_vccnz .LBB65_43
; %bb.42:
	s_lshl_b64 s[0:1], s[34:35], 2
	v_dual_mov_b32 v0, 0 :: v_dual_max_f32 v1, v45, v45
	s_add_u32 s0, s24, s0
	s_addc_u32 s1, s25, s1
	global_load_b32 v0, v0, s[0:1]
	s_waitcnt vmcnt(0)
	v_max_f32_e32 v2, v0, v0
	s_delay_alu instid0(VALU_DEP_1) | instskip(NEXT) | instid1(VALU_DEP_1)
	v_max_f32_e32 v1, v1, v2
	v_sub_f32_e32 v0, v0, v1
	s_delay_alu instid0(VALU_DEP_1) | instskip(NEXT) | instid1(VALU_DEP_1)
	v_mul_f32_e32 v4, 0x3fb8aa3b, v0
	v_fma_f32 v7, 0x3fb8aa3b, v0, -v4
	v_sub_f32_e32 v2, v45, v1
	v_rndne_f32_e32 v8, v4
	v_mov_b32_e32 v45, v1
	s_delay_alu instid0(VALU_DEP_4) | instskip(NEXT) | instid1(VALU_DEP_3)
	v_fmac_f32_e32 v7, 0x32a5705f, v0
	v_dual_mul_f32 v3, 0x3fb8aa3b, v2 :: v_dual_sub_f32 v4, v4, v8
	v_cmp_ngt_f32_e32 vcc_lo, 0xc2ce8ed0, v2
	s_delay_alu instid0(VALU_DEP_2) | instskip(SKIP_1) | instid1(VALU_DEP_2)
	v_fma_f32 v5, 0x3fb8aa3b, v2, -v3
	v_rndne_f32_e32 v6, v3
	v_dual_add_f32 v4, v4, v7 :: v_dual_fmac_f32 v5, 0x32a5705f, v2
	s_delay_alu instid0(VALU_DEP_2) | instskip(NEXT) | instid1(VALU_DEP_2)
	v_sub_f32_e32 v3, v3, v6
	v_exp_f32_e32 v4, v4
	s_delay_alu instid0(VALU_DEP_1) | instskip(SKIP_2) | instid1(VALU_DEP_3)
	v_add_f32_e32 v3, v3, v5
	v_cvt_i32_f32_e32 v5, v6
	v_cvt_i32_f32_e32 v6, v8
	v_exp_f32_e32 v3, v3
	s_waitcnt_depctr 0xfff
	v_ldexp_f32 v4, v4, v6
	v_ldexp_f32 v3, v3, v5
	s_delay_alu instid0(VALU_DEP_1) | instskip(SKIP_1) | instid1(VALU_DEP_4)
	v_cndmask_b32_e32 v3, 0, v3, vcc_lo
	v_cmp_ngt_f32_e32 vcc_lo, 0xc2ce8ed0, v0
	v_cndmask_b32_e32 v4, 0, v4, vcc_lo
	v_cmp_nlt_f32_e32 vcc_lo, 0x42b17218, v2
	s_delay_alu instid0(VALU_DEP_4) | instskip(SKIP_1) | instid1(VALU_DEP_2)
	v_cndmask_b32_e32 v2, 0x7f800000, v3, vcc_lo
	v_cmp_nlt_f32_e32 vcc_lo, 0x42b17218, v0
	v_cvt_f16_f32_e32 v3, v2
	v_cndmask_b32_e32 v0, 0x7f800000, v4, vcc_lo
	s_delay_alu instid0(VALU_DEP_2) | instskip(NEXT) | instid1(VALU_DEP_2)
	v_pk_mul_f16 v56, v3, v56 op_sel_hi:[0,1]
	v_fmac_f32_e32 v0, v46, v2
	v_pk_mul_f16 v57, v3, v57 op_sel_hi:[0,1]
	s_delay_alu instid0(VALU_DEP_2)
	v_mov_b32_e32 v46, v0
.LBB65_43:
	s_mov_b32 s0, exec_lo
	v_cmpx_gt_i32_e64 s38, v44
	s_cbranch_execz .LBB65_48
; %bb.44:
	s_load_b32 s0, s[2:3], 0xd4
	v_mad_u64_u32 v[0:1], null, s12, s38, v[44:45]
	s_delay_alu instid0(VALU_DEP_1) | instskip(SKIP_1) | instid1(VALU_DEP_1)
	v_mad_u64_u32 v[2:3], null, v0, s39, s[34:35]
	s_waitcnt lgkmcnt(0)
	v_mad_u64_u32 v[0:1], null, s0, v2, s[14:15]
	s_cmp_lg_u32 s0, 1
	s_cselect_b32 s0, -1, 0
	s_and_saveexec_b32 s1, s4
	s_cbranch_execz .LBB65_46
; %bb.45:
	v_div_scale_f32 v1, null, v46, v46, 1.0
	v_div_scale_f32 v4, vcc_lo, 1.0, v46, 1.0
	v_lshrrev_b32_e32 v6, 16, v56
	s_delay_alu instid0(VALU_DEP_3) | instskip(SKIP_1) | instid1(VALU_DEP_2)
	v_rcp_f32_e32 v2, v1
	v_cvt_f32_f16_e32 v9, v56
	v_cvt_f32_f16_e32 v8, v6
	s_waitcnt_depctr 0xfff
	v_fma_f32 v3, -v1, v2, 1.0
	s_delay_alu instid0(VALU_DEP_1) | instskip(NEXT) | instid1(VALU_DEP_1)
	v_fmac_f32_e32 v2, v3, v2
	v_mul_f32_e32 v3, v4, v2
	s_delay_alu instid0(VALU_DEP_1) | instskip(NEXT) | instid1(VALU_DEP_1)
	v_fma_f32 v5, -v1, v3, v4
	v_fmac_f32_e32 v3, v5, v2
	s_delay_alu instid0(VALU_DEP_1) | instskip(SKIP_1) | instid1(VALU_DEP_2)
	v_fma_f32 v1, -v1, v3, v4
	v_lshrrev_b32_e32 v4, 16, v57
	v_div_fmas_f32 v1, v1, v2, v3
	v_mul_lo_u32 v3, 0x50, v0
	v_mov_b32_e32 v2, 0
	s_delay_alu instid0(VALU_DEP_4) | instskip(NEXT) | instid1(VALU_DEP_4)
	v_cvt_f32_f16_e32 v4, v4
	v_div_fixup_f32 v5, v1, v46, 1.0
	s_delay_alu instid0(VALU_DEP_4) | instskip(NEXT) | instid1(VALU_DEP_2)
	v_lshl_add_u32 v1, v43, 2, v3
	v_cndmask_b32_e64 v7, v5, 1.0, s0
	v_cvt_f32_f16_e32 v3, v57
	s_delay_alu instid0(VALU_DEP_3) | instskip(NEXT) | instid1(VALU_DEP_3)
	v_lshlrev_b64 v[5:6], 2, v[1:2]
	v_mul_f32_e32 v4, v7, v4
	s_delay_alu instid0(VALU_DEP_3)
	v_mul_f32_e32 v3, v7, v3
	v_mul_f32_e32 v2, v7, v8
	;; [unrolled: 1-line block ×3, first 2 shown]
	v_add_co_u32 v5, vcc_lo, s28, v5
	v_add_co_ci_u32_e32 v6, vcc_lo, s29, v6, vcc_lo
	global_store_b128 v[5:6], v[1:4], off
.LBB65_46:
	s_or_b32 exec_lo, exec_lo, s1
	v_cmp_eq_u32_e32 vcc_lo, 0, v43
	s_and_b32 s0, vcc_lo, s0
	s_delay_alu instid0(SALU_CYCLE_1)
	s_and_b32 exec_lo, exec_lo, s0
	s_cbranch_execz .LBB65_48
; %bb.47:
	v_ashrrev_i32_e32 v1, 31, v0
	s_delay_alu instid0(VALU_DEP_1) | instskip(NEXT) | instid1(VALU_DEP_1)
	v_lshlrev_b64 v[0:1], 3, v[0:1]
	v_add_co_u32 v0, vcc_lo, s30, v0
	s_delay_alu instid0(VALU_DEP_2)
	v_add_co_ci_u32_e32 v1, vcc_lo, s31, v1, vcc_lo
	global_store_b64 v[0:1], v[45:46], off
.LBB65_48:
	s_nop 0
	s_sendmsg sendmsg(MSG_DEALLOC_VGPRS)
	s_endpgm
	.section	.rodata,"a",@progbits
	.p2align	6, 0x0
	.amdhsa_kernel _ZL15flash_attn_tileILi80ELi80ELi4ELi1ELb0EEvPKcS1_S1_S1_S1_PKiPfP15HIP_vector_typeIfLj2EEffffjfiS5_IjLj3EEiiiiiiiiiiiliiliiiiil
		.amdhsa_group_segment_fixed_size 6208
		.amdhsa_private_segment_fixed_size 32
		.amdhsa_kernarg_size 464
		.amdhsa_user_sgpr_count 13
		.amdhsa_user_sgpr_dispatch_ptr 1
		.amdhsa_user_sgpr_queue_ptr 0
		.amdhsa_user_sgpr_kernarg_segment_ptr 1
		.amdhsa_user_sgpr_dispatch_id 0
		.amdhsa_user_sgpr_private_segment_size 0
		.amdhsa_wavefront_size32 1
		.amdhsa_uses_dynamic_stack 0
		.amdhsa_enable_private_segment 1
		.amdhsa_system_sgpr_workgroup_id_x 1
		.amdhsa_system_sgpr_workgroup_id_y 1
		.amdhsa_system_sgpr_workgroup_id_z 1
		.amdhsa_system_sgpr_workgroup_info 0
		.amdhsa_system_vgpr_workitem_id 2
		.amdhsa_next_free_vgpr 89
		.amdhsa_next_free_sgpr 48
		.amdhsa_reserve_vcc 1
		.amdhsa_float_round_mode_32 0
		.amdhsa_float_round_mode_16_64 0
		.amdhsa_float_denorm_mode_32 3
		.amdhsa_float_denorm_mode_16_64 3
		.amdhsa_dx10_clamp 1
		.amdhsa_ieee_mode 1
		.amdhsa_fp16_overflow 0
		.amdhsa_workgroup_processor_mode 1
		.amdhsa_memory_ordered 1
		.amdhsa_forward_progress 0
		.amdhsa_shared_vgpr_count 0
		.amdhsa_exception_fp_ieee_invalid_op 0
		.amdhsa_exception_fp_denorm_src 0
		.amdhsa_exception_fp_ieee_div_zero 0
		.amdhsa_exception_fp_ieee_overflow 0
		.amdhsa_exception_fp_ieee_underflow 0
		.amdhsa_exception_fp_ieee_inexact 0
		.amdhsa_exception_int_div_zero 0
	.end_amdhsa_kernel
	.section	.text._ZL15flash_attn_tileILi80ELi80ELi4ELi1ELb0EEvPKcS1_S1_S1_S1_PKiPfP15HIP_vector_typeIfLj2EEffffjfiS5_IjLj3EEiiiiiiiiiiiliiliiiiil,"axG",@progbits,_ZL15flash_attn_tileILi80ELi80ELi4ELi1ELb0EEvPKcS1_S1_S1_S1_PKiPfP15HIP_vector_typeIfLj2EEffffjfiS5_IjLj3EEiiiiiiiiiiiliiliiiiil,comdat
.Lfunc_end65:
	.size	_ZL15flash_attn_tileILi80ELi80ELi4ELi1ELb0EEvPKcS1_S1_S1_S1_PKiPfP15HIP_vector_typeIfLj2EEffffjfiS5_IjLj3EEiiiiiiiiiiiliiliiiiil, .Lfunc_end65-_ZL15flash_attn_tileILi80ELi80ELi4ELi1ELb0EEvPKcS1_S1_S1_S1_PKiPfP15HIP_vector_typeIfLj2EEffffjfiS5_IjLj3EEiiiiiiiiiiiliiliiiiil
                                        ; -- End function
	.section	.AMDGPU.csdata,"",@progbits
; Kernel info:
; codeLenInByte = 10540
; NumSgprs: 50
; NumVgprs: 89
; ScratchSize: 32
; MemoryBound: 0
; FloatMode: 240
; IeeeMode: 1
; LDSByteSize: 6208 bytes/workgroup (compile time only)
; SGPRBlocks: 6
; VGPRBlocks: 11
; NumSGPRsForWavesPerEU: 50
; NumVGPRsForWavesPerEU: 89
; Occupancy: 16
; WaveLimiterHint : 1
; COMPUTE_PGM_RSRC2:SCRATCH_EN: 1
; COMPUTE_PGM_RSRC2:USER_SGPR: 13
; COMPUTE_PGM_RSRC2:TRAP_HANDLER: 0
; COMPUTE_PGM_RSRC2:TGID_X_EN: 1
; COMPUTE_PGM_RSRC2:TGID_Y_EN: 1
; COMPUTE_PGM_RSRC2:TGID_Z_EN: 1
; COMPUTE_PGM_RSRC2:TIDIG_COMP_CNT: 2
	.section	.text._ZL33flash_attn_stream_k_fixup_uniformILi80ELi4ELi1EEvPfPK15HIP_vector_typeIfLj2EEiiiiiiS1_IjLj3EES5_S5_,"axG",@progbits,_ZL33flash_attn_stream_k_fixup_uniformILi80ELi4ELi1EEvPfPK15HIP_vector_typeIfLj2EEiiiiiiS1_IjLj3EES5_S5_,comdat
	.globl	_ZL33flash_attn_stream_k_fixup_uniformILi80ELi4ELi1EEvPfPK15HIP_vector_typeIfLj2EEiiiiiiS1_IjLj3EES5_S5_ ; -- Begin function _ZL33flash_attn_stream_k_fixup_uniformILi80ELi4ELi1EEvPfPK15HIP_vector_typeIfLj2EEiiiiiiS1_IjLj3EES5_S5_
	.p2align	8
	.type	_ZL33flash_attn_stream_k_fixup_uniformILi80ELi4ELi1EEvPfPK15HIP_vector_typeIfLj2EEiiiiiiS1_IjLj3EES5_S5_,@function
_ZL33flash_attn_stream_k_fixup_uniformILi80ELi4ELi1EEvPfPK15HIP_vector_typeIfLj2EEiiiiiiS1_IjLj3EES5_S5_: ; @_ZL33flash_attn_stream_k_fixup_uniformILi80ELi4ELi1EEvPfPK15HIP_vector_typeIfLj2EEiiiiiiS1_IjLj3EES5_S5_
; %bb.0:
	s_clause 0x1
	s_load_b256 s[4:11], s[0:1], 0x1c
	s_load_b128 s[16:19], s[0:1], 0x3c
	s_waitcnt lgkmcnt(0)
	s_mul_hi_u32 s2, s7, s13
	s_delay_alu instid0(SALU_CYCLE_1) | instskip(NEXT) | instid1(SALU_CYCLE_1)
	s_add_i32 s2, s13, s2
	s_lshr_b32 s2, s2, s8
	s_delay_alu instid0(SALU_CYCLE_1) | instskip(SKIP_2) | instid1(SALU_CYCLE_1)
	s_mul_i32 s3, s2, s9
	s_load_b64 s[8:9], s[0:1], 0x10
	s_sub_i32 s3, s13, s3
	s_mul_hi_u32 s7, s3, s10
	s_delay_alu instid0(SALU_CYCLE_1) | instskip(NEXT) | instid1(SALU_CYCLE_1)
	s_add_i32 s7, s3, s7
	s_lshr_b32 s7, s7, s11
	s_delay_alu instid0(SALU_CYCLE_1) | instskip(NEXT) | instid1(SALU_CYCLE_1)
	s_mul_i32 s10, s7, s16
	s_sub_i32 s3, s3, s10
	s_delay_alu instid0(SALU_CYCLE_1) | instskip(NEXT) | instid1(SALU_CYCLE_1)
	s_mul_hi_u32 s10, s3, s17
	s_add_i32 s10, s3, s10
	s_delay_alu instid0(SALU_CYCLE_1) | instskip(NEXT) | instid1(SALU_CYCLE_1)
	s_lshr_b32 s11, s10, s18
	s_mul_i32 s10, s11, s19
	s_delay_alu instid0(SALU_CYCLE_1) | instskip(NEXT) | instid1(SALU_CYCLE_1)
	s_sub_i32 s10, s3, s10
	s_lshl_b32 s3, s10, 2
	s_delay_alu instid0(SALU_CYCLE_1) | instskip(SKIP_4) | instid1(SALU_CYCLE_1)
	s_add_i32 s3, s3, s14
	s_waitcnt lgkmcnt(0)
	s_cmp_lt_i32 s3, s8
	s_cselect_b32 s3, -1, 0
	s_add_i32 s11, s11, s15
	s_cmp_lt_i32 s11, s5
	s_cselect_b32 s12, -1, 0
	s_delay_alu instid0(SALU_CYCLE_1) | instskip(NEXT) | instid1(SALU_CYCLE_1)
	s_and_b32 s3, s3, s12
	s_and_not1_b32 vcc_lo, exec_lo, s3
	s_cbranch_vccnz .LBB66_6
; %bb.1:
	s_mul_i32 s8, s2, s8
	s_mul_i32 s7, s7, s5
	s_add_i32 s8, s8, s14
	s_add_i32 s5, s11, s7
	s_mul_i32 s8, s8, s9
	s_load_b128 s[0:3], s[0:1], 0x0
	s_mul_i32 s7, s9, s10
	s_add_i32 s5, s5, s8
	s_mulk_i32 s7, 0x140
	s_mulk_i32 s5, 0x50
	s_add_i32 s10, s14, s15
	v_add3_u32 v1, s5, s7, v0
	s_mul_i32 s5, s13, s6
	s_delay_alu instid0(SALU_CYCLE_1) | instskip(NEXT) | instid1(VALU_DEP_1)
	s_add_i32 s9, s5, s6
	v_ashrrev_i32_e32 v2, 31, v1
	s_delay_alu instid0(VALU_DEP_1) | instskip(SKIP_1) | instid1(VALU_DEP_1)
	v_lshlrev_b64 v[1:2], 2, v[1:2]
	s_waitcnt lgkmcnt(0)
	v_add_co_u32 v1, vcc_lo, s0, v1
	s_delay_alu instid0(VALU_DEP_2) | instskip(SKIP_1) | instid1(SALU_CYCLE_1)
	v_add_co_ci_u32_e32 v2, vcc_lo, s1, v2, vcc_lo
	s_lshl_b32 s0, s9, 2
	s_add_i32 s0, s10, s0
	global_load_b32 v5, v[1:2], off
	s_add_i32 s0, s0, -4
	s_delay_alu instid0(SALU_CYCLE_1) | instskip(NEXT) | instid1(SALU_CYCLE_1)
	s_ashr_i32 s1, s0, 31
	s_lshl_b64 s[0:1], s[0:1], 3
	s_delay_alu instid0(SALU_CYCLE_1)
	s_add_u32 s0, s2, s0
	s_addc_u32 s1, s3, s1
	s_add_i32 s7, s9, -2
	s_load_b32 s11, s[0:1], 0x4
	s_cmp_lt_i32 s7, s5
	s_cbranch_scc1 .LBB66_4
; %bb.2:
	s_load_b32 s12, s[0:1], 0x0
	s_lshl_b32 s0, s4, 4
	s_waitcnt lgkmcnt(0)
	v_mov_b32_e32 v6, s11
	s_ashr_i32 s1, s0, 31
	s_delay_alu instid0(SALU_CYCLE_1) | instskip(NEXT) | instid1(SALU_CYCLE_1)
	s_lshl_b64 s[0:1], s[0:1], 2
	s_add_u32 s7, s2, s0
	s_addc_u32 s8, s3, s1
	s_add_i32 s13, s13, 1
	s_mul_i32 s1, s10, 0x50
	s_mul_i32 s0, s6, s13
	s_delay_alu instid0(SALU_CYCLE_1)
	s_lshl_b32 s6, s0, 2
	s_mulk_i32 s0, 0x140
	s_add_i32 s6, s10, s6
	s_add_i32 s1, s1, s0
	s_lshl_b32 s0, s4, 2
	v_add3_u32 v3, s1, v0, 0xfffffd80
	s_add_i32 s0, s6, s0
	v_mov_b32_e32 v0, s12
	s_add_i32 s4, s9, -1
	s_add_i32 s0, s0, -8
.LBB66_3:                               ; =>This Inner Loop Header: Depth=1
	s_delay_alu instid0(VALU_DEP_2) | instskip(SKIP_1) | instid1(SALU_CYCLE_1)
	v_ashrrev_i32_e32 v4, 31, v3
	s_ashr_i32 s1, s0, 31
	s_lshl_b64 s[10:11], s[0:1], 3
	s_delay_alu instid0(SALU_CYCLE_1) | instskip(NEXT) | instid1(VALU_DEP_1)
	s_add_u32 s10, s2, s10
	v_lshlrev_b64 v[7:8], 2, v[3:4]
	s_addc_u32 s11, s3, s11
	s_add_i32 s4, s4, -1
	s_add_i32 s0, s0, -4
	s_cmp_le_i32 s4, s5
	s_load_b64 s[10:11], s[10:11], 0x0
	v_add_co_u32 v7, vcc_lo, s7, v7
	v_add_co_ci_u32_e32 v8, vcc_lo, s8, v8, vcc_lo
	global_load_b32 v4, v[7:8], off
	v_max_f32_e32 v7, v0, v0
	s_waitcnt lgkmcnt(0)
	v_max_f32_e64 v8, s10, s10
	s_delay_alu instid0(VALU_DEP_1) | instskip(NEXT) | instid1(VALU_DEP_1)
	v_max_f32_e32 v7, v7, v8
	v_sub_f32_e32 v8, s10, v7
	s_delay_alu instid0(VALU_DEP_1) | instskip(NEXT) | instid1(VALU_DEP_1)
	v_dual_sub_f32 v0, v0, v7 :: v_dual_mul_f32 v9, 0x3fb8aa3b, v8
	v_fma_f32 v10, 0x3fb8aa3b, v8, -v9
	v_rndne_f32_e32 v11, v9
	s_delay_alu instid0(VALU_DEP_3) | instskip(NEXT) | instid1(VALU_DEP_2)
	v_mul_f32_e32 v12, 0x3fb8aa3b, v0
	v_dual_fmac_f32 v10, 0x32a5705f, v8 :: v_dual_sub_f32 v9, v9, v11
	v_cvt_i32_f32_e32 v11, v11
	s_delay_alu instid0(VALU_DEP_3) | instskip(SKIP_1) | instid1(VALU_DEP_4)
	v_fma_f32 v13, 0x3fb8aa3b, v0, -v12
	v_rndne_f32_e32 v14, v12
	v_add_f32_e32 v9, v9, v10
	v_cmp_ngt_f32_e32 vcc_lo, 0xc2ce8ed0, v8
	s_delay_alu instid0(VALU_DEP_3) | instskip(NEXT) | instid1(VALU_DEP_3)
	v_sub_f32_e32 v10, v12, v14
	v_exp_f32_e32 v9, v9
	s_waitcnt_depctr 0xfff
	v_ldexp_f32 v9, v9, v11
	v_cvt_i32_f32_e32 v11, v14
	s_delay_alu instid0(VALU_DEP_2) | instskip(SKIP_1) | instid1(VALU_DEP_2)
	v_cndmask_b32_e32 v9, 0, v9, vcc_lo
	v_cmp_nlt_f32_e32 vcc_lo, 0x42b17218, v8
	v_cndmask_b32_e32 v9, 0x7f800000, v9, vcc_lo
	v_cmp_ngt_f32_e32 vcc_lo, 0xc2ce8ed0, v0
	v_fmac_f32_e32 v13, 0x32a5705f, v0
	s_delay_alu instid0(VALU_DEP_1) | instskip(NEXT) | instid1(VALU_DEP_1)
	v_add_f32_e32 v10, v10, v13
	v_exp_f32_e32 v10, v10
	s_waitcnt_depctr 0xfff
	v_ldexp_f32 v10, v10, v11
	s_delay_alu instid0(VALU_DEP_1)
	v_dual_mov_b32 v11, v6 :: v_dual_cndmask_b32 v10, 0, v10
	v_cmp_le_f32_e32 vcc_lo, 0xc1a00000, v8
	s_waitcnt vmcnt(1)
	v_dual_cndmask_b32 v8, 0, v9 :: v_dual_mov_b32 v9, v5
	v_cmp_nlt_f32_e32 vcc_lo, 0x42b17218, v0
	v_cndmask_b32_e32 v5, 0x7f800000, v10, vcc_lo
	s_delay_alu instid0(VALU_DEP_3) | instskip(SKIP_2) | instid1(VALU_DEP_3)
	v_mul_f32_e32 v10, s11, v8
	v_cmp_le_f32_e32 vcc_lo, 0xc1a00000, v0
	v_mov_b32_e32 v0, v7
	v_mov_b32_e32 v6, v10
	s_waitcnt vmcnt(0)
	v_dual_cndmask_b32 v12, 0, v5 :: v_dual_mul_f32 v5, v4, v8
	s_delay_alu instid0(VALU_DEP_1) | instskip(NEXT) | instid1(VALU_DEP_2)
	v_dual_fmac_f32 v6, v11, v12 :: v_dual_add_nc_u32 v3, 0xfffffec0, v3
	v_fmac_f32_e32 v5, v9, v12
	s_cbranch_scc0 .LBB66_3
	s_branch .LBB66_5
.LBB66_4:
	s_waitcnt lgkmcnt(0)
	v_mov_b32_e32 v6, s11
.LBB66_5:
	s_waitcnt vmcnt(0)
	s_delay_alu instid0(VALU_DEP_1) | instskip(NEXT) | instid1(VALU_DEP_1)
	v_div_scale_f32 v0, null, v6, v6, v5
	v_rcp_f32_e32 v3, v0
	s_waitcnt_depctr 0xfff
	v_fma_f32 v4, -v0, v3, 1.0
	s_delay_alu instid0(VALU_DEP_1) | instskip(SKIP_1) | instid1(VALU_DEP_1)
	v_fmac_f32_e32 v3, v4, v3
	v_div_scale_f32 v4, vcc_lo, v5, v6, v5
	v_mul_f32_e32 v7, v4, v3
	s_delay_alu instid0(VALU_DEP_1) | instskip(NEXT) | instid1(VALU_DEP_1)
	v_fma_f32 v8, -v0, v7, v4
	v_fmac_f32_e32 v7, v8, v3
	s_delay_alu instid0(VALU_DEP_1) | instskip(NEXT) | instid1(VALU_DEP_1)
	v_fma_f32 v0, -v0, v7, v4
	v_div_fmas_f32 v0, v0, v3, v7
	s_delay_alu instid0(VALU_DEP_1)
	v_div_fixup_f32 v0, v0, v6, v5
	global_store_b32 v[1:2], v0, off
.LBB66_6:
	s_nop 0
	s_sendmsg sendmsg(MSG_DEALLOC_VGPRS)
	s_endpgm
	.section	.rodata,"a",@progbits
	.p2align	6, 0x0
	.amdhsa_kernel _ZL33flash_attn_stream_k_fixup_uniformILi80ELi4ELi1EEvPfPK15HIP_vector_typeIfLj2EEiiiiiiS1_IjLj3EES5_S5_
		.amdhsa_group_segment_fixed_size 0
		.amdhsa_private_segment_fixed_size 0
		.amdhsa_kernarg_size 76
		.amdhsa_user_sgpr_count 13
		.amdhsa_user_sgpr_dispatch_ptr 0
		.amdhsa_user_sgpr_queue_ptr 0
		.amdhsa_user_sgpr_kernarg_segment_ptr 1
		.amdhsa_user_sgpr_dispatch_id 0
		.amdhsa_user_sgpr_private_segment_size 0
		.amdhsa_wavefront_size32 1
		.amdhsa_uses_dynamic_stack 0
		.amdhsa_enable_private_segment 0
		.amdhsa_system_sgpr_workgroup_id_x 1
		.amdhsa_system_sgpr_workgroup_id_y 1
		.amdhsa_system_sgpr_workgroup_id_z 1
		.amdhsa_system_sgpr_workgroup_info 0
		.amdhsa_system_vgpr_workitem_id 0
		.amdhsa_next_free_vgpr 15
		.amdhsa_next_free_sgpr 20
		.amdhsa_reserve_vcc 1
		.amdhsa_float_round_mode_32 0
		.amdhsa_float_round_mode_16_64 0
		.amdhsa_float_denorm_mode_32 3
		.amdhsa_float_denorm_mode_16_64 3
		.amdhsa_dx10_clamp 1
		.amdhsa_ieee_mode 1
		.amdhsa_fp16_overflow 0
		.amdhsa_workgroup_processor_mode 1
		.amdhsa_memory_ordered 1
		.amdhsa_forward_progress 0
		.amdhsa_shared_vgpr_count 0
		.amdhsa_exception_fp_ieee_invalid_op 0
		.amdhsa_exception_fp_denorm_src 0
		.amdhsa_exception_fp_ieee_div_zero 0
		.amdhsa_exception_fp_ieee_overflow 0
		.amdhsa_exception_fp_ieee_underflow 0
		.amdhsa_exception_fp_ieee_inexact 0
		.amdhsa_exception_int_div_zero 0
	.end_amdhsa_kernel
	.section	.text._ZL33flash_attn_stream_k_fixup_uniformILi80ELi4ELi1EEvPfPK15HIP_vector_typeIfLj2EEiiiiiiS1_IjLj3EES5_S5_,"axG",@progbits,_ZL33flash_attn_stream_k_fixup_uniformILi80ELi4ELi1EEvPfPK15HIP_vector_typeIfLj2EEiiiiiiS1_IjLj3EES5_S5_,comdat
.Lfunc_end66:
	.size	_ZL33flash_attn_stream_k_fixup_uniformILi80ELi4ELi1EEvPfPK15HIP_vector_typeIfLj2EEiiiiiiS1_IjLj3EES5_S5_, .Lfunc_end66-_ZL33flash_attn_stream_k_fixup_uniformILi80ELi4ELi1EEvPfPK15HIP_vector_typeIfLj2EEiiiiiiS1_IjLj3EES5_S5_
                                        ; -- End function
	.section	.AMDGPU.csdata,"",@progbits
; Kernel info:
; codeLenInByte = 976
; NumSgprs: 22
; NumVgprs: 15
; ScratchSize: 0
; MemoryBound: 0
; FloatMode: 240
; IeeeMode: 1
; LDSByteSize: 0 bytes/workgroup (compile time only)
; SGPRBlocks: 2
; VGPRBlocks: 1
; NumSGPRsForWavesPerEU: 22
; NumVGPRsForWavesPerEU: 15
; Occupancy: 16
; WaveLimiterHint : 0
; COMPUTE_PGM_RSRC2:SCRATCH_EN: 0
; COMPUTE_PGM_RSRC2:USER_SGPR: 13
; COMPUTE_PGM_RSRC2:TRAP_HANDLER: 0
; COMPUTE_PGM_RSRC2:TGID_X_EN: 1
; COMPUTE_PGM_RSRC2:TGID_Y_EN: 1
; COMPUTE_PGM_RSRC2:TGID_Z_EN: 1
; COMPUTE_PGM_RSRC2:TIDIG_COMP_CNT: 0
	.section	.text._ZL33flash_attn_stream_k_fixup_generalILi80ELi4ELi1EEvPfPK15HIP_vector_typeIfLj2EEiiiiS1_IjLj3EES5_S5_S5_,"axG",@progbits,_ZL33flash_attn_stream_k_fixup_generalILi80ELi4ELi1EEvPfPK15HIP_vector_typeIfLj2EEiiiiS1_IjLj3EES5_S5_S5_,comdat
	.globl	_ZL33flash_attn_stream_k_fixup_generalILi80ELi4ELi1EEvPfPK15HIP_vector_typeIfLj2EEiiiiS1_IjLj3EES5_S5_S5_ ; -- Begin function _ZL33flash_attn_stream_k_fixup_generalILi80ELi4ELi1EEvPfPK15HIP_vector_typeIfLj2EEiiiiS1_IjLj3EES5_S5_S5_
	.p2align	8
	.type	_ZL33flash_attn_stream_k_fixup_generalILi80ELi4ELi1EEvPfPK15HIP_vector_typeIfLj2EEiiiiS1_IjLj3EES5_S5_S5_,@function
_ZL33flash_attn_stream_k_fixup_generalILi80ELi4ELi1EEvPfPK15HIP_vector_typeIfLj2EEiiiiS1_IjLj3EES5_S5_S5_: ; @_ZL33flash_attn_stream_k_fixup_generalILi80ELi4ELi1EEvPfPK15HIP_vector_typeIfLj2EEiiiiS1_IjLj3EES5_S5_S5_
; %bb.0:
	s_clause 0x1
	s_load_b128 s[4:7], s[0:1], 0x10
	s_load_b32 s20, s[0:1], 0x50
	s_mov_b32 s2, 0
	s_waitcnt lgkmcnt(0)
	s_mul_hi_i32 s3, s7, s13
	s_mul_i32 s12, s7, s13
	s_cmp_lg_u64 s[2:3], 0
	s_cbranch_scc0 .LBB67_21
; %bb.1:
	v_cvt_f32_ubyte0_e32 v1, 0
	v_cvt_f32_u32_e32 v2, s20
	s_sub_u32 s10, 0, s20
	s_subb_u32 s11, 0, 0
	s_delay_alu instid0(VALU_DEP_1) | instskip(NEXT) | instid1(VALU_DEP_1)
	v_fmamk_f32 v1, v1, 0x4f800000, v2
	v_rcp_f32_e32 v1, v1
	s_waitcnt_depctr 0xfff
	v_mul_f32_e32 v1, 0x5f7ffffc, v1
	s_delay_alu instid0(VALU_DEP_1) | instskip(NEXT) | instid1(VALU_DEP_1)
	v_mul_f32_e32 v2, 0x2f800000, v1
	v_trunc_f32_e32 v2, v2
	s_delay_alu instid0(VALU_DEP_1) | instskip(SKIP_1) | instid1(VALU_DEP_2)
	v_fmamk_f32 v1, v2, 0xcf800000, v1
	v_cvt_u32_f32_e32 v2, v2
	v_cvt_u32_f32_e32 v1, v1
	s_delay_alu instid0(VALU_DEP_2) | instskip(NEXT) | instid1(VALU_DEP_2)
	v_readfirstlane_b32 s8, v2
	v_readfirstlane_b32 s9, v1
	s_delay_alu instid0(VALU_DEP_2) | instskip(NEXT) | instid1(VALU_DEP_1)
	s_mul_i32 s16, s10, s8
	s_mul_hi_u32 s18, s10, s9
	s_mul_i32 s17, s11, s9
	s_add_i32 s16, s18, s16
	s_mul_i32 s19, s10, s9
	s_add_i32 s16, s16, s17
	s_mul_hi_u32 s18, s9, s19
	s_mul_hi_u32 s21, s8, s19
	s_mul_i32 s17, s8, s19
	s_mul_hi_u32 s19, s9, s16
	s_mul_i32 s9, s9, s16
	s_mul_hi_u32 s22, s8, s16
	s_add_u32 s9, s18, s9
	s_addc_u32 s18, 0, s19
	s_add_u32 s9, s9, s17
	s_mul_i32 s16, s8, s16
	s_addc_u32 s9, s18, s21
	s_addc_u32 s17, s22, 0
	s_add_u32 s9, s9, s16
	s_addc_u32 s16, 0, s17
	v_add_co_u32 v1, s9, v1, s9
	s_delay_alu instid0(VALU_DEP_1) | instskip(SKIP_1) | instid1(VALU_DEP_1)
	s_cmp_lg_u32 s9, 0
	s_addc_u32 s8, s8, s16
	v_readfirstlane_b32 s9, v1
	s_mul_i32 s16, s10, s8
	s_delay_alu instid0(VALU_DEP_1)
	s_mul_hi_u32 s17, s10, s9
	s_mul_i32 s11, s11, s9
	s_add_i32 s16, s17, s16
	s_mul_i32 s10, s10, s9
	s_add_i32 s16, s16, s11
	s_mul_hi_u32 s17, s8, s10
	s_mul_i32 s18, s8, s10
	s_mul_hi_u32 s10, s9, s10
	s_mul_hi_u32 s19, s9, s16
	s_mul_i32 s9, s9, s16
	s_mul_hi_u32 s11, s8, s16
	s_add_u32 s9, s10, s9
	s_addc_u32 s10, 0, s19
	s_add_u32 s9, s9, s18
	s_mul_i32 s16, s8, s16
	s_addc_u32 s9, s10, s17
	s_addc_u32 s10, s11, 0
	s_add_u32 s9, s9, s16
	s_addc_u32 s10, 0, s10
	v_add_co_u32 v1, s9, v1, s9
	s_delay_alu instid0(VALU_DEP_1) | instskip(SKIP_2) | instid1(SALU_CYCLE_1)
	s_cmp_lg_u32 s9, 0
	s_addc_u32 s16, s8, s10
	s_ashr_i32 s8, s3, 31
	s_add_u32 s10, s12, s8
	s_addc_u32 s11, s3, s8
	v_readfirstlane_b32 s3, v1
	s_mov_b32 s9, s8
	s_delay_alu instid0(SALU_CYCLE_1) | instskip(NEXT) | instid1(SALU_CYCLE_1)
	s_xor_b64 s[10:11], s[10:11], s[8:9]
	s_mul_i32 s18, s10, s16
	s_delay_alu instid0(VALU_DEP_1)
	s_mul_hi_u32 s19, s10, s3
	s_mul_hi_u32 s17, s10, s16
	;; [unrolled: 1-line block ×3, first 2 shown]
	s_mul_i32 s3, s11, s3
	s_add_u32 s18, s19, s18
	s_addc_u32 s17, 0, s17
	s_mul_hi_u32 s21, s11, s16
	s_add_u32 s3, s18, s3
	s_mul_i32 s16, s11, s16
	s_addc_u32 s3, s17, s22
	s_addc_u32 s17, s21, 0
	s_add_u32 s3, s3, s16
	s_addc_u32 s16, 0, s17
	s_mul_i32 s18, s20, s3
	s_add_u32 s17, s3, 1
	v_sub_co_u32 v1, s10, s10, s18
	s_mul_hi_u32 s18, s20, s3
	s_addc_u32 s19, s16, 0
	s_mul_i32 s21, s20, s16
	s_delay_alu instid0(VALU_DEP_1)
	v_sub_co_u32 v2, s22, v1, s20
	s_add_u32 s23, s3, 2
	s_addc_u32 s24, s16, 0
	s_add_i32 s18, s18, s21
	s_cmp_lg_u32 s10, 0
	v_readfirstlane_b32 s10, v2
	s_subb_u32 s11, s11, s18
	s_cmp_lg_u32 s22, 0
	s_subb_u32 s18, s11, 0
	s_delay_alu instid0(VALU_DEP_1) | instskip(SKIP_4) | instid1(SALU_CYCLE_1)
	s_cmp_ge_u32 s10, s20
	s_cselect_b32 s10, -1, 0
	s_cmp_eq_u32 s18, 0
	v_readfirstlane_b32 s18, v1
	s_cselect_b32 s10, s10, -1
	s_cmp_lg_u32 s10, 0
	s_cselect_b32 s10, s23, s17
	s_cselect_b32 s17, s24, s19
	s_cmp_ge_u32 s18, s20
	s_cselect_b32 s18, -1, 0
	s_cmp_eq_u32 s11, 0
	s_cselect_b32 s11, s18, -1
	s_delay_alu instid0(SALU_CYCLE_1) | instskip(SKIP_2) | instid1(SALU_CYCLE_1)
	s_cmp_lg_u32 s11, 0
	s_cselect_b32 s11, s17, s16
	s_cselect_b32 s10, s10, s3
	s_xor_b64 s[10:11], s[10:11], s[8:9]
	s_delay_alu instid0(SALU_CYCLE_1)
	s_sub_u32 s16, s10, s8
	s_load_b128 s[8:11], s[0:1], 0x44
	s_and_not1_b32 vcc_lo, exec_lo, s2
	s_cbranch_vccnz .LBB67_3
.LBB67_2:
	v_cvt_f32_u32_e32 v1, s20
	s_sub_i32 s3, 0, s20
	s_delay_alu instid0(VALU_DEP_1) | instskip(SKIP_2) | instid1(VALU_DEP_1)
	v_rcp_iflag_f32_e32 v1, v1
	s_waitcnt_depctr 0xfff
	v_mul_f32_e32 v1, 0x4f7ffffe, v1
	v_cvt_u32_f32_e32 v1, v1
	s_delay_alu instid0(VALU_DEP_1) | instskip(NEXT) | instid1(VALU_DEP_1)
	v_readfirstlane_b32 s2, v1
	s_mul_i32 s3, s3, s2
	s_delay_alu instid0(SALU_CYCLE_1) | instskip(NEXT) | instid1(SALU_CYCLE_1)
	s_mul_hi_u32 s3, s2, s3
	s_add_i32 s2, s2, s3
	s_delay_alu instid0(SALU_CYCLE_1) | instskip(NEXT) | instid1(SALU_CYCLE_1)
	s_mul_hi_u32 s2, s12, s2
	s_mul_i32 s3, s2, s20
	s_waitcnt lgkmcnt(0)
	s_add_i32 s11, s2, 1
	s_sub_i32 s3, s12, s3
	s_delay_alu instid0(SALU_CYCLE_1)
	s_sub_i32 s12, s3, s20
	s_cmp_ge_u32 s3, s20
	s_cselect_b32 s2, s11, s2
	s_cselect_b32 s3, s12, s3
	s_add_i32 s11, s2, 1
	s_cmp_ge_u32 s3, s20
	s_cselect_b32 s16, s11, s2
.LBB67_3:
	s_waitcnt lgkmcnt(0)
	s_add_i32 s11, s13, 1
	s_mov_b32 s2, 0
	s_mul_hi_i32 s3, s7, s11
	s_mul_i32 s11, s7, s11
	s_cmp_lg_u64 s[2:3], 0
	s_cbranch_scc0 .LBB67_22
; %bb.4:
	v_cvt_f32_ubyte0_e32 v1, 0
	v_cvt_f32_u32_e32 v2, s20
	s_sub_u32 s18, 0, s20
	s_subb_u32 s19, 0, 0
	s_delay_alu instid0(VALU_DEP_1) | instskip(NEXT) | instid1(VALU_DEP_1)
	v_fmamk_f32 v1, v1, 0x4f800000, v2
	v_rcp_f32_e32 v1, v1
	s_waitcnt_depctr 0xfff
	v_mul_f32_e32 v1, 0x5f7ffffc, v1
	s_delay_alu instid0(VALU_DEP_1) | instskip(NEXT) | instid1(VALU_DEP_1)
	v_mul_f32_e32 v2, 0x2f800000, v1
	v_trunc_f32_e32 v2, v2
	s_delay_alu instid0(VALU_DEP_1) | instskip(SKIP_1) | instid1(VALU_DEP_2)
	v_fmamk_f32 v1, v2, 0xcf800000, v1
	v_cvt_u32_f32_e32 v2, v2
	v_cvt_u32_f32_e32 v1, v1
	s_delay_alu instid0(VALU_DEP_2) | instskip(NEXT) | instid1(VALU_DEP_2)
	v_readfirstlane_b32 s12, v2
	v_readfirstlane_b32 s17, v1
	s_delay_alu instid0(VALU_DEP_2) | instskip(NEXT) | instid1(VALU_DEP_1)
	s_mul_i32 s21, s18, s12
	s_mul_hi_u32 s23, s18, s17
	s_mul_i32 s22, s19, s17
	s_add_i32 s21, s23, s21
	s_mul_i32 s24, s18, s17
	s_add_i32 s21, s21, s22
	s_mul_hi_u32 s23, s17, s24
	s_mul_hi_u32 s25, s12, s24
	s_mul_i32 s22, s12, s24
	s_mul_hi_u32 s24, s17, s21
	s_mul_i32 s17, s17, s21
	s_mul_hi_u32 s26, s12, s21
	s_add_u32 s17, s23, s17
	s_addc_u32 s23, 0, s24
	s_add_u32 s17, s17, s22
	s_mul_i32 s21, s12, s21
	s_addc_u32 s17, s23, s25
	s_addc_u32 s22, s26, 0
	s_add_u32 s17, s17, s21
	s_addc_u32 s21, 0, s22
	v_add_co_u32 v1, s17, v1, s17
	s_delay_alu instid0(VALU_DEP_1) | instskip(SKIP_1) | instid1(VALU_DEP_1)
	s_cmp_lg_u32 s17, 0
	s_addc_u32 s12, s12, s21
	v_readfirstlane_b32 s17, v1
	s_mul_i32 s21, s18, s12
	s_delay_alu instid0(VALU_DEP_1)
	s_mul_hi_u32 s22, s18, s17
	s_mul_i32 s19, s19, s17
	s_add_i32 s21, s22, s21
	s_mul_i32 s18, s18, s17
	s_add_i32 s21, s21, s19
	s_mul_hi_u32 s22, s12, s18
	s_mul_i32 s23, s12, s18
	s_mul_hi_u32 s18, s17, s18
	s_mul_hi_u32 s24, s17, s21
	s_mul_i32 s17, s17, s21
	s_mul_hi_u32 s19, s12, s21
	s_add_u32 s17, s18, s17
	s_addc_u32 s18, 0, s24
	s_add_u32 s17, s17, s23
	s_mul_i32 s21, s12, s21
	s_addc_u32 s17, s18, s22
	s_addc_u32 s18, s19, 0
	s_add_u32 s17, s17, s21
	s_addc_u32 s18, 0, s18
	v_add_co_u32 v1, s17, v1, s17
	s_delay_alu instid0(VALU_DEP_1) | instskip(SKIP_2) | instid1(SALU_CYCLE_1)
	s_cmp_lg_u32 s17, 0
	s_addc_u32 s12, s12, s18
	s_ashr_i32 s18, s3, 31
	s_add_u32 s22, s11, s18
	s_addc_u32 s23, s3, s18
	v_readfirstlane_b32 s3, v1
	s_mov_b32 s19, s18
	s_delay_alu instid0(SALU_CYCLE_1) | instskip(NEXT) | instid1(SALU_CYCLE_1)
	s_xor_b64 s[22:23], s[22:23], s[18:19]
	s_mul_i32 s21, s22, s12
	s_delay_alu instid0(VALU_DEP_1)
	s_mul_hi_u32 s24, s22, s3
	s_mul_hi_u32 s17, s22, s12
	;; [unrolled: 1-line block ×3, first 2 shown]
	s_mul_i32 s3, s23, s3
	s_add_u32 s21, s24, s21
	s_addc_u32 s17, 0, s17
	s_mul_hi_u32 s25, s23, s12
	s_add_u32 s3, s21, s3
	s_mul_i32 s12, s23, s12
	s_addc_u32 s3, s17, s26
	s_addc_u32 s17, s25, 0
	s_add_u32 s3, s3, s12
	s_addc_u32 s12, 0, s17
	s_mul_i32 s21, s20, s3
	s_add_u32 s17, s3, 1
	v_sub_co_u32 v1, s21, s22, s21
	s_mul_hi_u32 s22, s20, s3
	s_addc_u32 s24, s12, 0
	s_mul_i32 s25, s20, s12
	s_delay_alu instid0(VALU_DEP_1)
	v_sub_co_u32 v2, s26, v1, s20
	s_add_u32 s27, s3, 2
	s_addc_u32 s28, s12, 0
	s_add_i32 s22, s22, s25
	s_cmp_lg_u32 s21, 0
	v_readfirstlane_b32 s21, v2
	s_subb_u32 s22, s23, s22
	s_cmp_lg_u32 s26, 0
	s_subb_u32 s23, s22, 0
	s_delay_alu instid0(VALU_DEP_1) | instskip(SKIP_4) | instid1(SALU_CYCLE_1)
	s_cmp_ge_u32 s21, s20
	s_cselect_b32 s21, -1, 0
	s_cmp_eq_u32 s23, 0
	v_readfirstlane_b32 s23, v1
	s_cselect_b32 s21, s21, -1
	s_cmp_lg_u32 s21, 0
	s_cselect_b32 s17, s27, s17
	s_cselect_b32 s21, s28, s24
	s_cmp_ge_u32 s23, s20
	s_cselect_b32 s23, -1, 0
	s_cmp_eq_u32 s22, 0
	s_cselect_b32 s22, s23, -1
	s_delay_alu instid0(SALU_CYCLE_1) | instskip(SKIP_2) | instid1(SALU_CYCLE_1)
	s_cmp_lg_u32 s22, 0
	s_cselect_b32 s23, s21, s12
	s_cselect_b32 s22, s17, s3
	s_xor_b64 s[22:23], s[22:23], s[18:19]
	s_delay_alu instid0(SALU_CYCLE_1)
	s_sub_u32 s18, s22, s18
	s_and_not1_b32 vcc_lo, exec_lo, s2
	s_cbranch_vccnz .LBB67_6
.LBB67_5:
	v_cvt_f32_u32_e32 v1, s20
	s_sub_i32 s3, 0, s20
	s_delay_alu instid0(VALU_DEP_1) | instskip(SKIP_2) | instid1(VALU_DEP_1)
	v_rcp_iflag_f32_e32 v1, v1
	s_waitcnt_depctr 0xfff
	v_mul_f32_e32 v1, 0x4f7ffffe, v1
	v_cvt_u32_f32_e32 v1, v1
	s_delay_alu instid0(VALU_DEP_1) | instskip(NEXT) | instid1(VALU_DEP_1)
	v_readfirstlane_b32 s2, v1
	s_mul_i32 s3, s3, s2
	s_delay_alu instid0(SALU_CYCLE_1) | instskip(NEXT) | instid1(SALU_CYCLE_1)
	s_mul_hi_u32 s3, s2, s3
	s_add_i32 s2, s2, s3
	s_delay_alu instid0(SALU_CYCLE_1) | instskip(NEXT) | instid1(SALU_CYCLE_1)
	s_mul_hi_u32 s2, s11, s2
	s_mul_i32 s3, s2, s20
	s_delay_alu instid0(SALU_CYCLE_1)
	s_sub_i32 s3, s11, s3
	s_add_i32 s11, s2, 1
	s_sub_i32 s12, s3, s20
	s_cmp_ge_u32 s3, s20
	s_cselect_b32 s2, s11, s2
	s_cselect_b32 s3, s12, s3
	s_add_i32 s11, s2, 1
	s_cmp_ge_u32 s3, s20
	s_cselect_b32 s18, s11, s2
.LBB67_6:
	s_delay_alu instid0(SALU_CYCLE_1) | instskip(SKIP_3) | instid1(SALU_CYCLE_1)
	s_cmp_eq_u32 s16, s18
	s_mul_hi_u32 s2, s16, s8
	s_cselect_b32 s3, -1, 0
	s_add_i32 s2, s2, s16
	s_lshr_b32 s11, s2, s9
	s_delay_alu instid0(SALU_CYCLE_1) | instskip(NEXT) | instid1(SALU_CYCLE_1)
	s_mul_i32 s2, s11, s10
	s_cmp_eq_u32 s2, s16
	s_mul_hi_u32 s2, s18, s8
	s_cselect_b32 s12, -1, 0
	s_add_i32 s2, s2, s18
	s_delay_alu instid0(SALU_CYCLE_1) | instskip(NEXT) | instid1(SALU_CYCLE_1)
	s_lshr_b32 s2, s2, s9
	s_cmp_eq_u32 s11, s2
	s_mul_i32 s2, s2, s10
	s_cselect_b32 s17, -1, 0
	s_cmp_lg_u32 s2, s18
	s_cselect_b32 s2, -1, 0
	s_or_b32 s3, s3, s12
	s_and_b32 s2, s17, s2
	s_delay_alu instid0(SALU_CYCLE_1) | instskip(NEXT) | instid1(SALU_CYCLE_1)
	s_or_b32 s2, s3, s2
	s_and_b32 vcc_lo, exec_lo, s2
	s_cbranch_vccnz .LBB67_24
; %bb.7:
	s_load_b256 s[24:31], s[0:1], 0x20
	s_waitcnt lgkmcnt(0)
	s_mul_hi_u32 s2, s16, s24
	s_delay_alu instid0(SALU_CYCLE_1) | instskip(NEXT) | instid1(SALU_CYCLE_1)
	s_add_i32 s2, s2, s16
	s_lshr_b32 s17, s2, s25
	s_load_b32 s2, s[0:1], 0x40
	s_mul_i32 s3, s17, s26
	s_delay_alu instid0(SALU_CYCLE_1) | instskip(NEXT) | instid1(SALU_CYCLE_1)
	s_sub_i32 s3, s16, s3
	s_mul_hi_u32 s12, s3, s27
	s_delay_alu instid0(SALU_CYCLE_1) | instskip(NEXT) | instid1(SALU_CYCLE_1)
	s_add_i32 s12, s3, s12
	s_lshr_b32 s19, s12, s28
	s_delay_alu instid0(SALU_CYCLE_1) | instskip(NEXT) | instid1(SALU_CYCLE_1)
	s_mul_i32 s12, s19, s29
	s_sub_i32 s3, s3, s12
	s_delay_alu instid0(SALU_CYCLE_1) | instskip(NEXT) | instid1(SALU_CYCLE_1)
	s_mul_hi_u32 s12, s3, s30
	s_add_i32 s12, s3, s12
	s_delay_alu instid0(SALU_CYCLE_1) | instskip(SKIP_3) | instid1(SALU_CYCLE_1)
	s_lshr_b32 s21, s12, s31
	s_mov_b32 s12, 0
	s_waitcnt lgkmcnt(0)
	s_mul_i32 s2, s21, s2
	s_sub_i32 s2, s3, s2
	s_delay_alu instid0(SALU_CYCLE_1) | instskip(NEXT) | instid1(SALU_CYCLE_1)
	s_mul_hi_u32 s3, s2, s8
	s_add_i32 s2, s2, s3
	s_delay_alu instid0(SALU_CYCLE_1) | instskip(NEXT) | instid1(SALU_CYCLE_1)
	s_lshr_b32 s18, s2, s9
	s_lshl_b32 s2, s18, 2
	s_delay_alu instid0(SALU_CYCLE_1) | instskip(NEXT) | instid1(SALU_CYCLE_1)
	s_add_i32 s2, s2, s14
	s_cmp_lt_i32 s2, s4
	s_cselect_b32 s2, -1, 0
	s_add_i32 s21, s21, s15
	s_delay_alu instid0(SALU_CYCLE_1) | instskip(SKIP_1) | instid1(SALU_CYCLE_1)
	s_cmp_lt_i32 s21, s6
	s_cselect_b32 s3, -1, 0
	s_and_b32 s2, s2, s3
	s_delay_alu instid0(SALU_CYCLE_1)
	s_and_not1_b32 vcc_lo, exec_lo, s2
	s_cbranch_vccnz .LBB67_24
; %bb.8:
	s_load_b128 s[0:3], s[0:1], 0x0
	s_lshl_b32 s22, s20, 4
	s_mov_b32 s23, s12
	s_add_i32 s15, s14, s15
	s_lshl_b64 s[22:23], s[22:23], 2
	s_mul_i32 s4, s17, s4
	s_mul_i32 s19, s19, s6
	v_cvt_f32_ubyte0_e32 v3, 0
	v_cvt_f32_u32_e32 v4, s20
	s_waitcnt lgkmcnt(0)
	s_add_u32 s6, s2, s22
	s_addc_u32 s17, s3, s23
	s_add_i32 s4, s4, s14
	s_add_i32 s14, s21, s19
	s_mul_i32 s4, s4, s5
	s_mul_i32 s5, s5, s18
	s_add_i32 s4, s14, s4
	s_mulk_i32 s5, 0x140
	s_mulk_i32 s4, 0x50
	s_delay_alu instid0(SALU_CYCLE_1) | instskip(NEXT) | instid1(VALU_DEP_1)
	v_add3_u32 v1, s5, s4, v0
	v_ashrrev_i32_e32 v2, 31, v1
	s_delay_alu instid0(VALU_DEP_1) | instskip(NEXT) | instid1(VALU_DEP_1)
	v_lshlrev_b64 v[1:2], 2, v[1:2]
	v_add_co_u32 v1, vcc_lo, s0, v1
	s_delay_alu instid0(VALU_DEP_2) | instskip(SKIP_1) | instid1(SALU_CYCLE_1)
	v_add_co_ci_u32_e32 v2, vcc_lo, s1, v2, vcc_lo
	s_lshl_b32 s0, s13, 2
	s_add_i32 s0, s0, s15
	global_load_b32 v5, v[1:2], off
	s_ashr_i32 s1, s0, 31
	s_delay_alu instid0(SALU_CYCLE_1) | instskip(NEXT) | instid1(SALU_CYCLE_1)
	s_lshl_b64 s[0:1], s[0:1], 3
	s_add_u32 s0, s2, s0
	s_addc_u32 s1, s3, s1
	s_add_i32 s18, s13, -1
	s_load_b64 s[0:1], s[0:1], 0x0
	v_fmac_f32_e32 v4, 0x4f800000, v3
	s_sub_i32 s14, 0, s20
	s_delay_alu instid0(VALU_DEP_1)
	v_rcp_f32_e32 v3, v4
	s_waitcnt_depctr 0xfff
	v_mul_f32_e32 v6, 0x5f7ffffc, v3
	v_cvt_f32_u32_e32 v3, s20
	s_waitcnt lgkmcnt(0)
	v_mov_b32_e32 v8, s0
	s_delay_alu instid0(VALU_DEP_3) | instskip(NEXT) | instid1(VALU_DEP_3)
	v_mul_f32_e32 v4, 0x2f800000, v6
	v_rcp_iflag_f32_e32 v7, v3
	s_delay_alu instid0(VALU_DEP_1) | instskip(SKIP_1) | instid1(VALU_DEP_2)
	v_trunc_f32_e32 v9, v4
	v_mad_u64_u32 v[3:4], null, 0x50, s15, v[0:1]
	v_fmac_f32_e32 v6, 0xcf800000, v9
	s_waitcnt_depctr 0xfff
	v_dual_mul_f32 v10, 0x4f7ffffe, v7 :: v_dual_mov_b32 v7, s1
	v_cvt_u32_f32_e32 v4, v9
	v_cvt_u32_f32_e32 v0, v6
	s_delay_alu instid0(VALU_DEP_3)
	v_cvt_u32_f32_e32 v6, v10
.LBB67_9:                               ; =>This Inner Loop Header: Depth=1
	s_mul_hi_i32 s13, s18, s7
	s_mul_i32 s4, s18, s7
	s_cmp_lg_u64 s[12:13], 0
	s_mov_b32 s5, -1
                                        ; implicit-def: $sgpr0_sgpr1
	s_cbranch_scc0 .LBB67_11
; %bb.10:                               ;   in Loop: Header=BB67_9 Depth=1
	v_readfirstlane_b32 s0, v0
	v_readfirstlane_b32 s1, v4
	s_sub_u32 s5, 0, s20
	s_subb_u32 s19, 0, 0
	s_delay_alu instid0(VALU_DEP_2) | instskip(NEXT) | instid1(VALU_DEP_1)
	s_mul_hi_u32 s21, s5, s0
	s_mul_i32 s22, s5, s1
	s_mul_i32 s23, s19, s0
	s_add_i32 s21, s21, s22
	s_mul_i32 s22, s5, s0
	s_add_i32 s21, s21, s23
	s_mul_hi_u32 s23, s0, s22
	s_mul_i32 s24, s0, s21
	s_mul_hi_u32 s0, s0, s21
	s_add_u32 s23, s23, s24
	s_mul_i32 s25, s1, s22
	s_addc_u32 s0, 0, s0
	s_mul_hi_u32 s22, s1, s22
	s_mul_hi_u32 s24, s1, s21
	s_add_u32 s23, s23, s25
	s_addc_u32 s0, s0, s22
	s_mul_i32 s21, s1, s21
	s_addc_u32 s22, s24, 0
	s_add_u32 s0, s0, s21
	s_addc_u32 s21, 0, s22
	v_add_co_u32 v9, s0, v0, s0
	s_delay_alu instid0(VALU_DEP_1) | instskip(SKIP_1) | instid1(VALU_DEP_1)
	s_cmp_lg_u32 s0, 0
	s_addc_u32 s1, s1, s21
	v_readfirstlane_b32 s0, v9
	s_mul_i32 s21, s5, s1
	s_delay_alu instid0(VALU_DEP_1)
	s_mul_hi_u32 s22, s5, s0
	s_mul_i32 s19, s19, s0
	s_add_i32 s21, s22, s21
	s_mul_i32 s5, s5, s0
	s_add_i32 s21, s21, s19
	s_mul_hi_u32 s19, s1, s5
	s_mul_i32 s23, s1, s5
	s_mul_i32 s24, s0, s21
	s_mul_hi_u32 s5, s0, s5
	s_mul_hi_u32 s0, s0, s21
	s_add_u32 s5, s5, s24
	s_addc_u32 s0, 0, s0
	s_mul_hi_u32 s22, s1, s21
	s_add_u32 s5, s5, s23
	s_addc_u32 s0, s0, s19
	s_mul_i32 s5, s1, s21
	s_addc_u32 s19, s22, 0
	s_add_u32 s0, s0, s5
	s_addc_u32 s5, 0, s19
	v_add_co_u32 v9, s0, v9, s0
	s_delay_alu instid0(VALU_DEP_1) | instskip(SKIP_2) | instid1(SALU_CYCLE_1)
	s_cmp_lg_u32 s0, 0
	s_addc_u32 s5, s1, s5
	s_ashr_i32 s0, s13, 31
	s_add_u32 s22, s4, s0
	s_addc_u32 s23, s13, s0
	v_readfirstlane_b32 s13, v9
	s_mov_b32 s1, s0
	s_delay_alu instid0(SALU_CYCLE_1) | instskip(NEXT) | instid1(SALU_CYCLE_1)
	s_xor_b64 s[22:23], s[22:23], s[0:1]
	s_mul_i32 s19, s22, s5
	s_delay_alu instid0(VALU_DEP_1)
	s_mul_hi_u32 s21, s22, s13
	s_mul_hi_u32 s24, s22, s5
	s_add_u32 s19, s21, s19
	s_mul_i32 s25, s23, s13
	s_addc_u32 s21, 0, s24
	s_mul_hi_u32 s13, s23, s13
	s_mul_hi_u32 s24, s23, s5
	s_add_u32 s19, s19, s25
	s_addc_u32 s13, s21, s13
	s_mul_i32 s5, s23, s5
	s_addc_u32 s19, s24, 0
	s_add_u32 s5, s13, s5
	s_addc_u32 s13, 0, s19
	s_mul_i32 s21, s20, s5
	s_add_u32 s19, s5, 1
	v_sub_co_u32 v9, s21, s22, s21
	s_addc_u32 s22, s13, 0
	s_mul_i32 s25, s20, s13
	s_mul_hi_u32 s27, s20, s5
	s_delay_alu instid0(VALU_DEP_1)
	v_sub_co_u32 v10, s26, v9, s20
	s_add_u32 s24, s5, 2
	s_addc_u32 s28, s13, 0
	s_add_i32 s27, s27, s25
	s_cmp_lg_u32 s21, 0
	v_readfirstlane_b32 s21, v10
	s_subb_u32 s23, s23, s27
	s_cmp_lg_u32 s26, 0
	s_subb_u32 s25, s23, 0
	s_delay_alu instid0(VALU_DEP_1) | instskip(SKIP_4) | instid1(SALU_CYCLE_1)
	s_cmp_ge_u32 s21, s20
	s_cselect_b32 s21, -1, 0
	s_cmp_eq_u32 s25, 0
	v_readfirstlane_b32 s25, v9
	s_cselect_b32 s21, s21, -1
	s_cmp_lg_u32 s21, 0
	s_cselect_b32 s19, s24, s19
	s_cselect_b32 s21, s28, s22
	s_cmp_ge_u32 s25, s20
	s_cselect_b32 s22, -1, 0
	s_cmp_eq_u32 s23, 0
	s_cselect_b32 s22, s22, -1
	s_delay_alu instid0(SALU_CYCLE_1) | instskip(SKIP_4) | instid1(SALU_CYCLE_1)
	s_cmp_lg_u32 s22, 0
	s_cselect_b32 s23, s21, s13
	s_cselect_b32 s22, s19, s5
	s_mov_b32 s5, 0
	s_xor_b64 s[22:23], s[22:23], s[0:1]
	s_sub_u32 s0, s22, s0
.LBB67_11:                              ;   in Loop: Header=BB67_9 Depth=1
	s_and_not1_b32 vcc_lo, exec_lo, s5
	s_cbranch_vccnz .LBB67_13
; %bb.12:                               ;   in Loop: Header=BB67_9 Depth=1
	v_readfirstlane_b32 s0, v6
	s_delay_alu instid0(VALU_DEP_1) | instskip(NEXT) | instid1(SALU_CYCLE_1)
	s_mul_i32 s1, s14, s0
	s_mul_hi_u32 s1, s0, s1
	s_delay_alu instid0(SALU_CYCLE_1) | instskip(NEXT) | instid1(SALU_CYCLE_1)
	s_add_i32 s0, s0, s1
	s_mul_hi_u32 s0, s4, s0
	s_delay_alu instid0(SALU_CYCLE_1) | instskip(NEXT) | instid1(SALU_CYCLE_1)
	s_mul_i32 s1, s0, s20
	s_sub_i32 s1, s4, s1
	s_add_i32 s4, s0, 1
	s_sub_i32 s5, s1, s20
	s_cmp_ge_u32 s1, s20
	s_cselect_b32 s0, s4, s0
	s_cselect_b32 s1, s5, s1
	s_add_i32 s4, s0, 1
	s_cmp_ge_u32 s1, s20
	s_cselect_b32 s0, s4, s0
.LBB67_13:                              ;   in Loop: Header=BB67_9 Depth=1
	s_delay_alu instid0(SALU_CYCLE_1)
	s_cmp_lg_u32 s16, s0
	s_cbranch_scc0 .LBB67_17
; %bb.14:                               ;   in Loop: Header=BB67_9 Depth=1
	s_add_i32 s1, s18, s20
	s_mov_b32 s5, s12
	s_lshl_b32 s1, s1, 2
	s_mov_b32 s19, s16
	s_add_i32 s4, s1, s15
	s_mul_hi_u32 s1, s0, s8
	s_lshl_b64 s[4:5], s[4:5], 3
	s_delay_alu instid0(SALU_CYCLE_1) | instskip(SKIP_2) | instid1(SALU_CYCLE_1)
	s_add_u32 s4, s2, s4
	s_addc_u32 s5, s3, s5
	s_add_i32 s1, s1, s0
	s_lshr_b32 s1, s1, s9
	s_delay_alu instid0(SALU_CYCLE_1) | instskip(NEXT) | instid1(SALU_CYCLE_1)
	s_mul_i32 s13, s1, s10
	s_cmp_eq_u32 s13, s0
	s_cselect_b32 s13, -1, 0
	s_cmp_lt_u32 s1, s11
	s_cselect_b32 s1, -1, 0
	s_delay_alu instid0(SALU_CYCLE_1)
	s_or_b32 s1, s1, s13
	s_mov_b32 s13, -1
	s_and_b32 vcc_lo, exec_lo, s1
	s_mov_b32 s1, s18
	s_cbranch_vccnz .LBB67_16
; %bb.15:                               ;   in Loop: Header=BB67_9 Depth=1
	s_add_i32 s1, s18, -1
	s_mov_b32 s13, 0
	s_mov_b32 s19, s0
.LBB67_16:                              ;   in Loop: Header=BB67_9 Depth=1
	v_mad_u64_u32 v[9:10], null, 0x140, s18, v[3:4]
	s_load_b64 s[4:5], s[4:5], 0x0
	s_delay_alu instid0(VALU_DEP_1) | instskip(NEXT) | instid1(VALU_DEP_1)
	v_ashrrev_i32_e32 v10, 31, v9
	v_lshlrev_b64 v[9:10], 2, v[9:10]
	s_delay_alu instid0(VALU_DEP_1) | instskip(NEXT) | instid1(VALU_DEP_2)
	v_add_co_u32 v9, vcc_lo, s6, v9
	v_add_co_ci_u32_e32 v10, vcc_lo, s17, v10, vcc_lo
	s_waitcnt lgkmcnt(0)
	v_max_f32_e64 v11, s4, s4
	global_load_b32 v10, v[9:10], off
	v_max_f32_e32 v9, v8, v8
	s_delay_alu instid0(VALU_DEP_1) | instskip(NEXT) | instid1(VALU_DEP_1)
	v_max_f32_e32 v9, v9, v11
	v_sub_f32_e32 v12, v8, v9
	s_delay_alu instid0(VALU_DEP_1) | instskip(NEXT) | instid1(VALU_DEP_1)
	v_dual_mul_f32 v14, 0x3fb8aa3b, v12 :: v_dual_sub_f32 v11, s4, v9
	v_rndne_f32_e32 v18, v14
	s_delay_alu instid0(VALU_DEP_2) | instskip(SKIP_2) | instid1(VALU_DEP_4)
	v_mul_f32_e32 v13, 0x3fb8aa3b, v11
	v_fma_f32 v17, 0x3fb8aa3b, v12, -v14
	v_cmp_ngt_f32_e32 vcc_lo, 0xc2ce8ed0, v11
	v_sub_f32_e32 v14, v14, v18
	s_delay_alu instid0(VALU_DEP_4) | instskip(SKIP_2) | instid1(VALU_DEP_3)
	v_fma_f32 v15, 0x3fb8aa3b, v11, -v13
	v_rndne_f32_e32 v16, v13
	v_fmac_f32_e32 v17, 0x32a5705f, v12
	v_fmac_f32_e32 v15, 0x32a5705f, v11
	s_delay_alu instid0(VALU_DEP_2) | instskip(NEXT) | instid1(VALU_DEP_1)
	v_dual_sub_f32 v13, v13, v16 :: v_dual_add_f32 v14, v14, v17
	v_add_f32_e32 v13, v13, v15
	s_delay_alu instid0(VALU_DEP_2) | instskip(SKIP_2) | instid1(VALU_DEP_3)
	v_exp_f32_e32 v14, v14
	v_cvt_i32_f32_e32 v15, v16
	v_cvt_i32_f32_e32 v16, v18
	v_exp_f32_e32 v13, v13
	s_waitcnt_depctr 0xfff
	v_ldexp_f32 v14, v14, v16
	v_ldexp_f32 v13, v13, v15
	s_delay_alu instid0(VALU_DEP_1) | instskip(SKIP_1) | instid1(VALU_DEP_4)
	v_cndmask_b32_e32 v13, 0, v13, vcc_lo
	v_cmp_ngt_f32_e32 vcc_lo, 0xc2ce8ed0, v12
	v_cndmask_b32_e32 v14, 0, v14, vcc_lo
	v_cmp_nlt_f32_e32 vcc_lo, 0x42b17218, v11
	s_delay_alu instid0(VALU_DEP_4) | instskip(SKIP_1) | instid1(VALU_DEP_4)
	v_cndmask_b32_e32 v13, 0x7f800000, v13, vcc_lo
	v_cmp_nlt_f32_e32 vcc_lo, 0x42b17218, v12
	v_cndmask_b32_e32 v14, 0x7f800000, v14, vcc_lo
	v_cmp_le_f32_e32 vcc_lo, 0xc1a00000, v11
	s_delay_alu instid0(VALU_DEP_4) | instskip(SKIP_1) | instid1(VALU_DEP_4)
	v_cndmask_b32_e32 v11, 0, v13, vcc_lo
	v_cmp_le_f32_e32 vcc_lo, 0xc1a00000, v12
	v_cndmask_b32_e32 v12, 0, v14, vcc_lo
	s_waitcnt vmcnt(0)
	s_delay_alu instid0(VALU_DEP_3) | instskip(NEXT) | instid1(VALU_DEP_1)
	v_mul_f32_e32 v10, v10, v11
	v_dual_mul_f32 v11, s5, v11 :: v_dual_fmac_f32 v10, v5, v12
	s_delay_alu instid0(VALU_DEP_1)
	v_fmac_f32_e32 v11, v7, v12
	s_cbranch_execz .LBB67_18
	s_branch .LBB67_19
.LBB67_17:                              ;   in Loop: Header=BB67_9 Depth=1
                                        ; implicit-def: $sgpr13
                                        ; implicit-def: $vgpr10
                                        ; implicit-def: $vgpr9
                                        ; implicit-def: $vgpr11
                                        ; implicit-def: $sgpr1
                                        ; implicit-def: $sgpr19
.LBB67_18:                              ;   in Loop: Header=BB67_9 Depth=1
	s_waitcnt vmcnt(0)
	v_dual_mov_b32 v11, v7 :: v_dual_mov_b32 v10, v5
	v_mov_b32_e32 v9, v8
	s_add_i32 s1, s18, -1
	s_mov_b32 s13, 0
	s_mov_b32 s19, s16
.LBB67_19:                              ;   in Loop: Header=BB67_9 Depth=1
	s_and_not1_b32 vcc_lo, exec_lo, s13
	s_cbranch_vccz .LBB67_23
; %bb.20:                               ;   in Loop: Header=BB67_9 Depth=1
	v_dual_mov_b32 v7, v11 :: v_dual_mov_b32 v8, v9
	s_waitcnt vmcnt(0)
	v_mov_b32_e32 v5, v10
	s_mov_b32 s16, s19
	s_mov_b32 s18, s1
	s_branch .LBB67_9
.LBB67_21:
                                        ; implicit-def: $sgpr16_sgpr17
	s_load_b128 s[8:11], s[0:1], 0x44
	s_branch .LBB67_2
.LBB67_22:
                                        ; implicit-def: $sgpr18_sgpr19
	s_branch .LBB67_5
.LBB67_23:
	v_div_scale_f32 v0, null, v11, v11, v10
	s_delay_alu instid0(VALU_DEP_1) | instskip(SKIP_2) | instid1(VALU_DEP_1)
	v_rcp_f32_e32 v3, v0
	s_waitcnt_depctr 0xfff
	v_fma_f32 v4, -v0, v3, 1.0
	v_fmac_f32_e32 v3, v4, v3
	v_div_scale_f32 v4, vcc_lo, v10, v11, v10
	s_waitcnt vmcnt(0)
	s_delay_alu instid0(VALU_DEP_1) | instskip(NEXT) | instid1(VALU_DEP_1)
	v_mul_f32_e32 v5, v4, v3
	v_fma_f32 v6, -v0, v5, v4
	s_delay_alu instid0(VALU_DEP_1) | instskip(NEXT) | instid1(VALU_DEP_1)
	v_fmac_f32_e32 v5, v6, v3
	v_fma_f32 v0, -v0, v5, v4
	s_delay_alu instid0(VALU_DEP_1) | instskip(NEXT) | instid1(VALU_DEP_1)
	v_div_fmas_f32 v0, v0, v3, v5
	v_div_fixup_f32 v0, v0, v11, v10
	global_store_b32 v[1:2], v0, off
.LBB67_24:
	s_nop 0
	s_sendmsg sendmsg(MSG_DEALLOC_VGPRS)
	s_endpgm
	.section	.rodata,"a",@progbits
	.p2align	6, 0x0
	.amdhsa_kernel _ZL33flash_attn_stream_k_fixup_generalILi80ELi4ELi1EEvPfPK15HIP_vector_typeIfLj2EEiiiiS1_IjLj3EES5_S5_S5_
		.amdhsa_group_segment_fixed_size 0
		.amdhsa_private_segment_fixed_size 0
		.amdhsa_kernarg_size 336
		.amdhsa_user_sgpr_count 13
		.amdhsa_user_sgpr_dispatch_ptr 0
		.amdhsa_user_sgpr_queue_ptr 0
		.amdhsa_user_sgpr_kernarg_segment_ptr 1
		.amdhsa_user_sgpr_dispatch_id 0
		.amdhsa_user_sgpr_private_segment_size 0
		.amdhsa_wavefront_size32 1
		.amdhsa_uses_dynamic_stack 0
		.amdhsa_enable_private_segment 0
		.amdhsa_system_sgpr_workgroup_id_x 1
		.amdhsa_system_sgpr_workgroup_id_y 1
		.amdhsa_system_sgpr_workgroup_id_z 1
		.amdhsa_system_sgpr_workgroup_info 0
		.amdhsa_system_vgpr_workitem_id 0
		.amdhsa_next_free_vgpr 19
		.amdhsa_next_free_sgpr 32
		.amdhsa_reserve_vcc 1
		.amdhsa_float_round_mode_32 0
		.amdhsa_float_round_mode_16_64 0
		.amdhsa_float_denorm_mode_32 3
		.amdhsa_float_denorm_mode_16_64 3
		.amdhsa_dx10_clamp 1
		.amdhsa_ieee_mode 1
		.amdhsa_fp16_overflow 0
		.amdhsa_workgroup_processor_mode 1
		.amdhsa_memory_ordered 1
		.amdhsa_forward_progress 0
		.amdhsa_shared_vgpr_count 0
		.amdhsa_exception_fp_ieee_invalid_op 0
		.amdhsa_exception_fp_denorm_src 0
		.amdhsa_exception_fp_ieee_div_zero 0
		.amdhsa_exception_fp_ieee_overflow 0
		.amdhsa_exception_fp_ieee_underflow 0
		.amdhsa_exception_fp_ieee_inexact 0
		.amdhsa_exception_int_div_zero 0
	.end_amdhsa_kernel
	.section	.text._ZL33flash_attn_stream_k_fixup_generalILi80ELi4ELi1EEvPfPK15HIP_vector_typeIfLj2EEiiiiS1_IjLj3EES5_S5_S5_,"axG",@progbits,_ZL33flash_attn_stream_k_fixup_generalILi80ELi4ELi1EEvPfPK15HIP_vector_typeIfLj2EEiiiiS1_IjLj3EES5_S5_S5_,comdat
.Lfunc_end67:
	.size	_ZL33flash_attn_stream_k_fixup_generalILi80ELi4ELi1EEvPfPK15HIP_vector_typeIfLj2EEiiiiS1_IjLj3EES5_S5_S5_, .Lfunc_end67-_ZL33flash_attn_stream_k_fixup_generalILi80ELi4ELi1EEvPfPK15HIP_vector_typeIfLj2EEiiiiS1_IjLj3EES5_S5_S5_
                                        ; -- End function
	.section	.AMDGPU.csdata,"",@progbits
; Kernel info:
; codeLenInByte = 3220
; NumSgprs: 34
; NumVgprs: 19
; ScratchSize: 0
; MemoryBound: 0
; FloatMode: 240
; IeeeMode: 1
; LDSByteSize: 0 bytes/workgroup (compile time only)
; SGPRBlocks: 4
; VGPRBlocks: 2
; NumSGPRsForWavesPerEU: 34
; NumVGPRsForWavesPerEU: 19
; Occupancy: 16
; WaveLimiterHint : 0
; COMPUTE_PGM_RSRC2:SCRATCH_EN: 0
; COMPUTE_PGM_RSRC2:USER_SGPR: 13
; COMPUTE_PGM_RSRC2:TRAP_HANDLER: 0
; COMPUTE_PGM_RSRC2:TGID_X_EN: 1
; COMPUTE_PGM_RSRC2:TGID_Y_EN: 1
; COMPUTE_PGM_RSRC2:TGID_Z_EN: 1
; COMPUTE_PGM_RSRC2:TIDIG_COMP_CNT: 0
	.section	.text._ZL15flash_attn_tileILi80ELi80ELi2ELi1ELb0EEvPKcS1_S1_S1_S1_PKiPfP15HIP_vector_typeIfLj2EEffffjfiS5_IjLj3EEiiiiiiiiiiiliiliiiiil,"axG",@progbits,_ZL15flash_attn_tileILi80ELi80ELi2ELi1ELb0EEvPKcS1_S1_S1_S1_PKiPfP15HIP_vector_typeIfLj2EEffffjfiS5_IjLj3EEiiiiiiiiiiiliiliiiiil,comdat
	.globl	_ZL15flash_attn_tileILi80ELi80ELi2ELi1ELb0EEvPKcS1_S1_S1_S1_PKiPfP15HIP_vector_typeIfLj2EEffffjfiS5_IjLj3EEiiiiiiiiiiiliiliiiiil ; -- Begin function _ZL15flash_attn_tileILi80ELi80ELi2ELi1ELb0EEvPKcS1_S1_S1_S1_PKiPfP15HIP_vector_typeIfLj2EEffffjfiS5_IjLj3EEiiiiiiiiiiiliiliiiiil
	.p2align	8
	.type	_ZL15flash_attn_tileILi80ELi80ELi2ELi1ELb0EEvPKcS1_S1_S1_S1_PKiPfP15HIP_vector_typeIfLj2EEffffjfiS5_IjLj3EEiiiiiiiiiiiliiliiiiil,@function
_ZL15flash_attn_tileILi80ELi80ELi2ELi1ELb0EEvPKcS1_S1_S1_S1_PKiPfP15HIP_vector_typeIfLj2EEffffjfiS5_IjLj3EEiiiiiiiiiiiliiliiiiil: ; @_ZL15flash_attn_tileILi80ELi80ELi2ELi1ELb0EEvPKcS1_S1_S1_S1_PKiPfP15HIP_vector_typeIfLj2EEffffjfiS5_IjLj3EEiiiiiiiiiiiliiliiiiil
; %bb.0:
	s_clause 0x3
	s_load_b128 s[8:11], s[0:1], 0x5c
	s_load_b64 s[42:43], s[0:1], 0x80
	s_load_b512 s[16:31], s[0:1], 0x0
	s_load_b64 s[44:45], s[0:1], 0xb8
	s_mov_b64 s[40:41], 0
	s_waitcnt lgkmcnt(0)
	v_cvt_f32_u32_e32 v1, s11
	s_sub_i32 s3, 0, s11
	s_delay_alu instid0(VALU_DEP_1) | instskip(SKIP_2) | instid1(VALU_DEP_1)
	v_rcp_iflag_f32_e32 v1, v1
	s_waitcnt_depctr 0xfff
	v_mul_f32_e32 v1, 0x4f7ffffe, v1
	v_cvt_u32_f32_e32 v1, v1
	s_delay_alu instid0(VALU_DEP_1) | instskip(NEXT) | instid1(VALU_DEP_1)
	v_readfirstlane_b32 s2, v1
	s_mul_i32 s3, s3, s2
	s_delay_alu instid0(SALU_CYCLE_1) | instskip(NEXT) | instid1(SALU_CYCLE_1)
	s_mul_hi_u32 s3, s2, s3
	s_add_i32 s2, s2, s3
	s_delay_alu instid0(SALU_CYCLE_1) | instskip(NEXT) | instid1(SALU_CYCLE_1)
	s_mul_hi_u32 s2, s15, s2
	s_mul_i32 s3, s2, s11
	s_add_i32 s4, s2, 1
	s_sub_i32 s3, s15, s3
	s_delay_alu instid0(SALU_CYCLE_1)
	s_sub_i32 s5, s3, s11
	s_cmp_ge_u32 s3, s11
	s_cselect_b32 s2, s4, s2
	s_cselect_b32 s3, s5, s3
	s_add_i32 s4, s2, 1
	s_cmp_ge_u32 s3, s11
	s_cselect_b32 s33, s4, s2
	s_abs_i32 s2, s43
	s_abs_i32 s6, s11
	v_cvt_f32_u32_e32 v1, s2
	s_sub_i32 s4, 0, s2
	s_xor_b32 s5, s11, s43
	s_delay_alu instid0(SALU_CYCLE_1) | instskip(NEXT) | instid1(VALU_DEP_1)
	s_ashr_i32 s5, s5, 31
	v_rcp_iflag_f32_e32 v1, v1
	s_waitcnt_depctr 0xfff
	v_mul_f32_e32 v1, 0x4f7ffffe, v1
	s_delay_alu instid0(VALU_DEP_1) | instskip(NEXT) | instid1(VALU_DEP_1)
	v_cvt_u32_f32_e32 v1, v1
	v_readfirstlane_b32 s3, v1
	s_delay_alu instid0(VALU_DEP_1) | instskip(NEXT) | instid1(SALU_CYCLE_1)
	s_mul_i32 s4, s4, s3
	s_mul_hi_u32 s4, s3, s4
	s_delay_alu instid0(SALU_CYCLE_1) | instskip(SKIP_4) | instid1(SALU_CYCLE_1)
	s_add_i32 s3, s3, s4
	s_mul_i32 s4, s33, s11
	s_mul_hi_u32 s3, s6, s3
	s_sub_i32 s34, s15, s4
	s_mul_i32 s7, s3, s2
	s_sub_i32 s4, s6, s7
	s_add_i32 s6, s3, 1
	s_sub_i32 s7, s4, s2
	s_cmp_ge_u32 s4, s2
	s_cselect_b32 s3, s6, s3
	s_cselect_b32 s4, s7, s4
	s_add_i32 s6, s3, 1
	s_cmp_ge_u32 s4, s2
	s_cselect_b32 s2, s6, s3
	s_delay_alu instid0(SALU_CYCLE_1) | instskip(NEXT) | instid1(SALU_CYCLE_1)
	s_xor_b32 s2, s2, s5
	s_sub_i32 s5, s2, s5
	s_delay_alu instid0(SALU_CYCLE_1) | instskip(NEXT) | instid1(SALU_CYCLE_1)
	s_abs_i32 s12, s5
	v_cvt_f32_u32_e32 v1, s12
	s_sub_i32 s2, 0, s12
	s_cmp_eq_u64 s[22:23], 0
	s_delay_alu instid0(VALU_DEP_1) | instskip(SKIP_2) | instid1(VALU_DEP_1)
	v_rcp_iflag_f32_e32 v1, v1
	s_waitcnt_depctr 0xfff
	v_mul_f32_e32 v1, 0x4f7ffffe, v1
	v_cvt_u32_f32_e32 v1, v1
	s_delay_alu instid0(VALU_DEP_1) | instskip(NEXT) | instid1(VALU_DEP_1)
	v_readfirstlane_b32 s6, v1
	s_mul_i32 s2, s2, s6
	s_delay_alu instid0(SALU_CYCLE_1)
	s_mul_hi_u32 s2, s6, s2
	s_cbranch_scc1 .LBB68_2
; %bb.1:
	s_abs_i32 s3, s44
	s_abs_i32 s15, s33
	v_cvt_f32_u32_e32 v1, s3
	s_sub_i32 s7, 0, s3
	s_load_b64 s[36:37], s[0:1], 0xc8
	s_delay_alu instid0(VALU_DEP_1) | instskip(SKIP_2) | instid1(VALU_DEP_1)
	v_rcp_iflag_f32_e32 v1, v1
	s_waitcnt_depctr 0xfff
	v_mul_f32_e32 v1, 0x4f7ffffe, v1
	v_cvt_u32_f32_e32 v1, v1
	s_delay_alu instid0(VALU_DEP_1) | instskip(NEXT) | instid1(VALU_DEP_1)
	v_readfirstlane_b32 s4, v1
	s_mul_i32 s7, s7, s4
	s_delay_alu instid0(SALU_CYCLE_1) | instskip(NEXT) | instid1(SALU_CYCLE_1)
	s_mul_hi_u32 s7, s4, s7
	s_add_i32 s4, s4, s7
	s_ashr_i32 s7, s33, 31
	s_mul_hi_u32 s4, s15, s4
	s_delay_alu instid0(SALU_CYCLE_1) | instskip(NEXT) | instid1(SALU_CYCLE_1)
	s_mul_i32 s4, s4, s3
	s_sub_i32 s4, s15, s4
	s_delay_alu instid0(SALU_CYCLE_1) | instskip(SKIP_2) | instid1(SALU_CYCLE_1)
	s_sub_i32 s15, s4, s3
	s_cmp_ge_u32 s4, s3
	s_cselect_b32 s4, s15, s4
	s_sub_i32 s15, s4, s3
	s_cmp_ge_u32 s4, s3
	s_cselect_b32 s3, s15, s4
	s_delay_alu instid0(SALU_CYCLE_1) | instskip(NEXT) | instid1(SALU_CYCLE_1)
	s_xor_b32 s3, s3, s7
	s_sub_i32 s3, s3, s7
	s_waitcnt lgkmcnt(0)
	s_mul_i32 s4, s3, s37
	s_mul_hi_u32 s7, s3, s36
	s_ashr_i32 s15, s3, 31
	s_add_i32 s4, s7, s4
	s_mul_i32 s15, s15, s36
	s_mul_i32 s3, s3, s36
	s_add_i32 s4, s4, s15
	s_add_u32 s40, s22, s3
	s_addc_u32 s41, s23, s4
.LBB68_2:
	s_clause 0x1
	s_load_b128 s[36:39], s[0:1], 0x40
	s_load_b32 s3, s[0:1], 0x50
	v_mov_b32_e32 v62, 1.0
	s_add_i32 s6, s6, s2
	s_waitcnt lgkmcnt(0)
	v_cmp_le_f32_e64 s4, s37, 0
	s_abs_i32 s37, s34
	s_delay_alu instid0(VALU_DEP_1)
	s_and_b32 vcc_lo, exec_lo, s4
	s_cbranch_vccnz .LBB68_4
; %bb.3:
	s_sub_i32 s2, s34, s3
	s_add_i32 s4, s34, 1
	s_lshl_b32 s2, s2, 1
	v_mov_b32_e32 v1, s38
	s_or_b32 s2, s2, 1
	s_cmp_lt_u32 s34, s3
	s_cselect_b32 vcc_lo, -1, 0
	s_delay_alu instid0(VALU_DEP_1)
	v_cndmask_b32_e32 v3, s39, v1, vcc_lo
	s_and_b32 s3, vcc_lo, exec_lo
	s_cselect_b32 s2, s4, s2
	s_mov_b32 s3, 0x3e76c4e1
	v_cvt_f32_i32_e32 v1, s2
	v_cmp_neq_f32_e32 vcc_lo, 1.0, v3
	s_delay_alu instid0(VALU_DEP_2) | instskip(NEXT) | instid1(VALU_DEP_1)
	v_cndmask_b32_e32 v4, 1.0, v1, vcc_lo
	v_cmp_eq_f32_e32 vcc_lo, 0, v4
	v_cndmask_b32_e64 v5, |v3|, 1.0, vcc_lo
	s_delay_alu instid0(VALU_DEP_1) | instskip(NEXT) | instid1(VALU_DEP_1)
	v_frexp_mant_f32_e32 v1, v5
	v_cmp_gt_f32_e64 s2, 0x3f2aaaab, v1
	s_delay_alu instid0(VALU_DEP_1) | instskip(NEXT) | instid1(VALU_DEP_1)
	v_cndmask_b32_e64 v2, 1.0, 2.0, s2
	v_mul_f32_e32 v1, v1, v2
	s_delay_alu instid0(VALU_DEP_1) | instskip(SKIP_1) | instid1(VALU_DEP_2)
	v_add_f32_e32 v2, 1.0, v1
	v_add_f32_e32 v7, -1.0, v1
	v_rcp_f32_e32 v6, v2
	s_waitcnt_depctr 0xfff
	v_mul_f32_e32 v8, v7, v6
	s_delay_alu instid0(VALU_DEP_1) | instskip(NEXT) | instid1(VALU_DEP_1)
	v_dual_add_f32 v9, -1.0, v2 :: v_dual_mul_f32 v10, v2, v8
	v_sub_f32_e32 v1, v1, v9
	v_cndmask_b32_e64 v3, v3, 1.0, vcc_lo
	s_delay_alu instid0(VALU_DEP_3) | instskip(NEXT) | instid1(VALU_DEP_2)
	v_fma_f32 v2, v8, v2, -v10
	v_cmp_eq_f32_e64 s4, 0, v3
	s_delay_alu instid0(VALU_DEP_2) | instskip(NEXT) | instid1(VALU_DEP_1)
	v_fmac_f32_e32 v2, v8, v1
	v_add_f32_e32 v1, v10, v2
	s_delay_alu instid0(VALU_DEP_1) | instskip(NEXT) | instid1(VALU_DEP_1)
	v_dual_sub_f32 v10, v1, v10 :: v_dual_sub_f32 v9, v7, v1
	v_dual_sub_f32 v2, v10, v2 :: v_dual_sub_f32 v7, v7, v9
	s_delay_alu instid0(VALU_DEP_1) | instskip(NEXT) | instid1(VALU_DEP_1)
	v_sub_f32_e32 v1, v7, v1
	v_add_f32_e32 v1, v2, v1
	s_delay_alu instid0(VALU_DEP_1) | instskip(NEXT) | instid1(VALU_DEP_1)
	v_add_f32_e32 v1, v9, v1
	v_mul_f32_e32 v1, v6, v1
	s_delay_alu instid0(VALU_DEP_1) | instskip(NEXT) | instid1(VALU_DEP_1)
	v_add_f32_e32 v6, v8, v1
	v_sub_f32_e32 v2, v6, v8
	v_mul_f32_e32 v7, v6, v6
	s_delay_alu instid0(VALU_DEP_2) | instskip(NEXT) | instid1(VALU_DEP_2)
	v_sub_f32_e32 v8, v1, v2
	v_fma_f32 v9, v6, v6, -v7
	s_delay_alu instid0(VALU_DEP_2) | instskip(NEXT) | instid1(VALU_DEP_1)
	v_add_f32_e32 v1, v8, v8
	v_fmac_f32_e32 v9, v6, v1
	v_cvt_f64_f32_e32 v[1:2], v5
	s_delay_alu instid0(VALU_DEP_2) | instskip(NEXT) | instid1(VALU_DEP_1)
	v_add_f32_e32 v10, v7, v9
	v_fmaak_f32 v11, s3, v10, 0x3e91f4c4
	v_sub_f32_e32 v7, v10, v7
	v_mul_f32_e32 v14, v6, v10
	s_delay_alu instid0(VALU_DEP_3) | instskip(NEXT) | instid1(VALU_DEP_3)
	v_fmaak_f32 v11, v10, v11, 0x3ecccdef
	v_sub_f32_e32 v7, v9, v7
	s_delay_alu instid0(VALU_DEP_2) | instskip(NEXT) | instid1(VALU_DEP_1)
	v_mul_f32_e32 v12, v10, v11
	v_fma_f32 v9, v10, v11, -v12
	s_delay_alu instid0(VALU_DEP_1) | instskip(NEXT) | instid1(VALU_DEP_1)
	v_fmac_f32_e32 v9, v7, v11
	v_add_f32_e32 v11, v12, v9
	v_frexp_exp_i32_f64_e32 v1, v[1:2]
	s_delay_alu instid0(VALU_DEP_2) | instskip(NEXT) | instid1(VALU_DEP_1)
	v_sub_f32_e32 v12, v11, v12
	v_sub_f32_e32 v2, v9, v12
	v_fma_f32 v12, v10, v6, -v14
	s_delay_alu instid0(VALU_DEP_2) | instskip(NEXT) | instid1(VALU_DEP_2)
	v_add_f32_e32 v2, 0x31739010, v2
	v_dual_add_f32 v13, 0x3f2aaaaa, v11 :: v_dual_fmac_f32 v12, v10, v8
	v_ldexp_f32 v8, v8, 1
	s_delay_alu instid0(VALU_DEP_2) | instskip(NEXT) | instid1(VALU_DEP_1)
	v_dual_add_f32 v9, 0xbf2aaaaa, v13 :: v_dual_fmac_f32 v12, v7, v6
	v_sub_f32_e32 v9, v11, v9
	s_delay_alu instid0(VALU_DEP_1) | instskip(NEXT) | instid1(VALU_DEP_3)
	v_add_f32_e32 v2, v2, v9
	v_add_f32_e32 v9, v14, v12
	s_delay_alu instid0(VALU_DEP_2) | instskip(NEXT) | instid1(VALU_DEP_1)
	v_add_f32_e32 v7, v13, v2
	v_sub_f32_e32 v10, v13, v7
	s_delay_alu instid0(VALU_DEP_3) | instskip(SKIP_2) | instid1(VALU_DEP_4)
	v_mul_f32_e32 v11, v9, v7
	v_sub_f32_e32 v13, v9, v14
	v_subrev_co_ci_u32_e64 v1, s2, 0, v1, s2
	v_add_f32_e32 v2, v2, v10
	s_delay_alu instid0(VALU_DEP_4) | instskip(NEXT) | instid1(VALU_DEP_4)
	v_fma_f32 v10, v9, v7, -v11
	v_sub_f32_e32 v12, v12, v13
	s_delay_alu instid0(VALU_DEP_4) | instskip(NEXT) | instid1(VALU_DEP_3)
	v_cvt_f32_i32_e32 v1, v1
	v_fmac_f32_e32 v10, v9, v2
	v_ldexp_f32 v2, v6, 1
	s_delay_alu instid0(VALU_DEP_2) | instskip(NEXT) | instid1(VALU_DEP_1)
	v_fmac_f32_e32 v10, v12, v7
	v_add_f32_e32 v6, v11, v10
	s_delay_alu instid0(VALU_DEP_1) | instskip(NEXT) | instid1(VALU_DEP_1)
	v_add_f32_e32 v7, v2, v6
	v_dual_sub_f32 v2, v7, v2 :: v_dual_sub_f32 v9, v6, v11
	s_delay_alu instid0(VALU_DEP_1) | instskip(NEXT) | instid1(VALU_DEP_2)
	v_sub_f32_e32 v2, v6, v2
	v_sub_f32_e32 v9, v10, v9
	s_delay_alu instid0(VALU_DEP_1) | instskip(NEXT) | instid1(VALU_DEP_1)
	v_add_f32_e32 v6, v8, v9
	v_dual_mul_f32 v11, 0x3f317218, v1 :: v_dual_add_f32 v2, v6, v2
	s_delay_alu instid0(VALU_DEP_1) | instskip(NEXT) | instid1(VALU_DEP_2)
	v_fma_f32 v10, 0x3f317218, v1, -v11
	v_add_f32_e32 v8, v7, v2
	s_delay_alu instid0(VALU_DEP_1) | instskip(NEXT) | instid1(VALU_DEP_1)
	v_sub_f32_e32 v7, v8, v7
	v_dual_fmamk_f32 v1, v1, 0xb102e308, v10 :: v_dual_sub_f32 v2, v2, v7
	s_delay_alu instid0(VALU_DEP_1) | instskip(NEXT) | instid1(VALU_DEP_1)
	v_add_f32_e32 v6, v11, v1
	v_add_f32_e32 v9, v6, v8
	s_delay_alu instid0(VALU_DEP_1) | instskip(NEXT) | instid1(VALU_DEP_1)
	v_dual_sub_f32 v11, v6, v11 :: v_dual_sub_f32 v10, v9, v6
	v_sub_f32_e32 v12, v9, v10
	s_delay_alu instid0(VALU_DEP_2) | instskip(NEXT) | instid1(VALU_DEP_2)
	v_sub_f32_e32 v1, v1, v11
	v_dual_sub_f32 v7, v8, v10 :: v_dual_sub_f32 v6, v6, v12
	s_delay_alu instid0(VALU_DEP_2) | instskip(NEXT) | instid1(VALU_DEP_2)
	v_add_f32_e32 v8, v1, v2
	v_add_f32_e32 v6, v7, v6
	s_delay_alu instid0(VALU_DEP_1) | instskip(NEXT) | instid1(VALU_DEP_1)
	v_add_f32_e32 v6, v8, v6
	v_dual_sub_f32 v7, v8, v1 :: v_dual_add_f32 v10, v9, v6
	s_delay_alu instid0(VALU_DEP_1) | instskip(SKIP_1) | instid1(VALU_DEP_3)
	v_sub_f32_e32 v8, v8, v7
	v_sub_f32_e32 v2, v2, v7
	;; [unrolled: 1-line block ×3, first 2 shown]
	s_delay_alu instid0(VALU_DEP_3) | instskip(NEXT) | instid1(VALU_DEP_1)
	v_sub_f32_e32 v1, v1, v8
	v_add_f32_e32 v1, v2, v1
	s_delay_alu instid0(VALU_DEP_3) | instskip(NEXT) | instid1(VALU_DEP_1)
	v_sub_f32_e32 v2, v6, v7
	v_add_f32_e32 v1, v1, v2
	s_delay_alu instid0(VALU_DEP_1) | instskip(NEXT) | instid1(VALU_DEP_1)
	v_add_f32_e32 v2, v10, v1
	v_mul_f32_e32 v7, v4, v2
	v_sub_f32_e32 v6, v2, v10
	s_delay_alu instid0(VALU_DEP_2) | instskip(NEXT) | instid1(VALU_DEP_2)
	v_fma_f32 v2, v4, v2, -v7
	v_sub_f32_e32 v1, v1, v6
	v_cmp_class_f32_e64 s2, v7, 0x204
	s_delay_alu instid0(VALU_DEP_2) | instskip(NEXT) | instid1(VALU_DEP_1)
	v_fmac_f32_e32 v2, v4, v1
	v_add_f32_e32 v1, v7, v2
	s_delay_alu instid0(VALU_DEP_1) | instskip(NEXT) | instid1(VALU_DEP_1)
	v_cndmask_b32_e64 v6, v1, v7, s2
	v_cmp_eq_f32_e64 s2, 0x42b17218, v6
	s_delay_alu instid0(VALU_DEP_1) | instskip(SKIP_1) | instid1(VALU_DEP_2)
	v_cndmask_b32_e64 v8, 0, 0x37000000, s2
	v_cmp_neq_f32_e64 s2, 0x7f800000, |v6|
	v_sub_f32_e32 v9, v6, v8
	v_trunc_f32_e32 v6, v4
	s_delay_alu instid0(VALU_DEP_2) | instskip(NEXT) | instid1(VALU_DEP_1)
	v_mul_f32_e32 v10, 0x3fb8aa3b, v9
	v_fma_f32 v11, 0x3fb8aa3b, v9, -v10
	v_rndne_f32_e32 v12, v10
	s_delay_alu instid0(VALU_DEP_1) | instskip(NEXT) | instid1(VALU_DEP_1)
	v_dual_fmamk_f32 v11, v9, 0x32a5705f, v11 :: v_dual_sub_f32 v10, v10, v12
	v_add_f32_e32 v10, v10, v11
	v_sub_f32_e32 v1, v1, v7
	v_cvt_i32_f32_e32 v7, v12
	s_delay_alu instid0(VALU_DEP_3) | instskip(NEXT) | instid1(VALU_DEP_2)
	v_exp_f32_e32 v10, v10
	v_sub_f32_e32 v1, v2, v1
	s_delay_alu instid0(VALU_DEP_1)
	v_cndmask_b32_e64 v1, 0, v1, s2
	v_cmp_ngt_f32_e64 s2, 0xc2ce8ed0, v9
	s_waitcnt_depctr 0xfff
	v_ldexp_f32 v2, v10, v7
	v_mul_f32_e32 v7, 0.5, v4
	v_add_f32_e32 v1, v8, v1
	s_delay_alu instid0(VALU_DEP_3) | instskip(NEXT) | instid1(VALU_DEP_3)
	v_cndmask_b32_e64 v2, 0, v2, s2
	v_trunc_f32_e32 v10, v7
	v_cmp_nlt_f32_e64 s2, 0x42b17218, v9
	s_delay_alu instid0(VALU_DEP_2) | instskip(NEXT) | instid1(VALU_DEP_2)
	v_cmp_neq_f32_e64 s3, v10, v7
	v_cndmask_b32_e64 v2, 0x7f800000, v2, s2
	v_cmp_eq_f32_e64 s2, v6, v4
	s_delay_alu instid0(VALU_DEP_2) | instskip(NEXT) | instid1(VALU_DEP_2)
	v_fma_f32 v1, v2, v1, v2
	s_and_b32 vcc_lo, s2, s3
	v_cmp_class_f32_e64 s3, v2, 0x204
	v_cndmask_b32_e32 v6, 1.0, v3, vcc_lo
	s_delay_alu instid0(VALU_DEP_2) | instskip(SKIP_1) | instid1(VALU_DEP_2)
	v_cndmask_b32_e64 v1, v1, v2, s3
	v_cmp_gt_f32_e64 s3, 0, v4
	v_bfi_b32 v1, 0x7fffffff, v1, v6
	s_delay_alu instid0(VALU_DEP_2)
	s_xor_b32 s3, s3, s4
	v_cndmask_b32_e32 v6, 0, v3, vcc_lo
	v_cndmask_b32_e64 v2, 0x7f800000, 0, s3
	v_cmp_eq_f32_e32 vcc_lo, 0x7f800000, v5
	v_cndmask_b32_e64 v4, 0x7fc00000, v1, s2
	v_cmp_gt_f32_e64 s2, 0, v3
	s_delay_alu instid0(VALU_DEP_4) | instskip(SKIP_1) | instid1(VALU_DEP_2)
	v_bfi_b32 v2, 0x7fffffff, v2, v6
	s_or_b32 vcc_lo, vcc_lo, s4
	v_cndmask_b32_e64 v1, v1, v4, s2
	s_delay_alu instid0(VALU_DEP_1) | instskip(SKIP_1) | instid1(VALU_DEP_2)
	v_cndmask_b32_e32 v1, v1, v2, vcc_lo
	v_cmp_o_f32_e32 vcc_lo, v3, v3
	v_cndmask_b32_e32 v62, 0x7fc00000, v1, vcc_lo
.LBB68_4:
	v_and_b32_e32 v43, 0x3ff, v0
	v_bfe_u32 v60, v0, 10, 10
	s_lshl_b32 s3, s13, 1
	s_delay_alu instid0(VALU_DEP_2) | instskip(NEXT) | instid1(VALU_DEP_2)
	v_cmp_gt_u32_e64 s2, 20, v43
	v_add_nc_u32_e32 v44, s3, v60
	v_lshlrev_b32_e32 v68, 4, v43
	s_mul_hi_u32 s3, s37, s6
	s_delay_alu instid0(VALU_DEP_3)
	s_and_saveexec_b32 s4, s2
	s_cbranch_execz .LBB68_6
; %bb.5:
	s_load_b128 s[48:51], s[0:1], 0x70
	v_mul_hi_u32 v0, s8, v44
	v_mul_u32_u24_e32 v6, 40, v60
	v_lshlrev_b32_e32 v7, 1, v43
	s_delay_alu instid0(VALU_DEP_3) | instskip(NEXT) | instid1(VALU_DEP_1)
	v_add_nc_u32_e32 v0, v44, v0
	v_lshrrev_b32_e32 v0, s9, v0
	s_delay_alu instid0(VALU_DEP_1)
	v_mul_lo_u32 v0, v0, s10
	s_waitcnt lgkmcnt(0)
	s_mul_i32 s6, s33, s50
	s_mul_i32 s7, s34, s49
	s_ashr_i32 s15, s6, 31
	s_add_u32 s6, s16, s6
	s_addc_u32 s15, s17, s15
	s_ashr_i32 s16, s7, 31
	s_add_u32 s6, s6, s7
	s_addc_u32 s7, s15, s16
	s_ashr_i32 s15, s48, 31
	v_sub_nc_u32_e32 v4, v44, v0
	v_alignbit_b32 v2, s15, s48, 2
	s_lshr_b32 s15, s15, 2
	s_delay_alu instid0(VALU_DEP_1) | instskip(NEXT) | instid1(VALU_DEP_1)
	v_mad_u64_u32 v[0:1], null, v2, v4, 0
	v_mad_u64_u32 v[2:3], null, s15, v4, v[1:2]
	s_delay_alu instid0(VALU_DEP_1) | instskip(NEXT) | instid1(VALU_DEP_1)
	v_mov_b32_e32 v1, v2
	v_lshlrev_b64 v[0:1], 2, v[0:1]
	s_delay_alu instid0(VALU_DEP_1) | instskip(NEXT) | instid1(VALU_DEP_2)
	v_add_co_u32 v0, vcc_lo, s6, v0
	v_add_co_ci_u32_e32 v1, vcc_lo, s7, v1, vcc_lo
	s_delay_alu instid0(VALU_DEP_2) | instskip(NEXT) | instid1(VALU_DEP_2)
	v_add_co_u32 v0, vcc_lo, v0, v68
	v_add_co_ci_u32_e32 v1, vcc_lo, 0, v1, vcc_lo
	global_load_b128 v[0:3], v[0:1], off
	s_waitcnt vmcnt(0)
	v_fma_mixlo_f16 v5, v2, s36, 0
	v_fma_mixlo_f16 v4, v0, s36, 0
	v_add_lshl_u32 v0, v6, v7, 2
	s_delay_alu instid0(VALU_DEP_3) | instskip(NEXT) | instid1(VALU_DEP_3)
	v_fma_mixhi_f16 v5, v3, s36, 0
	v_fma_mixhi_f16 v4, v1, s36, 0
	ds_store_b64 v0, v[4:5] offset:3264
.LBB68_6:
	s_or_b32 exec_lo, exec_lo, s4
	s_ashr_i32 s35, s34, 31
	s_ashr_i32 s16, s5, 31
	s_cmp_eq_u64 s[26:27], 0
	s_waitcnt lgkmcnt(0)
	s_barrier
	buffer_gl0_inv
	s_cbranch_scc1 .LBB68_8
; %bb.7:
	s_load_b32 s4, s[0:1], 0xd0
	s_mov_b32 s5, 0
	s_waitcnt lgkmcnt(0)
	s_mul_i32 s4, s4, s33
	s_delay_alu instid0(SALU_CYCLE_1) | instskip(NEXT) | instid1(SALU_CYCLE_1)
	s_add_i32 s4, s4, s13
	s_lshl_b64 s[4:5], s[4:5], 2
	s_delay_alu instid0(SALU_CYCLE_1)
	s_add_u32 s4, s26, s4
	s_addc_u32 s5, s27, s5
	s_load_b32 s42, s[4:5], 0x0
.LBB68_8:
	s_clause 0x2
	s_load_b64 s[26:27], s[0:1], 0x8c
	s_load_b128 s[4:7], s[0:1], 0x98
	s_load_b64 s[38:39], s[0:1], 0xa8
	s_ashr_i32 s13, s33, 31
	s_ashr_i32 s22, s45, 1
	s_mul_i32 s17, s3, s12
	v_dual_mov_b32 v59, 0 :: v_dual_lshlrev_b32 v56, 3, v43
	v_lshl_add_u32 v71, v60, 5, v43
	v_lshrrev_b32_e32 v70, 2, v43
	v_lshlrev_b32_e32 v61, 2, v43
	v_mul_u32_u24_e32 v66, 0x60, v43
	v_mul_u32_u24_e32 v67, 0xa0, v60
	v_lshl_add_u32 v57, v60, 6, 0xe00
	v_lshrrev_b32_e32 v65, 1, v43
	v_lshrrev_b32_e32 v63, 3, v43
	v_mbcnt_lo_u32_b32 v55, -1, 0
	s_waitcnt lgkmcnt(0)
	s_ashr_i32 s23, s26, 2
	s_ashr_i32 s15, s6, 2
	s_mul_i32 s5, s33, s5
	s_mul_hi_u32 s6, s33, s4
	s_mul_i32 s26, s13, s4
	s_add_i32 s5, s6, s5
	s_mul_i32 s4, s33, s4
	s_add_i32 s5, s5, s26
	s_add_u32 s4, s18, s4
	s_addc_u32 s5, s19, s5
	s_xor_b32 s6, s35, s16
	s_sub_i32 s16, s37, s17
	s_add_i32 s17, s3, 1
	s_sub_i32 s18, s16, s12
	s_cmp_ge_u32 s16, s12
	s_mul_i32 s13, s13, s38
	s_cselect_b32 s3, s17, s3
	s_cselect_b32 s16, s18, s16
	s_add_i32 s17, s3, 1
	s_cmp_ge_u32 s16, s12
	s_mul_i32 s12, s33, s39
	s_cselect_b32 s3, s17, s3
	s_mul_hi_u32 s18, s33, s38
	s_xor_b32 s3, s3, s6
	s_mul_i32 s19, s33, s38
	s_sub_i32 s3, s3, s6
	s_delay_alu instid0(SALU_CYCLE_1)
	s_mul_i32 s6, s3, s27
	s_mul_i32 s3, s3, s7
	s_ashr_i32 s17, s6, 31
	s_add_u32 s16, s4, s6
	s_addc_u32 s17, s5, s17
	s_add_i32 s4, s18, s12
	s_delay_alu instid0(SALU_CYCLE_1)
	s_add_i32 s4, s4, s13
	s_add_u32 s5, s20, s19
	s_addc_u32 s4, s21, s4
	s_ashr_i32 s6, s3, 31
	s_add_u32 s19, s5, s3
	s_addc_u32 s20, s4, s6
	s_lshl_b32 s21, s14, 5
	s_sub_i32 s7, s42, 32
	s_delay_alu instid0(SALU_CYCLE_1)
	s_cmp_ge_i32 s21, s7
	s_cbranch_scc1 .LBB68_23
; %bb.9:
	v_mul_hi_u32 v1, s8, v44
	v_mov_b32_e32 v58, 0
	v_lshl_add_u32 v3, v60, 3, v70
	v_lshl_add_u32 v7, v60, 2, v63
	v_dual_mov_b32 v59, 0 :: v_dual_and_b32 v12, 12, v61
	v_lshl_add_u32 v5, v60, 4, v65
	s_delay_alu instid0(VALU_DEP_4) | instskip(SKIP_4) | instid1(VALU_DEP_4)
	v_mul_lo_u32 v2, s23, v3
	v_add_nc_u32_e32 v1, v44, v1
	v_mul_lo_u32 v4, s15, v7
	v_dual_mov_b32 v84, 0xfeffffff :: v_dual_and_b32 v13, 28, v61
	v_lshlrev_b32_e32 v8, 2, v12
	v_lshrrev_b32_e32 v1, s9, v1
	v_mul_lo_u32 v0, s23, v71
	v_mul_lo_u32 v6, s15, v5
	v_dual_mov_b32 v83, 0 :: v_dual_and_b32 v74, 4, v61
	s_delay_alu instid0(VALU_DEP_4)
	v_mul_lo_u32 v9, v1, s10
	v_mul_u32_u24_e32 v11, 0xa0, v5
	v_lshlrev_b32_e32 v14, 2, v13
	v_mad_u32_u24 v75, 0x60, v3, v8
	v_lshl_add_u32 v8, s23, 4, v2
	v_lshl_add_u32 v10, s15, 3, v4
	v_ashrrev_i32_e32 v1, 31, v0
	v_ashrrev_i32_e32 v3, 31, v2
	v_sub_nc_u32_e32 v15, v44, v9
	v_ashrrev_i32_e32 v9, 31, v8
	v_cmp_gt_u32_e64 s4, 16, v5
	v_mad_u32_u24 v77, 0xa0, v7, v14
	v_ashrrev_i32_e32 v5, 31, v4
	v_mad_u64_u32 v[40:41], null, v15, s22, v[43:44]
	v_lshl_or_b32 v15, v74, 2, v11
	v_ashrrev_i32_e32 v11, 31, v10
	v_ashrrev_i32_e32 v7, 31, v6
	v_lshlrev_b64 v[41:42], 2, v[0:1]
	v_lshlrev_b64 v[45:46], 2, v[2:3]
	;; [unrolled: 1-line block ×6, first 2 shown]
	v_cmp_gt_u32_e64 s3, 32, v71
	v_mad_u32_u24 v72, 0x60, v71, 64
	s_cmp_lg_u64 s[40:41], 0
	v_lshl_add_u32 v73, v43, 1, v57
	v_add_nc_u32_e32 v76, 0x600, v75
	v_add_nc_u32_e32 v78, 0x80, v15
	;; [unrolled: 1-line block ×3, first 2 shown]
	v_lshlrev_b32_e32 v80, 2, v12
	v_lshlrev_b32_e32 v81, 2, v13
	v_mbcnt_lo_u32_b32 v82, -1, 0
	s_cselect_b32 s18, -1, 0
	s_add_u32 s12, s0, 0xd0
	s_addc_u32 s13, s1, 0
.LBB68_10:                              ; =>This Inner Loop Header: Depth=1
	s_mul_hi_i32 s27, s21, s23
	s_mul_i32 s26, s21, s23
	s_delay_alu instid0(SALU_CYCLE_1) | instskip(NEXT) | instid1(SALU_CYCLE_1)
	s_lshl_b64 s[26:27], s[26:27], 2
	s_add_u32 s5, s16, s26
	s_addc_u32 s6, s17, s27
	s_and_saveexec_b32 s26, s3
	s_cbranch_execz .LBB68_12
; %bb.11:                               ;   in Loop: Header=BB68_10 Depth=1
	v_add_co_u32 v0, vcc_lo, s5, v41
	v_add_co_ci_u32_e32 v1, vcc_lo, s6, v42, vcc_lo
	global_load_b128 v[0:3], v[0:1], off offset:64
	s_waitcnt vmcnt(0)
	ds_store_b128 v72, v[0:3]
.LBB68_12:                              ;   in Loop: Header=BB68_10 Depth=1
	s_or_b32 exec_lo, exec_lo, s26
	v_add_co_u32 v0, vcc_lo, s5, v45
	v_add_co_ci_u32_e32 v1, vcc_lo, s6, v46, vcc_lo
	v_add_co_u32 v2, vcc_lo, s5, v47
	v_add_co_ci_u32_e32 v3, vcc_lo, s6, v48, vcc_lo
	s_delay_alu instid0(VALU_DEP_4) | instskip(NEXT) | instid1(VALU_DEP_4)
	v_add_co_u32 v0, vcc_lo, v0, v80
	v_add_co_ci_u32_e32 v1, vcc_lo, 0, v1, vcc_lo
	s_delay_alu instid0(VALU_DEP_4) | instskip(NEXT) | instid1(VALU_DEP_4)
	v_add_co_u32 v2, vcc_lo, v2, v80
	v_add_co_ci_u32_e32 v3, vcc_lo, 0, v3, vcc_lo
	s_clause 0x1
	global_load_b128 v[4:7], v[0:1], off
	global_load_b128 v[8:11], v[2:3], off
	s_waitcnt vmcnt(1)
	ds_store_b128 v75, v[4:7]
	s_waitcnt vmcnt(0)
	ds_store_b128 v76, v[8:11]
	s_waitcnt lgkmcnt(0)
	s_barrier
	buffer_gl0_inv
	ds_load_b128 v[5:8], v66
	ds_load_b128 v[9:12], v67 offset:3264
	v_mov_b32_e32 v4, 0
	s_waitcnt lgkmcnt(0)
	;;#ASMSTART
	v_dot2_f32_f16 v4, v5, v9, v4
	;;#ASMEND
	;;#ASMSTART
	v_dot2_f32_f16 v4, v6, v10, v4
	;;#ASMEND
	;;#ASMSTART
	v_dot2_f32_f16 v4, v7, v11, v4
	;;#ASMEND
	;;#ASMSTART
	v_dot2_f32_f16 v4, v8, v12, v4
	;;#ASMEND
	ds_load_b128 v[5:8], v66 offset:16
	ds_load_b128 v[9:12], v67 offset:3280
	s_waitcnt lgkmcnt(0)
	;;#ASMSTART
	v_dot2_f32_f16 v4, v5, v9, v4
	;;#ASMEND
	;;#ASMSTART
	v_dot2_f32_f16 v4, v6, v10, v4
	;;#ASMEND
	;;#ASMSTART
	v_dot2_f32_f16 v4, v7, v11, v4
	;;#ASMEND
	;;#ASMSTART
	v_dot2_f32_f16 v4, v8, v12, v4
	;;#ASMEND
	ds_load_b128 v[5:8], v66 offset:32
	ds_load_b128 v[9:12], v67 offset:3296
	;; [unrolled: 15-line block ×4, first 2 shown]
	s_waitcnt lgkmcnt(0)
	;;#ASMSTART
	v_dot2_f32_f16 v4, v5, v9, v4
	;;#ASMEND
	;;#ASMSTART
	v_dot2_f32_f16 v4, v6, v10, v4
	;;#ASMEND
	;; [unrolled: 3-line block ×4, first 2 shown]
	s_barrier
	buffer_gl0_inv
	s_and_saveexec_b32 s26, s3
	s_cbranch_execz .LBB68_14
; %bb.13:                               ;   in Loop: Header=BB68_10 Depth=1
	v_add_co_u32 v5, vcc_lo, s5, v41
	v_add_co_ci_u32_e32 v6, vcc_lo, s6, v42, vcc_lo
	global_load_b128 v[5:8], v[5:6], off offset:144
	s_waitcnt vmcnt(0)
	ds_store_b128 v72, v[5:8]
.LBB68_14:                              ;   in Loop: Header=BB68_10 Depth=1
	s_or_b32 exec_lo, exec_lo, s26
	s_clause 0x1
	global_load_b128 v[5:8], v[0:1], off offset:80
	global_load_b128 v[0:3], v[2:3], off offset:80
	s_and_not1_b32 vcc_lo, exec_lo, s18
	s_waitcnt vmcnt(1)
	ds_store_b128 v75, v[5:8]
	s_waitcnt vmcnt(0)
	ds_store_b128 v76, v[0:3]
	s_waitcnt lgkmcnt(0)
	s_barrier
	buffer_gl0_inv
	ds_load_b128 v[0:3], v66
	ds_load_b128 v[5:8], v67 offset:3344
	s_waitcnt lgkmcnt(0)
	;;#ASMSTART
	v_dot2_f32_f16 v4, v0, v5, v4
	;;#ASMEND
	;;#ASMSTART
	v_dot2_f32_f16 v4, v1, v6, v4
	;;#ASMEND
	;;#ASMSTART
	v_dot2_f32_f16 v4, v2, v7, v4
	;;#ASMEND
	;;#ASMSTART
	v_dot2_f32_f16 v4, v3, v8, v4
	;;#ASMEND
	ds_load_b128 v[0:3], v66 offset:16
	ds_load_b128 v[5:8], v67 offset:3360
	s_waitcnt lgkmcnt(0)
	;;#ASMSTART
	v_dot2_f32_f16 v4, v0, v5, v4
	;;#ASMEND
	;;#ASMSTART
	v_dot2_f32_f16 v4, v1, v6, v4
	;;#ASMEND
	;;#ASMSTART
	v_dot2_f32_f16 v4, v2, v7, v4
	;;#ASMEND
	;;#ASMSTART
	v_dot2_f32_f16 v4, v3, v8, v4
	;;#ASMEND
	ds_load_b128 v[0:3], v66 offset:32
	;; [unrolled: 15-line block ×4, first 2 shown]
	ds_load_b128 v[5:8], v67 offset:3408
	s_waitcnt lgkmcnt(0)
	;;#ASMSTART
	v_dot2_f32_f16 v4, v0, v5, v4
	;;#ASMEND
	;;#ASMSTART
	v_dot2_f32_f16 v4, v1, v6, v4
	;;#ASMEND
	;; [unrolled: 3-line block ×4, first 2 shown]
	s_cbranch_vccnz .LBB68_16
; %bb.15:                               ;   in Loop: Header=BB68_10 Depth=1
	v_add_nc_u32_e32 v0, s21, v40
	s_delay_alu instid0(VALU_DEP_1) | instskip(NEXT) | instid1(VALU_DEP_1)
	v_ashrrev_i32_e32 v1, 31, v0
	v_lshlrev_b64 v[0:1], 1, v[0:1]
	s_delay_alu instid0(VALU_DEP_1) | instskip(NEXT) | instid1(VALU_DEP_2)
	v_add_co_u32 v0, vcc_lo, s40, v0
	v_add_co_ci_u32_e32 v1, vcc_lo, s41, v1, vcc_lo
	flat_load_u16 v0, v[0:1]
	s_waitcnt vmcnt(0) lgkmcnt(0)
	v_cvt_f32_f16_e32 v0, v0
	s_delay_alu instid0(VALU_DEP_1)
	v_mul_f32_e32 v0, v62, v0
	s_branch .LBB68_17
.LBB68_16:                              ;   in Loop: Header=BB68_10 Depth=1
	v_mov_b32_e32 v0, 0
.LBB68_17:                              ;   in Loop: Header=BB68_10 Depth=1
	v_xor_b32_e32 v1, 16, v82
	s_mul_hi_i32 s27, s21, s15
	s_mul_i32 s26, s21, s15
	v_lshlrev_b32_e32 v87, 2, v74
	s_lshl_b64 s[26:27], s[26:27], 2
	v_cmp_gt_i32_e32 vcc_lo, 32, v1
	v_add_f32_e32 v0, v4, v0
	s_add_u32 s5, s19, s26
	s_addc_u32 s6, s20, s27
	v_dual_cndmask_b32 v1, v82, v1 :: v_dual_max_f32 v2, v84, v84
	s_delay_alu instid0(VALU_DEP_2)
	v_add_f32_e32 v3, 0x40051340, v0
	s_barrier
	buffer_gl0_inv
	v_dual_max_f32 v2, v2, v3 :: v_dual_lshlrev_b32 v1, 2, v1
	v_xor_b32_e32 v3, 8, v82
	ds_bpermute_b32 v1, v1, v2
	v_cmp_gt_i32_e32 vcc_lo, 32, v3
	v_cndmask_b32_e32 v3, v82, v3, vcc_lo
	s_delay_alu instid0(VALU_DEP_1) | instskip(SKIP_2) | instid1(VALU_DEP_1)
	v_lshlrev_b32_e32 v3, 2, v3
	s_waitcnt lgkmcnt(0)
	v_max_f32_e32 v1, v1, v1
	v_max_f32_e32 v1, v2, v1
	ds_bpermute_b32 v2, v3, v1
	v_xor_b32_e32 v3, 4, v82
	s_delay_alu instid0(VALU_DEP_1) | instskip(SKIP_2) | instid1(VALU_DEP_1)
	v_cmp_gt_i32_e32 vcc_lo, 32, v3
	v_cndmask_b32_e32 v3, v82, v3, vcc_lo
	s_waitcnt lgkmcnt(0)
	v_dual_max_f32 v2, v2, v2 :: v_dual_lshlrev_b32 v3, 2, v3
	s_delay_alu instid0(VALU_DEP_1) | instskip(SKIP_2) | instid1(VALU_DEP_1)
	v_max_f32_e32 v1, v1, v2
	ds_bpermute_b32 v2, v3, v1
	v_xor_b32_e32 v3, 2, v82
	v_cmp_gt_i32_e32 vcc_lo, 32, v3
	v_cndmask_b32_e32 v3, v82, v3, vcc_lo
	s_waitcnt lgkmcnt(0)
	s_delay_alu instid0(VALU_DEP_1) | instskip(NEXT) | instid1(VALU_DEP_1)
	v_dual_max_f32 v2, v2, v2 :: v_dual_lshlrev_b32 v3, 2, v3
	v_max_f32_e32 v1, v1, v2
	ds_bpermute_b32 v2, v3, v1
	v_xor_b32_e32 v3, 1, v82
	s_delay_alu instid0(VALU_DEP_1) | instskip(SKIP_2) | instid1(VALU_DEP_1)
	v_cmp_gt_i32_e32 vcc_lo, 32, v3
	v_cndmask_b32_e32 v3, v82, v3, vcc_lo
	s_waitcnt lgkmcnt(0)
	v_dual_max_f32 v2, v2, v2 :: v_dual_lshlrev_b32 v3, 2, v3
	s_delay_alu instid0(VALU_DEP_1) | instskip(SKIP_3) | instid1(VALU_DEP_1)
	v_max_f32_e32 v1, v1, v2
	ds_bpermute_b32 v2, v3, v1
	s_waitcnt lgkmcnt(0)
	v_max_f32_e32 v2, v2, v2
	v_max_f32_e32 v69, v1, v2
	s_delay_alu instid0(VALU_DEP_1) | instskip(NEXT) | instid1(VALU_DEP_1)
	v_sub_f32_e32 v0, v0, v69
	v_mul_f32_e32 v1, 0x3fb8aa3b, v0
	v_cmp_ngt_f32_e32 vcc_lo, 0xc2ce8ed0, v0
	s_delay_alu instid0(VALU_DEP_2) | instskip(SKIP_1) | instid1(VALU_DEP_1)
	v_fma_f32 v2, 0x3fb8aa3b, v0, -v1
	v_rndne_f32_e32 v3, v1
	v_dual_fmac_f32 v2, 0x32a5705f, v0 :: v_dual_sub_f32 v1, v1, v3
	s_delay_alu instid0(VALU_DEP_1) | instskip(SKIP_1) | instid1(VALU_DEP_2)
	v_add_f32_e32 v1, v1, v2
	v_cvt_i32_f32_e32 v2, v3
	v_exp_f32_e32 v1, v1
	s_waitcnt_depctr 0xfff
	v_ldexp_f32 v1, v1, v2
	s_delay_alu instid0(VALU_DEP_1) | instskip(SKIP_1) | instid1(VALU_DEP_2)
	v_cndmask_b32_e32 v1, 0, v1, vcc_lo
	v_cmp_nlt_f32_e32 vcc_lo, 0x42b17218, v0
	v_cndmask_b32_e32 v64, 0x7f800000, v1, vcc_lo
	s_delay_alu instid0(VALU_DEP_1)
	v_cvt_f16_f32_e32 v0, v64
	ds_store_b16 v73, v0
	s_and_saveexec_b32 s26, s4
	s_cbranch_execz .LBB68_19
; %bb.18:                               ;   in Loop: Header=BB68_10 Depth=1
	v_add_co_u32 v0, vcc_lo, s5, v49
	v_add_co_ci_u32_e32 v1, vcc_lo, s6, v50, vcc_lo
	s_delay_alu instid0(VALU_DEP_2) | instskip(NEXT) | instid1(VALU_DEP_2)
	v_add_co_u32 v0, vcc_lo, v0, v87
	v_add_co_ci_u32_e32 v1, vcc_lo, 0, v1, vcc_lo
	global_load_b128 v[0:3], v[0:1], off offset:128
	s_waitcnt vmcnt(0)
	ds_store_b128 v78, v[0:3]
.LBB68_19:                              ;   in Loop: Header=BB68_10 Depth=1
	s_or_b32 exec_lo, exec_lo, s26
	v_add_co_u32 v0, vcc_lo, s5, v51
	v_add_co_ci_u32_e32 v1, vcc_lo, s6, v52, vcc_lo
	v_add_co_u32 v2, vcc_lo, s5, v53
	v_add_co_ci_u32_e32 v3, vcc_lo, s6, v54, vcc_lo
	s_delay_alu instid0(VALU_DEP_4) | instskip(NEXT) | instid1(VALU_DEP_4)
	v_add_co_u32 v0, vcc_lo, v0, v81
	v_add_co_ci_u32_e32 v1, vcc_lo, 0, v1, vcc_lo
	s_delay_alu instid0(VALU_DEP_4) | instskip(NEXT) | instid1(VALU_DEP_4)
	v_add_co_u32 v4, vcc_lo, v2, v81
	v_add_co_ci_u32_e32 v5, vcc_lo, 0, v3, vcc_lo
	s_clause 0x1
	global_load_b128 v[0:3], v[0:1], off
	global_load_b128 v[4:7], v[4:5], off
	v_add_nc_u32_e32 v86, 0x400, v56
	v_dual_sub_f32 v84, v84, v69 :: v_dual_add_nc_u32 v85, 0x800, v56
	s_or_b32 s6, s21, 16
	s_waitcnt vmcnt(1)
	ds_store_b128 v77, v[0:3]
	s_waitcnt vmcnt(0)
	ds_store_b128 v79, v[4:7]
	s_waitcnt lgkmcnt(0)
	s_barrier
	buffer_gl0_inv
	ds_load_2addr_b64 v[36:39], v56 offset1:20
	ds_load_b128 v[16:19], v57
	ds_load_b128 v[0:3], v57 offset:16
	ds_load_2addr_b64 v[32:35], v56 offset0:40 offset1:60
	ds_load_2addr_b64 v[28:31], v56 offset0:80 offset1:100
	;; [unrolled: 1-line block ×7, first 2 shown]
	s_mul_hi_i32 s27, s6, s15
	s_mul_i32 s26, s6, s15
	v_cmp_ngt_f32_e32 vcc_lo, 0xc2ce8ed0, v84
	v_cmp_nlt_f32_e64 s5, 0x42b17218, v84
	s_lshl_b64 s[26:27], s[26:27], 2
	s_waitcnt lgkmcnt(0)
	s_add_u32 s26, s19, s26
	s_addc_u32 s27, s20, s27
	s_barrier
	buffer_gl0_inv
	s_and_saveexec_b32 s36, s4
	s_cbranch_execz .LBB68_21
; %bb.20:                               ;   in Loop: Header=BB68_10 Depth=1
	v_add_co_u32 v88, s6, s26, v49
	s_delay_alu instid0(VALU_DEP_1) | instskip(NEXT) | instid1(VALU_DEP_2)
	v_add_co_ci_u32_e64 v89, s6, s27, v50, s6
	v_add_co_u32 v87, s6, v88, v87
	s_delay_alu instid0(VALU_DEP_1)
	v_add_co_ci_u32_e64 v88, s6, 0, v89, s6
	global_load_b128 v[87:90], v[87:88], off offset:128
	s_waitcnt vmcnt(0)
	ds_store_b128 v78, v[87:90]
.LBB68_21:                              ;   in Loop: Header=BB68_10 Depth=1
	s_or_b32 exec_lo, exec_lo, s36
	v_add_co_u32 v87, s6, s26, v51
	s_delay_alu instid0(VALU_DEP_1) | instskip(SKIP_1) | instid1(VALU_DEP_1)
	v_add_co_ci_u32_e64 v88, s6, s27, v52, s6
	v_add_co_u32 v89, s6, s26, v53
	v_add_co_ci_u32_e64 v90, s6, s27, v54, s6
	s_delay_alu instid0(VALU_DEP_4) | instskip(NEXT) | instid1(VALU_DEP_1)
	v_add_co_u32 v87, s6, v87, v81
	v_add_co_ci_u32_e64 v88, s6, 0, v88, s6
	s_delay_alu instid0(VALU_DEP_4) | instskip(NEXT) | instid1(VALU_DEP_1)
	v_add_co_u32 v91, s6, v89, v81
	v_add_co_ci_u32_e64 v92, s6, 0, v90, s6
	s_clause 0x1
	global_load_b128 v[87:90], v[87:88], off
	global_load_b128 v[91:94], v[91:92], off
	v_mul_f32_e32 v95, 0x3fb8aa3b, v84
	v_pk_mul_f16 v36, v36, v16 op_sel_hi:[1,0]
	v_pk_mul_f16 v37, v37, v16 op_sel_hi:[1,0]
	s_waitcnt vmcnt(1)
	ds_store_b128 v77, v[87:90]
	s_waitcnt vmcnt(0)
	ds_store_b128 v79, v[91:94]
	v_fma_f32 v96, 0x3fb8aa3b, v84, -v95
	v_rndne_f32_e32 v97, v95
	s_waitcnt lgkmcnt(0)
	s_barrier
	buffer_gl0_inv
	v_fmac_f32_e32 v96, 0x32a5705f, v84
	v_sub_f32_e32 v84, v95, v97
	v_cvt_i32_f32_e32 v95, v97
	s_delay_alu instid0(VALU_DEP_2) | instskip(NEXT) | instid1(VALU_DEP_1)
	v_add_f32_e32 v84, v84, v96
	v_exp_f32_e32 v84, v84
	s_waitcnt_depctr 0xfff
	v_ldexp_f32 v84, v84, v95
	s_delay_alu instid0(VALU_DEP_1) | instskip(NEXT) | instid1(VALU_DEP_1)
	v_cndmask_b32_e32 v84, 0, v84, vcc_lo
	v_cndmask_b32_e64 v84, 0x7f800000, v84, s5
	s_delay_alu instid0(VALU_DEP_1) | instskip(SKIP_1) | instid1(VALU_DEP_2)
	v_cvt_f16_f32_e32 v95, v84
	v_fmac_f32_e32 v64, v83, v84
	v_pk_fma_f16 v36, v58, v95, v36 op_sel_hi:[1,0,1]
	v_pk_fma_f16 v37, v59, v95, v37 op_sel_hi:[1,0,1]
	s_delay_alu instid0(VALU_DEP_2) | instskip(NEXT) | instid1(VALU_DEP_2)
	v_pk_fma_f16 v36, v38, v16, v36 op_sel:[0,1,0]
	v_pk_fma_f16 v16, v39, v16, v37 op_sel:[0,1,0]
	s_delay_alu instid0(VALU_DEP_2) | instskip(NEXT) | instid1(VALU_DEP_2)
	v_pk_fma_f16 v32, v32, v17, v36 op_sel_hi:[1,0,1]
	v_pk_fma_f16 v16, v33, v17, v16 op_sel_hi:[1,0,1]
	s_delay_alu instid0(VALU_DEP_2) | instskip(NEXT) | instid1(VALU_DEP_2)
	v_pk_fma_f16 v32, v34, v17, v32 op_sel:[0,1,0]
	v_pk_fma_f16 v16, v35, v17, v16 op_sel:[0,1,0]
	s_delay_alu instid0(VALU_DEP_2) | instskip(NEXT) | instid1(VALU_DEP_2)
	;; [unrolled: 6-line block ×5, first 2 shown]
	v_pk_fma_f16 v12, v12, v1, v17 op_sel_hi:[1,0,1]
	v_pk_fma_f16 v0, v13, v1, v0 op_sel_hi:[1,0,1]
	s_delay_alu instid0(VALU_DEP_2) | instskip(NEXT) | instid1(VALU_DEP_2)
	v_pk_fma_f16 v12, v14, v1, v12 op_sel:[0,1,0]
	v_pk_fma_f16 v0, v15, v1, v0 op_sel:[0,1,0]
	s_delay_alu instid0(VALU_DEP_2) | instskip(SKIP_4) | instid1(VALU_DEP_2)
	v_pk_fma_f16 v1, v8, v2, v12 op_sel_hi:[1,0,1]
	ds_load_2addr_b64 v[12:15], v56 offset1:20
	ds_load_b128 v[16:19], v57 offset:32
	v_pk_fma_f16 v0, v9, v2, v0 op_sel_hi:[1,0,1]
	v_pk_fma_f16 v1, v10, v2, v1 op_sel:[0,1,0]
	v_pk_fma_f16 v0, v11, v2, v0 op_sel:[0,1,0]
	ds_load_2addr_b64 v[8:11], v56 offset0:40 offset1:60
	v_pk_fma_f16 v1, v4, v3, v1 op_sel_hi:[1,0,1]
	v_pk_fma_f16 v0, v5, v3, v0 op_sel_hi:[1,0,1]
	s_delay_alu instid0(VALU_DEP_2) | instskip(NEXT) | instid1(VALU_DEP_2)
	v_pk_fma_f16 v20, v6, v3, v1 op_sel:[0,1,0]
	v_pk_fma_f16 v21, v7, v3, v0 op_sel:[0,1,0]
	ds_load_b128 v[0:3], v57 offset:48
	ds_load_2addr_b64 v[4:7], v56 offset0:80 offset1:100
	s_waitcnt lgkmcnt(3)
	v_pk_fma_f16 v12, v12, v16, v20 op_sel_hi:[1,0,1]
	v_pk_fma_f16 v13, v13, v16, v21 op_sel_hi:[1,0,1]
	s_delay_alu instid0(VALU_DEP_2) | instskip(NEXT) | instid1(VALU_DEP_2)
	v_pk_fma_f16 v20, v14, v16, v12 op_sel:[0,1,0]
	v_pk_fma_f16 v16, v15, v16, v13 op_sel:[0,1,0]
	ds_load_2addr_b64 v[12:15], v56 offset0:120 offset1:140
	s_waitcnt lgkmcnt(3)
	v_pk_fma_f16 v8, v8, v17, v20 op_sel_hi:[1,0,1]
	v_pk_fma_f16 v9, v9, v17, v16 op_sel_hi:[1,0,1]
	s_delay_alu instid0(VALU_DEP_2) | instskip(NEXT) | instid1(VALU_DEP_2)
	v_pk_fma_f16 v16, v10, v17, v8 op_sel:[0,1,0]
	v_pk_fma_f16 v17, v11, v17, v9 op_sel:[0,1,0]
	;; [unrolled: 7-line block ×5, first 2 shown]
	ds_load_2addr_b64 v[8:11], v85 offset0:24 offset1:44
	s_waitcnt lgkmcnt(0)
	s_barrier
	v_pk_fma_f16 v4, v4, v1, v16 op_sel_hi:[1,0,1]
	v_pk_fma_f16 v0, v5, v1, v0 op_sel_hi:[1,0,1]
	buffer_gl0_inv
	s_load_b32 s5, s[12:13], 0x4
	v_pk_fma_f16 v4, v6, v1, v4 op_sel:[0,1,0]
	v_pk_fma_f16 v0, v7, v1, v0 op_sel:[0,1,0]
	s_delay_alu instid0(VALU_DEP_2) | instskip(NEXT) | instid1(VALU_DEP_2)
	v_pk_fma_f16 v1, v12, v2, v4 op_sel_hi:[1,0,1]
	v_pk_fma_f16 v0, v13, v2, v0 op_sel_hi:[1,0,1]
	s_delay_alu instid0(VALU_DEP_2) | instskip(NEXT) | instid1(VALU_DEP_2)
	v_pk_fma_f16 v1, v14, v2, v1 op_sel:[0,1,0]
	v_pk_fma_f16 v0, v15, v2, v0 op_sel:[0,1,0]
	s_delay_alu instid0(VALU_DEP_2) | instskip(NEXT) | instid1(VALU_DEP_2)
	v_pk_fma_f16 v1, v8, v3, v1 op_sel_hi:[1,0,1]
	v_pk_fma_f16 v0, v9, v3, v0 op_sel_hi:[1,0,1]
	s_waitcnt lgkmcnt(0)
	s_lshl_b32 s5, s5, 5
	s_delay_alu instid0(VALU_DEP_2) | instskip(NEXT) | instid1(VALU_DEP_2)
	v_pk_fma_f16 v58, v10, v3, v1 op_sel:[0,1,0]
	v_pk_fma_f16 v59, v11, v3, v0 op_sel:[0,1,0]
	s_add_i32 s21, s5, s21
	s_delay_alu instid0(SALU_CYCLE_1)
	s_cmp_lt_i32 s21, s7
	s_cbranch_scc0 .LBB68_24
; %bb.22:                               ;   in Loop: Header=BB68_10 Depth=1
	v_dual_mov_b32 v84, v69 :: v_dual_mov_b32 v83, v64
	s_branch .LBB68_10
.LBB68_23:
	v_dual_mov_b32 v69, 0xfeffffff :: v_dual_mov_b32 v64, 0
	v_mov_b32_e32 v58, 0
.LBB68_24:
	s_cmp_gt_i32 s42, s21
	s_cbranch_scc1 .LBB68_26
; %bb.25:
	v_mbcnt_lo_u32_b32 v0, -1, 0
	v_mov_b32_e32 v72, 32
	s_delay_alu instid0(VALU_DEP_2)
	v_xor_b32_e32 v50, 16, v0
	v_xor_b32_e32 v51, 8, v0
	;; [unrolled: 1-line block ×5, first 2 shown]
	v_mov_b32_e32 v45, v69
	s_cbranch_execz .LBB68_27
	s_branch .LBB68_41
.LBB68_26:
                                        ; implicit-def: $vgpr0
                                        ; implicit-def: $vgpr72
                                        ; implicit-def: $vgpr50
                                        ; implicit-def: $vgpr51
                                        ; implicit-def: $vgpr52
                                        ; implicit-def: $vgpr53
                                        ; implicit-def: $vgpr54
	s_delay_alu instid0(VALU_DEP_2)
	v_mov_b32_e32 v45, v69
.LBB68_27:
	v_mul_lo_u32 v0, s23, v71
	s_mul_hi_i32 s5, s21, s23
	s_mul_i32 s4, s21, s23
	s_sub_i32 s12, s42, s21
	s_lshl_b64 s[4:5], s[4:5], 2
	v_cmp_gt_u32_e64 s3, 32, v71
	v_mad_u32_u24 v4, 0x60, v71, 64
	v_cmp_gt_i32_e32 vcc_lo, s12, v71
	v_ashrrev_i32_e32 v1, 31, v0
	s_add_u32 s13, s16, s4
	s_addc_u32 s26, s17, s5
	s_mov_b64 s[6:7], src_private_base
	s_delay_alu instid0(VALU_DEP_1)
	v_lshlrev_b64 v[1:2], 2, v[0:1]
	s_and_saveexec_b32 s5, s3
	s_cbranch_execz .LBB68_29
; %bb.28:
	s_delay_alu instid0(VALU_DEP_1) | instskip(NEXT) | instid1(VALU_DEP_1)
	v_add_co_u32 v0, s4, s13, v1
	v_add_co_ci_u32_e64 v3, s4, s26, v2, s4
	s_delay_alu instid0(VALU_DEP_2) | instskip(SKIP_1) | instid1(VALU_DEP_3)
	v_add_co_u32 v0, s4, v0, 64
	v_mov_b32_e32 v5, 0
	v_add_co_ci_u32_e64 v3, s4, 0, v3, s4
	s_delay_alu instid0(VALU_DEP_3) | instskip(NEXT) | instid1(VALU_DEP_2)
	v_cndmask_b32_e32 v8, 0, v0, vcc_lo
	v_dual_mov_b32 v6, v5 :: v_dual_cndmask_b32 v9, s7, v3
	v_mov_b32_e32 v7, v5
	s_clause 0x1
	scratch_store_b32 off, v5, off
	scratch_store_b96 off, v[5:7], off offset:4
	flat_load_b128 v[5:8], v[8:9]
	s_waitcnt vmcnt(0) lgkmcnt(0)
	ds_store_b128 v4, v[5:8]
.LBB68_29:
	s_or_b32 exec_lo, exec_lo, s5
	v_lshl_add_u32 v3, v60, 3, v70
	v_and_b32_e32 v17, 48, v68
	s_mov_b32 s16, 0
	s_delay_alu instid0(SALU_CYCLE_1) | instskip(NEXT) | instid1(VALU_DEP_2)
	s_mov_b32 s17, s16
	v_mul_lo_u32 v7, s23, v3
	s_mov_b32 s18, s16
	v_dual_mov_b32 v14, s16 :: v_dual_mov_b32 v15, s17
	v_mov_b32_e32 v16, s18
	v_add_nc_u32_e32 v18, 16, v3
	s_delay_alu instid0(VALU_DEP_4) | instskip(NEXT) | instid1(VALU_DEP_1)
	v_ashrrev_i32_e32 v8, 31, v7
	v_lshlrev_b64 v[5:6], 2, v[7:8]
	v_lshl_add_u32 v7, s23, 4, v7
	s_delay_alu instid0(VALU_DEP_2) | instskip(NEXT) | instid1(VALU_DEP_1)
	v_add_co_u32 v0, s4, s13, v5
	v_add_co_ci_u32_e64 v6, s4, s26, v6, s4
	s_delay_alu instid0(VALU_DEP_2) | instskip(NEXT) | instid1(VALU_DEP_1)
	v_add_co_u32 v5, s4, v0, v17
	v_add_co_ci_u32_e64 v6, s4, 0, v6, s4
	v_cmp_gt_i32_e64 s4, s12, v3
	v_mov_b32_e32 v0, 0
	s_clause 0x1
	scratch_store_b32 off, v0, off
	scratch_store_b96 off, v[14:16], off offset:4
	v_cndmask_b32_e64 v9, s7, v6, s4
	v_cndmask_b32_e64 v8, 0, v5, s4
	flat_load_b128 v[10:13], v[8:9]
	v_ashrrev_i32_e32 v8, 31, v7
	s_delay_alu instid0(VALU_DEP_1) | instskip(NEXT) | instid1(VALU_DEP_1)
	v_lshlrev_b64 v[7:8], 2, v[7:8]
	v_add_co_u32 v7, s5, s13, v7
	s_delay_alu instid0(VALU_DEP_1) | instskip(NEXT) | instid1(VALU_DEP_2)
	v_add_co_ci_u32_e64 v9, s5, s26, v8, s5
	v_add_co_u32 v8, s5, v7, v17
	s_delay_alu instid0(VALU_DEP_1)
	v_add_co_ci_u32_e64 v9, s5, 0, v9, s5
	v_cmp_gt_i32_e64 s5, s12, v18
	v_mad_u32_u24 v7, 0x60, v3, v17
	v_mov_b32_e32 v3, 0
	s_clause 0x1
	scratch_store_b32 off, v0, off
	scratch_store_b96 off, v[14:16], off offset:4
	v_cndmask_b32_e64 v18, s7, v9, s5
	v_cndmask_b32_e64 v17, 0, v8, s5
	s_waitcnt vmcnt(0) lgkmcnt(0)
	ds_store_b128 v7, v[10:13]
	flat_load_b128 v[10:13], v[17:18]
	s_waitcnt vmcnt(0) lgkmcnt(0)
	ds_store_b128 v7, v[10:13] offset:1536
	s_waitcnt lgkmcnt(0)
	s_waitcnt_vscnt null, 0x0
	s_barrier
	buffer_gl0_inv
	ds_load_b128 v[10:13], v66
	ds_load_b128 v[14:17], v67 offset:3264
	s_waitcnt lgkmcnt(0)
	;;#ASMSTART
	v_dot2_f32_f16 v3, v10, v14, v3
	;;#ASMEND
	;;#ASMSTART
	v_dot2_f32_f16 v3, v11, v15, v3
	;;#ASMEND
	;;#ASMSTART
	v_dot2_f32_f16 v3, v12, v16, v3
	;;#ASMEND
	;;#ASMSTART
	v_dot2_f32_f16 v3, v13, v17, v3
	;;#ASMEND
	ds_load_b128 v[10:13], v66 offset:16
	ds_load_b128 v[14:17], v67 offset:3280
	s_waitcnt lgkmcnt(0)
	;;#ASMSTART
	v_dot2_f32_f16 v3, v10, v14, v3
	;;#ASMEND
	;;#ASMSTART
	v_dot2_f32_f16 v3, v11, v15, v3
	;;#ASMEND
	;;#ASMSTART
	v_dot2_f32_f16 v3, v12, v16, v3
	;;#ASMEND
	;;#ASMSTART
	v_dot2_f32_f16 v3, v13, v17, v3
	;;#ASMEND
	ds_load_b128 v[10:13], v66 offset:32
	;; [unrolled: 15-line block ×4, first 2 shown]
	ds_load_b128 v[15:18], v67 offset:3328
	v_add_nc_u32_e32 v10, 0x600, v7
	s_waitcnt lgkmcnt(0)
	;;#ASMSTART
	v_dot2_f32_f16 v3, v11, v15, v3
	;;#ASMEND
	;;#ASMSTART
	v_dot2_f32_f16 v3, v12, v16, v3
	;;#ASMEND
	;; [unrolled: 3-line block ×4, first 2 shown]
	s_barrier
	buffer_gl0_inv
	s_and_saveexec_b32 s6, s3
	s_cbranch_execz .LBB68_31
; %bb.30:
	v_add_co_u32 v1, s3, s13, v1
	s_delay_alu instid0(VALU_DEP_1) | instskip(NEXT) | instid1(VALU_DEP_2)
	v_add_co_ci_u32_e64 v2, s3, s26, v2, s3
	v_add_co_u32 v11, s3, 0x90, v1
	s_delay_alu instid0(VALU_DEP_1) | instskip(SKIP_1) | instid1(VALU_DEP_3)
	v_add_co_ci_u32_e64 v12, s3, 0, v2, s3
	v_mov_b32_e32 v1, v0
	v_dual_mov_b32 v2, v0 :: v_dual_cndmask_b32 v11, 0, v11
	s_delay_alu instid0(VALU_DEP_3)
	v_cndmask_b32_e32 v12, s7, v12, vcc_lo
	s_clause 0x1
	scratch_store_b32 off, v0, off
	scratch_store_b96 off, v[0:2], off offset:4
	flat_load_b128 v[11:14], v[11:12]
	s_waitcnt vmcnt(0) lgkmcnt(0)
	ds_store_b128 v4, v[11:14]
.LBB68_31:
	s_or_b32 exec_lo, exec_lo, s6
	v_add_co_u32 v1, vcc_lo, 0x50, v5
	v_add_co_ci_u32_e32 v2, vcc_lo, 0, v6, vcc_lo
	v_dual_mov_b32 v4, s16 :: v_dual_mov_b32 v5, s17
	v_mov_b32_e32 v6, s18
	s_delay_alu instid0(VALU_DEP_3)
	v_cndmask_b32_e64 v2, s7, v2, s4
	v_cndmask_b32_e64 v1, 0, v1, s4
	s_clause 0x1
	scratch_store_b32 off, v0, off
	scratch_store_b96 off, v[4:6], off offset:4
	s_mov_b32 s3, exec_lo
	flat_load_b128 v[11:14], v[1:2]
	v_add_co_u32 v1, vcc_lo, 0x50, v8
	v_add_co_ci_u32_e32 v2, vcc_lo, 0, v9, vcc_lo
	s_clause 0x1
	scratch_store_b32 off, v0, off
	scratch_store_b96 off, v[4:6], off offset:4
	v_cndmask_b32_e64 v1, 0, v1, s5
	v_mov_b32_e32 v0, v69
	v_cndmask_b32_e64 v2, s7, v2, s5
	s_waitcnt vmcnt(0) lgkmcnt(0)
	ds_store_b128 v7, v[11:14]
	flat_load_b128 v[4:7], v[1:2]
	s_waitcnt vmcnt(0) lgkmcnt(0)
	ds_store_b128 v10, v[4:7]
	s_waitcnt lgkmcnt(0)
	s_waitcnt_vscnt null, 0x0
	s_barrier
	buffer_gl0_inv
	ds_load_b128 v[4:7], v66
	ds_load_b128 v[8:11], v67 offset:3344
	s_waitcnt lgkmcnt(0)
	;;#ASMSTART
	v_dot2_f32_f16 v3, v4, v8, v3
	;;#ASMEND
	;;#ASMSTART
	v_dot2_f32_f16 v3, v5, v9, v3
	;;#ASMEND
	;;#ASMSTART
	v_dot2_f32_f16 v3, v6, v10, v3
	;;#ASMEND
	;;#ASMSTART
	v_dot2_f32_f16 v3, v7, v11, v3
	;;#ASMEND
	ds_load_b128 v[4:7], v66 offset:16
	ds_load_b128 v[8:11], v67 offset:3360
	s_waitcnt lgkmcnt(0)
	;;#ASMSTART
	v_dot2_f32_f16 v3, v4, v8, v3
	;;#ASMEND
	;;#ASMSTART
	v_dot2_f32_f16 v3, v5, v9, v3
	;;#ASMEND
	;;#ASMSTART
	v_dot2_f32_f16 v3, v6, v10, v3
	;;#ASMEND
	;;#ASMSTART
	v_dot2_f32_f16 v3, v7, v11, v3
	;;#ASMEND
	ds_load_b128 v[4:7], v66 offset:32
	;; [unrolled: 15-line block ×4, first 2 shown]
	ds_load_b128 v[8:11], v67 offset:3408
	s_waitcnt lgkmcnt(0)
	;;#ASMSTART
	v_dot2_f32_f16 v3, v4, v8, v3
	;;#ASMEND
	;;#ASMSTART
	v_dot2_f32_f16 v3, v5, v9, v3
	;;#ASMEND
	;; [unrolled: 3-line block ×4, first 2 shown]
	v_cmpx_gt_i32_e64 s12, v43
	s_cbranch_execz .LBB68_36
; %bb.32:
	s_cmp_eq_u64 s[40:41], 0
	s_cbranch_scc1 .LBB68_34
; %bb.33:
	v_mul_hi_u32 v0, s8, v44
	s_delay_alu instid0(VALU_DEP_1) | instskip(NEXT) | instid1(VALU_DEP_1)
	v_add_nc_u32_e32 v0, v44, v0
	v_lshrrev_b32_e32 v0, s9, v0
	s_delay_alu instid0(VALU_DEP_1) | instskip(NEXT) | instid1(VALU_DEP_1)
	v_mul_lo_u32 v0, v0, s10
	v_sub_nc_u32_e32 v0, v44, v0
	s_delay_alu instid0(VALU_DEP_1) | instskip(NEXT) | instid1(VALU_DEP_1)
	v_mul_lo_u32 v0, v0, s22
	v_add3_u32 v0, v0, v43, s21
	s_delay_alu instid0(VALU_DEP_1) | instskip(NEXT) | instid1(VALU_DEP_1)
	v_ashrrev_i32_e32 v1, 31, v0
	v_lshlrev_b64 v[0:1], 1, v[0:1]
	s_delay_alu instid0(VALU_DEP_1) | instskip(NEXT) | instid1(VALU_DEP_2)
	v_add_co_u32 v0, vcc_lo, s40, v0
	v_add_co_ci_u32_e32 v1, vcc_lo, s41, v1, vcc_lo
	flat_load_u16 v0, v[0:1]
	s_waitcnt vmcnt(0) lgkmcnt(0)
	v_cvt_f32_f16_e32 v0, v0
	s_delay_alu instid0(VALU_DEP_1)
	v_mul_f32_e32 v0, v62, v0
	s_branch .LBB68_35
.LBB68_34:
	v_mov_b32_e32 v0, 0
.LBB68_35:
	s_delay_alu instid0(VALU_DEP_1) | instskip(NEXT) | instid1(VALU_DEP_1)
	v_add_f32_e32 v3, v3, v0
	v_dual_max_f32 v1, v69, v69 :: v_dual_add_f32 v0, 0x40051340, v3
	s_delay_alu instid0(VALU_DEP_1)
	v_max_f32_e32 v0, v1, v0
.LBB68_36:
	s_or_b32 exec_lo, exec_lo, s3
	v_xor_b32_e32 v50, 16, v55
	v_xor_b32_e32 v51, 8, v55
	v_xor_b32_e32 v52, 4, v55
	v_xor_b32_e32 v53, 2, v55
	v_xor_b32_e32 v54, 1, v55
	v_cmp_gt_i32_e32 vcc_lo, 32, v50
	v_lshl_add_u32 v65, v60, 4, v65
	v_and_b32_e32 v4, 4, v61
	s_mul_hi_i32 s5, s21, s15
	s_mul_i32 s4, s21, s15
	v_cndmask_b32_e32 v1, v55, v50, vcc_lo
	v_cmp_gt_i32_e32 vcc_lo, 32, v51
	v_mul_u32_u24_e32 v5, 0xa0, v65
	v_mov_b32_e32 v72, 32
	s_lshl_b64 s[4:5], s[4:5], 2
	v_dual_cndmask_b32 v2, v55, v51 :: v_dual_lshlrev_b32 v1, 2, v1
	v_cmp_gt_i32_e32 vcc_lo, 32, v52
	v_lshlrev_b32_e32 v70, 2, v4
	s_add_u32 s8, s19, s4
	ds_bpermute_b32 v1, v1, v0
	v_max_f32_e32 v0, v0, v0
	s_mov_b64 s[6:7], src_private_base
	s_addc_u32 s9, s20, s5
	s_waitcnt lgkmcnt(0)
	s_barrier
	buffer_gl0_inv
	v_dual_max_f32 v1, v1, v1 :: v_dual_lshlrev_b32 v2, 2, v2
	s_delay_alu instid0(VALU_DEP_1) | instskip(SKIP_4) | instid1(VALU_DEP_2)
	v_max_f32_e32 v0, v0, v1
	ds_bpermute_b32 v1, v2, v0
	v_cndmask_b32_e32 v2, v55, v52, vcc_lo
	v_cmp_gt_i32_e32 vcc_lo, 32, v53
	s_waitcnt lgkmcnt(0)
	v_dual_max_f32 v1, v1, v1 :: v_dual_lshlrev_b32 v2, 2, v2
	s_delay_alu instid0(VALU_DEP_1) | instskip(SKIP_4) | instid1(VALU_DEP_2)
	v_max_f32_e32 v0, v0, v1
	ds_bpermute_b32 v1, v2, v0
	v_cndmask_b32_e32 v2, v55, v53, vcc_lo
	v_cmp_gt_i32_e32 vcc_lo, 32, v54
	s_waitcnt lgkmcnt(0)
	v_dual_max_f32 v1, v1, v1 :: v_dual_lshlrev_b32 v2, 2, v2
	s_delay_alu instid0(VALU_DEP_1) | instskip(SKIP_3) | instid1(VALU_DEP_1)
	v_max_f32_e32 v0, v0, v1
	ds_bpermute_b32 v1, v2, v0
	s_waitcnt lgkmcnt(0)
	v_dual_cndmask_b32 v2, v55, v54 :: v_dual_max_f32 v1, v1, v1
	v_max_f32_e32 v0, v0, v1
	s_delay_alu instid0(VALU_DEP_2) | instskip(SKIP_3) | instid1(VALU_DEP_1)
	v_lshlrev_b32_e32 v2, 2, v2
	ds_bpermute_b32 v1, v2, v0
	s_waitcnt lgkmcnt(0)
	v_max_f32_e32 v1, v1, v1
	v_max_f32_e32 v45, v0, v1
	s_delay_alu instid0(VALU_DEP_1) | instskip(NEXT) | instid1(VALU_DEP_1)
	v_sub_f32_e32 v1, v3, v45
	v_mul_f32_e32 v0, 0x3fb8aa3b, v1
	s_delay_alu instid0(VALU_DEP_1) | instskip(SKIP_1) | instid1(VALU_DEP_1)
	v_fma_f32 v2, 0x3fb8aa3b, v1, -v0
	v_rndne_f32_e32 v3, v0
	v_sub_f32_e32 v0, v0, v3
	s_delay_alu instid0(VALU_DEP_3) | instskip(SKIP_1) | instid1(VALU_DEP_2)
	v_fmac_f32_e32 v2, 0x32a5705f, v1
	v_cmp_ngt_f32_e32 vcc_lo, 0xc2ce8ed0, v1
	v_add_f32_e32 v0, v0, v2
	v_cvt_i32_f32_e32 v2, v3
	s_delay_alu instid0(VALU_DEP_2) | instskip(SKIP_3) | instid1(VALU_DEP_2)
	v_exp_f32_e32 v0, v0
	s_waitcnt_depctr 0xfff
	v_ldexp_f32 v0, v0, v2
	v_lshl_add_u32 v2, v43, 1, v57
	v_cndmask_b32_e32 v3, 0, v0, vcc_lo
	v_cmp_nlt_f32_e32 vcc_lo, 0x42b17218, v1
	v_mul_lo_u32 v0, s15, v65
	s_delay_alu instid0(VALU_DEP_3) | instskip(SKIP_2) | instid1(VALU_DEP_3)
	v_cndmask_b32_e32 v1, 0x7f800000, v3, vcc_lo
	v_cmp_gt_u32_e32 vcc_lo, s12, v43
	v_lshl_or_b32 v3, v4, 2, v5
	v_cndmask_b32_e32 v62, 0, v1, vcc_lo
	v_ashrrev_i32_e32 v1, 31, v0
	v_cmp_gt_u32_e32 vcc_lo, 16, v65
	s_delay_alu instid0(VALU_DEP_4) | instskip(NEXT) | instid1(VALU_DEP_4)
	v_add_nc_u32_e32 v66, 0x80, v3
	v_cvt_f16_f32_e32 v3, v62
	s_delay_alu instid0(VALU_DEP_4)
	v_lshlrev_b64 v[41:42], 2, v[0:1]
	ds_store_b16 v2, v3
	s_and_saveexec_b32 s4, vcc_lo
	s_cbranch_execz .LBB68_38
; %bb.37:
	v_add_co_u32 v0, s3, s8, v41
	s_delay_alu instid0(VALU_DEP_1) | instskip(NEXT) | instid1(VALU_DEP_2)
	v_add_co_ci_u32_e64 v1, s3, s9, v42, s3
	v_add_co_u32 v2, s3, v0, v70
	s_delay_alu instid0(VALU_DEP_1) | instskip(SKIP_1) | instid1(VALU_DEP_3)
	v_add_co_ci_u32_e64 v1, s3, 0, v1, s3
	v_mov_b32_e32 v0, 0
	v_add_co_u32 v3, s3, 0x80, v2
	s_delay_alu instid0(VALU_DEP_1) | instskip(SKIP_1) | instid1(VALU_DEP_4)
	v_add_co_ci_u32_e64 v4, s3, 0, v1, s3
	v_cmp_gt_i32_e64 s3, s12, v65
	v_mov_b32_e32 v1, v0
	v_mov_b32_e32 v2, v0
	s_clause 0x1
	scratch_store_b32 off, v0, off
	scratch_store_b96 off, v[0:2], off offset:4
	v_cndmask_b32_e64 v4, s7, v4, s3
	v_cndmask_b32_e64 v3, 0, v3, s3
	flat_load_b128 v[0:3], v[3:4]
	s_waitcnt vmcnt(0) lgkmcnt(0)
	ds_store_b128 v66, v[0:3]
.LBB68_38:
	s_or_b32 exec_lo, exec_lo, s4
	v_lshl_add_u32 v67, v60, 2, v63
	s_mov_b32 s4, 0
	v_mov_b32_e32 v40, 0
	s_mov_b32 s5, s4
	s_mov_b32 s6, s4
	v_add_nc_u32_e32 v73, 8, v67
	v_mul_lo_u32 v7, s15, v67
	v_and_b32_e32 v0, 28, v61
	v_dual_mov_b32 v4, s4 :: v_dual_add_nc_u32 v61, 0x400, v56
	v_mov_b32_e32 v5, s5
	s_delay_alu instid0(VALU_DEP_3)
	v_dual_sub_f32 v63, v69, v45 :: v_dual_lshlrev_b32 v68, 2, v0
	v_mov_b32_e32 v6, s6
	v_ashrrev_i32_e32 v8, 31, v7
	s_clause 0x1
	scratch_store_b32 off, v40, off
	scratch_store_b96 off, v[4:6], off offset:4
	v_mad_u32_u24 v71, 0xa0, v67, v68
	v_lshlrev_b64 v[46:47], 2, v[7:8]
	v_lshl_add_u32 v7, s15, 3, v7
	v_add_nc_u32_e32 v60, 0x800, v56
	s_delay_alu instid0(VALU_DEP_2) | instskip(NEXT) | instid1(VALU_DEP_4)
	v_ashrrev_i32_e32 v8, 31, v7
	v_add_co_u32 v0, s3, s8, v46
	s_delay_alu instid0(VALU_DEP_1) | instskip(NEXT) | instid1(VALU_DEP_3)
	v_add_co_ci_u32_e64 v1, s3, s9, v47, s3
	v_lshlrev_b64 v[48:49], 2, v[7:8]
	s_delay_alu instid0(VALU_DEP_3) | instskip(NEXT) | instid1(VALU_DEP_1)
	v_add_co_u32 v0, s3, v0, v68
	v_add_co_ci_u32_e64 v1, s3, 0, v1, s3
	v_cmp_gt_i32_e64 s3, s12, v67
	s_delay_alu instid0(VALU_DEP_1) | instskip(NEXT) | instid1(VALU_DEP_4)
	v_cndmask_b32_e64 v1, s7, v1, s3
	v_cndmask_b32_e64 v0, 0, v0, s3
	v_add_co_u32 v7, s3, s8, v48
	s_delay_alu instid0(VALU_DEP_1) | instskip(SKIP_2) | instid1(VALU_DEP_1)
	v_add_co_ci_u32_e64 v8, s3, s9, v49, s3
	flat_load_b128 v[0:3], v[0:1]
	v_add_co_u32 v7, s3, v7, v68
	v_add_co_ci_u32_e64 v8, s3, 0, v8, s3
	v_cmp_gt_i32_e64 s3, s12, v73
	s_clause 0x1
	scratch_store_b32 off, v40, off
	scratch_store_b96 off, v[4:6], off offset:4
	v_mul_f32_e32 v4, 0x3fb8aa3b, v63
	v_cndmask_b32_e64 v8, s7, v8, s3
	v_cndmask_b32_e64 v7, 0, v7, s3
	s_delay_alu instid0(VALU_DEP_3) | instskip(SKIP_2) | instid1(VALU_DEP_2)
	v_fma_f32 v5, 0x3fb8aa3b, v63, -v4
	v_rndne_f32_e32 v6, v4
	v_cmp_ngt_f32_e64 s3, 0xc2ce8ed0, v63
	v_dual_fmac_f32 v5, 0x32a5705f, v63 :: v_dual_sub_f32 v4, v4, v6
	s_delay_alu instid0(VALU_DEP_1) | instskip(SKIP_1) | instid1(VALU_DEP_2)
	v_add_f32_e32 v4, v4, v5
	v_cvt_i32_f32_e32 v5, v6
	v_exp_f32_e32 v4, v4
	s_waitcnt_depctr 0xfff
	v_ldexp_f32 v69, v4, v5
	s_delay_alu instid0(VALU_DEP_1) | instskip(SKIP_1) | instid1(VALU_DEP_1)
	v_cndmask_b32_e64 v69, 0, v69, s3
	v_cmp_nlt_f32_e64 s3, 0x42b17218, v63
	v_cndmask_b32_e64 v63, 0x7f800000, v69, s3
	v_add_nc_u32_e32 v69, 0x500, v71
	s_or_b32 s3, s21, 16
	s_delay_alu instid0(SALU_CYCLE_1) | instskip(SKIP_1) | instid1(SALU_CYCLE_1)
	s_mul_hi_i32 s9, s3, s15
	s_mul_i32 s8, s3, s15
	s_lshl_b64 s[8:9], s[8:9], 2
	s_delay_alu instid0(SALU_CYCLE_1)
	s_add_u32 s3, s19, s8
	s_addc_u32 s8, s20, s9
	s_add_i32 s12, s12, -16
	s_waitcnt vmcnt(0) lgkmcnt(0)
	ds_store_b128 v71, v[0:3]
	flat_load_b128 v[0:3], v[7:8]
	s_waitcnt vmcnt(0) lgkmcnt(0)
	ds_store_b128 v71, v[0:3] offset:1280
	s_waitcnt lgkmcnt(0)
	s_waitcnt_vscnt null, 0x0
	s_barrier
	buffer_gl0_inv
	ds_load_2addr_b64 v[36:39], v56 offset1:20
	ds_load_b128 v[16:19], v57
	ds_load_b128 v[0:3], v57 offset:16
	ds_load_2addr_b64 v[32:35], v56 offset0:40 offset1:60
	ds_load_2addr_b64 v[28:31], v56 offset0:80 offset1:100
	;; [unrolled: 1-line block ×7, first 2 shown]
	s_waitcnt lgkmcnt(0)
	s_barrier
	buffer_gl0_inv
	s_and_saveexec_b32 s9, vcc_lo
	s_cbranch_execz .LBB68_40
; %bb.39:
	v_add_co_u32 v41, vcc_lo, s3, v41
	v_add_co_ci_u32_e32 v42, vcc_lo, s8, v42, vcc_lo
	s_delay_alu instid0(VALU_DEP_2) | instskip(NEXT) | instid1(VALU_DEP_2)
	v_add_co_u32 v41, vcc_lo, v41, v70
	v_add_co_ci_u32_e32 v42, vcc_lo, 0, v42, vcc_lo
	s_delay_alu instid0(VALU_DEP_2) | instskip(NEXT) | instid1(VALU_DEP_2)
	v_add_co_u32 v70, vcc_lo, 0x80, v41
	v_add_co_ci_u32_e32 v74, vcc_lo, 0, v42, vcc_lo
	v_cmp_gt_i32_e32 vcc_lo, s12, v65
	v_mov_b32_e32 v41, v40
	s_delay_alu instid0(VALU_DEP_3)
	v_dual_mov_b32 v42, v40 :: v_dual_cndmask_b32 v75, s7, v74
	v_cndmask_b32_e32 v74, 0, v70, vcc_lo
	s_clause 0x1
	scratch_store_b32 off, v40, off
	scratch_store_b96 off, v[40:42], off offset:4
	flat_load_b128 v[74:77], v[74:75]
	s_waitcnt vmcnt(0) lgkmcnt(0)
	ds_store_b128 v66, v[74:77]
.LBB68_40:
	s_or_b32 exec_lo, exec_lo, s9
	v_add_co_u32 v41, vcc_lo, s3, v46
	v_add_co_ci_u32_e32 v42, vcc_lo, s8, v47, vcc_lo
	v_pk_mul_f16 v36, v36, v16 op_sel_hi:[1,0]
	s_delay_alu instid0(VALU_DEP_3) | instskip(NEXT) | instid1(VALU_DEP_3)
	v_add_co_u32 v41, vcc_lo, v41, v68
	v_add_co_ci_u32_e32 v42, vcc_lo, 0, v42, vcc_lo
	v_cmp_gt_i32_e32 vcc_lo, s12, v67
	v_dual_mov_b32 v67, s6 :: v_dual_mov_b32 v66, s5
	v_dual_mov_b32 v65, s4 :: v_dual_fmac_f32 v62, v64, v63
	s_delay_alu instid0(VALU_DEP_4)
	v_cndmask_b32_e32 v42, s7, v42, vcc_lo
	v_cndmask_b32_e32 v41, 0, v41, vcc_lo
	s_clause 0x1
	scratch_store_b32 off, v40, off
	scratch_store_b96 off, v[65:67], off offset:4
	v_pk_mul_f16 v37, v37, v16 op_sel_hi:[1,0]
	v_mov_b32_e32 v64, v62
	flat_load_b128 v[74:77], v[41:42]
	v_add_co_u32 v41, vcc_lo, s3, v48
	v_add_co_ci_u32_e32 v42, vcc_lo, s8, v49, vcc_lo
	s_clause 0x1
	scratch_store_b32 off, v40, off
	scratch_store_b96 off, v[65:67], off offset:4
	v_add_co_u32 v41, vcc_lo, v41, v68
	v_add_co_ci_u32_e32 v42, vcc_lo, 0, v42, vcc_lo
	v_cmp_gt_i32_e32 vcc_lo, s12, v73
	v_cvt_f16_f32_e32 v40, v63
	s_delay_alu instid0(VALU_DEP_3) | instskip(SKIP_1) | instid1(VALU_DEP_3)
	v_cndmask_b32_e32 v42, s7, v42, vcc_lo
	v_cndmask_b32_e32 v41, 0, v41, vcc_lo
	v_pk_fma_f16 v36, v58, v40, v36 op_sel_hi:[1,0,1]
	v_pk_fma_f16 v37, v59, v40, v37 op_sel_hi:[1,0,1]
	s_delay_alu instid0(VALU_DEP_2) | instskip(NEXT) | instid1(VALU_DEP_2)
	v_pk_fma_f16 v36, v38, v16, v36 op_sel:[0,1,0]
	v_pk_fma_f16 v16, v39, v16, v37 op_sel:[0,1,0]
	s_delay_alu instid0(VALU_DEP_2) | instskip(NEXT) | instid1(VALU_DEP_2)
	v_pk_fma_f16 v32, v32, v17, v36 op_sel_hi:[1,0,1]
	v_pk_fma_f16 v16, v33, v17, v16 op_sel_hi:[1,0,1]
	s_delay_alu instid0(VALU_DEP_2) | instskip(NEXT) | instid1(VALU_DEP_2)
	v_pk_fma_f16 v32, v34, v17, v32 op_sel:[0,1,0]
	v_pk_fma_f16 v16, v35, v17, v16 op_sel:[0,1,0]
	s_delay_alu instid0(VALU_DEP_2) | instskip(NEXT) | instid1(VALU_DEP_2)
	;; [unrolled: 6-line block ×7, first 2 shown]
	v_pk_fma_f16 v1, v4, v3, v1 op_sel_hi:[1,0,1]
	v_pk_fma_f16 v0, v5, v3, v0 op_sel_hi:[1,0,1]
	s_delay_alu instid0(VALU_DEP_2) | instskip(NEXT) | instid1(VALU_DEP_2)
	v_pk_fma_f16 v20, v6, v3, v1 op_sel:[0,1,0]
	v_pk_fma_f16 v21, v7, v3, v0 op_sel:[0,1,0]
	s_waitcnt vmcnt(0) lgkmcnt(0)
	ds_store_b128 v71, v[74:77]
	flat_load_b128 v[46:49], v[41:42]
	s_waitcnt vmcnt(0) lgkmcnt(0)
	ds_store_b128 v69, v[46:49]
	s_waitcnt lgkmcnt(0)
	s_waitcnt_vscnt null, 0x0
	s_barrier
	buffer_gl0_inv
	ds_load_2addr_b64 v[12:15], v56 offset1:20
	ds_load_b128 v[16:19], v57 offset:32
	ds_load_2addr_b64 v[8:11], v56 offset0:40 offset1:60
	ds_load_b128 v[0:3], v57 offset:48
	ds_load_2addr_b64 v[4:7], v56 offset0:80 offset1:100
	s_waitcnt lgkmcnt(3)
	v_pk_fma_f16 v12, v12, v16, v20 op_sel_hi:[1,0,1]
	v_pk_fma_f16 v13, v13, v16, v21 op_sel_hi:[1,0,1]
	s_delay_alu instid0(VALU_DEP_2) | instskip(NEXT) | instid1(VALU_DEP_2)
	v_pk_fma_f16 v20, v14, v16, v12 op_sel:[0,1,0]
	v_pk_fma_f16 v16, v15, v16, v13 op_sel:[0,1,0]
	ds_load_2addr_b64 v[12:15], v56 offset0:120 offset1:140
	s_waitcnt lgkmcnt(3)
	v_pk_fma_f16 v8, v8, v17, v20 op_sel_hi:[1,0,1]
	v_pk_fma_f16 v9, v9, v17, v16 op_sel_hi:[1,0,1]
	s_delay_alu instid0(VALU_DEP_2) | instskip(NEXT) | instid1(VALU_DEP_2)
	v_pk_fma_f16 v16, v10, v17, v8 op_sel:[0,1,0]
	v_pk_fma_f16 v17, v11, v17, v9 op_sel:[0,1,0]
	;; [unrolled: 7-line block ×5, first 2 shown]
	ds_load_2addr_b64 v[8:11], v60 offset0:24 offset1:44
	s_waitcnt lgkmcnt(0)
	s_barrier
	v_pk_fma_f16 v4, v4, v1, v16 op_sel_hi:[1,0,1]
	v_pk_fma_f16 v0, v5, v1, v0 op_sel_hi:[1,0,1]
	buffer_gl0_inv
	v_pk_fma_f16 v4, v6, v1, v4 op_sel:[0,1,0]
	v_pk_fma_f16 v0, v7, v1, v0 op_sel:[0,1,0]
	s_delay_alu instid0(VALU_DEP_2) | instskip(NEXT) | instid1(VALU_DEP_2)
	v_pk_fma_f16 v1, v12, v2, v4 op_sel_hi:[1,0,1]
	v_pk_fma_f16 v0, v13, v2, v0 op_sel_hi:[1,0,1]
	s_delay_alu instid0(VALU_DEP_2) | instskip(NEXT) | instid1(VALU_DEP_2)
	v_pk_fma_f16 v1, v14, v2, v1 op_sel:[0,1,0]
	v_pk_fma_f16 v0, v15, v2, v0 op_sel:[0,1,0]
	s_delay_alu instid0(VALU_DEP_2) | instskip(NEXT) | instid1(VALU_DEP_2)
	v_pk_fma_f16 v1, v8, v3, v1 op_sel_hi:[1,0,1]
	v_pk_fma_f16 v0, v9, v3, v0 op_sel_hi:[1,0,1]
	s_delay_alu instid0(VALU_DEP_2) | instskip(NEXT) | instid1(VALU_DEP_2)
	v_pk_fma_f16 v58, v10, v3, v1 op_sel:[0,1,0]
	v_pk_fma_f16 v59, v11, v3, v0 op_sel:[0,1,0]
	v_mov_b32_e32 v0, v55
.LBB68_41:
	v_cmp_lt_i32_e32 vcc_lo, v50, v72
	s_cmp_eq_u64 s[24:25], 0
	s_cselect_b32 s3, -1, 0
	s_cmp_lg_u32 s14, 0
	v_cndmask_b32_e32 v1, v0, v50, vcc_lo
	v_cmp_lt_i32_e32 vcc_lo, v51, v72
	s_cselect_b32 s4, -1, 0
	s_delay_alu instid0(SALU_CYCLE_1) | instskip(NEXT) | instid1(VALU_DEP_2)
	s_or_b32 s3, s4, s3
	v_dual_cndmask_b32 v2, v0, v51 :: v_dual_lshlrev_b32 v1, 2, v1
	v_cmp_lt_i32_e32 vcc_lo, v52, v72
	ds_bpermute_b32 v1, v1, v64
	v_dual_cndmask_b32 v3, v0, v52 :: v_dual_lshlrev_b32 v2, 2, v2
	v_cmp_lt_i32_e32 vcc_lo, v53, v72
	s_delay_alu instid0(VALU_DEP_2)
	v_lshlrev_b32_e32 v3, 2, v3
	s_waitcnt lgkmcnt(0)
	v_add_f32_e32 v1, v64, v1
	ds_bpermute_b32 v2, v2, v1
	s_waitcnt lgkmcnt(0)
	v_add_f32_e32 v1, v1, v2
	ds_bpermute_b32 v2, v3, v1
	v_cndmask_b32_e32 v3, v0, v53, vcc_lo
	v_cmp_lt_i32_e32 vcc_lo, v54, v72
	s_delay_alu instid0(VALU_DEP_2) | instskip(SKIP_2) | instid1(VALU_DEP_1)
	v_dual_cndmask_b32 v0, v0, v54 :: v_dual_lshlrev_b32 v3, 2, v3
	s_and_b32 vcc_lo, exec_lo, s3
	s_waitcnt lgkmcnt(0)
	v_dual_add_f32 v1, v1, v2 :: v_dual_lshlrev_b32 v0, 2, v0
	ds_bpermute_b32 v2, v3, v1
	s_waitcnt lgkmcnt(0)
	v_add_f32_e32 v1, v1, v2
	ds_bpermute_b32 v0, v0, v1
	s_waitcnt lgkmcnt(0)
	v_add_f32_e32 v46, v1, v0
	s_cbranch_vccnz .LBB68_43
; %bb.42:
	s_lshl_b64 s[4:5], s[34:35], 2
	v_dual_mov_b32 v0, 0 :: v_dual_max_f32 v1, v45, v45
	s_add_u32 s4, s24, s4
	s_addc_u32 s5, s25, s5
	global_load_b32 v0, v0, s[4:5]
	s_waitcnt vmcnt(0)
	v_max_f32_e32 v2, v0, v0
	s_delay_alu instid0(VALU_DEP_1) | instskip(NEXT) | instid1(VALU_DEP_1)
	v_max_f32_e32 v1, v1, v2
	v_sub_f32_e32 v0, v0, v1
	s_delay_alu instid0(VALU_DEP_1) | instskip(NEXT) | instid1(VALU_DEP_1)
	v_mul_f32_e32 v4, 0x3fb8aa3b, v0
	v_fma_f32 v7, 0x3fb8aa3b, v0, -v4
	v_sub_f32_e32 v2, v45, v1
	v_rndne_f32_e32 v8, v4
	v_mov_b32_e32 v45, v1
	s_delay_alu instid0(VALU_DEP_4) | instskip(NEXT) | instid1(VALU_DEP_3)
	v_fmac_f32_e32 v7, 0x32a5705f, v0
	v_dual_mul_f32 v3, 0x3fb8aa3b, v2 :: v_dual_sub_f32 v4, v4, v8
	v_cmp_ngt_f32_e32 vcc_lo, 0xc2ce8ed0, v2
	s_delay_alu instid0(VALU_DEP_2) | instskip(SKIP_1) | instid1(VALU_DEP_2)
	v_fma_f32 v5, 0x3fb8aa3b, v2, -v3
	v_rndne_f32_e32 v6, v3
	v_dual_add_f32 v4, v4, v7 :: v_dual_fmac_f32 v5, 0x32a5705f, v2
	s_delay_alu instid0(VALU_DEP_2) | instskip(NEXT) | instid1(VALU_DEP_2)
	v_sub_f32_e32 v3, v3, v6
	v_exp_f32_e32 v4, v4
	s_delay_alu instid0(VALU_DEP_1) | instskip(SKIP_2) | instid1(VALU_DEP_3)
	v_add_f32_e32 v3, v3, v5
	v_cvt_i32_f32_e32 v5, v6
	v_cvt_i32_f32_e32 v6, v8
	v_exp_f32_e32 v3, v3
	s_waitcnt_depctr 0xfff
	v_ldexp_f32 v4, v4, v6
	v_ldexp_f32 v3, v3, v5
	s_delay_alu instid0(VALU_DEP_1) | instskip(SKIP_1) | instid1(VALU_DEP_4)
	v_cndmask_b32_e32 v3, 0, v3, vcc_lo
	v_cmp_ngt_f32_e32 vcc_lo, 0xc2ce8ed0, v0
	v_cndmask_b32_e32 v4, 0, v4, vcc_lo
	v_cmp_nlt_f32_e32 vcc_lo, 0x42b17218, v2
	s_delay_alu instid0(VALU_DEP_4) | instskip(SKIP_1) | instid1(VALU_DEP_2)
	v_cndmask_b32_e32 v2, 0x7f800000, v3, vcc_lo
	v_cmp_nlt_f32_e32 vcc_lo, 0x42b17218, v0
	v_cvt_f16_f32_e32 v3, v2
	v_cndmask_b32_e32 v0, 0x7f800000, v4, vcc_lo
	s_delay_alu instid0(VALU_DEP_2) | instskip(NEXT) | instid1(VALU_DEP_2)
	v_pk_mul_f16 v58, v3, v58 op_sel_hi:[0,1]
	v_fmac_f32_e32 v0, v46, v2
	v_pk_mul_f16 v59, v3, v59 op_sel_hi:[0,1]
	s_delay_alu instid0(VALU_DEP_2)
	v_mov_b32_e32 v46, v0
.LBB68_43:
	s_mov_b32 s3, exec_lo
	v_cmpx_gt_i32_e64 s10, v44
	s_cbranch_execz .LBB68_48
; %bb.44:
	s_load_b32 s0, s[0:1], 0xd4
	v_mad_u64_u32 v[0:1], null, s33, s10, v[44:45]
	s_delay_alu instid0(VALU_DEP_1) | instskip(SKIP_1) | instid1(VALU_DEP_1)
	v_mad_u64_u32 v[2:3], null, v0, s11, s[34:35]
	s_waitcnt lgkmcnt(0)
	v_mad_u64_u32 v[0:1], null, s0, v2, s[14:15]
	s_cmp_lg_u32 s0, 1
	s_cselect_b32 s0, -1, 0
	s_and_saveexec_b32 s1, s2
	s_cbranch_execz .LBB68_46
; %bb.45:
	v_div_scale_f32 v1, null, v46, v46, 1.0
	v_div_scale_f32 v4, vcc_lo, 1.0, v46, 1.0
	v_lshrrev_b32_e32 v6, 16, v58
	s_delay_alu instid0(VALU_DEP_3) | instskip(SKIP_1) | instid1(VALU_DEP_2)
	v_rcp_f32_e32 v2, v1
	v_cvt_f32_f16_e32 v9, v58
	v_cvt_f32_f16_e32 v8, v6
	s_waitcnt_depctr 0xfff
	v_fma_f32 v3, -v1, v2, 1.0
	s_delay_alu instid0(VALU_DEP_1) | instskip(NEXT) | instid1(VALU_DEP_1)
	v_fmac_f32_e32 v2, v3, v2
	v_mul_f32_e32 v3, v4, v2
	s_delay_alu instid0(VALU_DEP_1) | instskip(NEXT) | instid1(VALU_DEP_1)
	v_fma_f32 v5, -v1, v3, v4
	v_fmac_f32_e32 v3, v5, v2
	s_delay_alu instid0(VALU_DEP_1) | instskip(SKIP_1) | instid1(VALU_DEP_2)
	v_fma_f32 v1, -v1, v3, v4
	v_lshrrev_b32_e32 v4, 16, v59
	v_div_fmas_f32 v1, v1, v2, v3
	v_mul_lo_u32 v3, 0x50, v0
	v_mov_b32_e32 v2, 0
	s_delay_alu instid0(VALU_DEP_4) | instskip(NEXT) | instid1(VALU_DEP_4)
	v_cvt_f32_f16_e32 v4, v4
	v_div_fixup_f32 v5, v1, v46, 1.0
	s_delay_alu instid0(VALU_DEP_4) | instskip(NEXT) | instid1(VALU_DEP_2)
	v_lshl_add_u32 v1, v43, 2, v3
	v_cndmask_b32_e64 v7, v5, 1.0, s0
	v_cvt_f32_f16_e32 v3, v59
	s_delay_alu instid0(VALU_DEP_3) | instskip(NEXT) | instid1(VALU_DEP_3)
	v_lshlrev_b64 v[5:6], 2, v[1:2]
	v_mul_f32_e32 v4, v7, v4
	s_delay_alu instid0(VALU_DEP_3)
	v_mul_f32_e32 v3, v7, v3
	v_mul_f32_e32 v2, v7, v8
	;; [unrolled: 1-line block ×3, first 2 shown]
	v_add_co_u32 v5, vcc_lo, s28, v5
	v_add_co_ci_u32_e32 v6, vcc_lo, s29, v6, vcc_lo
	global_store_b128 v[5:6], v[1:4], off
.LBB68_46:
	s_or_b32 exec_lo, exec_lo, s1
	v_cmp_eq_u32_e32 vcc_lo, 0, v43
	s_and_b32 s0, vcc_lo, s0
	s_delay_alu instid0(SALU_CYCLE_1)
	s_and_b32 exec_lo, exec_lo, s0
	s_cbranch_execz .LBB68_48
; %bb.47:
	v_ashrrev_i32_e32 v1, 31, v0
	s_delay_alu instid0(VALU_DEP_1) | instskip(NEXT) | instid1(VALU_DEP_1)
	v_lshlrev_b64 v[0:1], 3, v[0:1]
	v_add_co_u32 v0, vcc_lo, s30, v0
	s_delay_alu instid0(VALU_DEP_2)
	v_add_co_ci_u32_e32 v1, vcc_lo, s31, v1, vcc_lo
	global_store_b64 v[0:1], v[45:46], off
.LBB68_48:
	s_nop 0
	s_sendmsg sendmsg(MSG_DEALLOC_VGPRS)
	s_endpgm
	.section	.rodata,"a",@progbits
	.p2align	6, 0x0
	.amdhsa_kernel _ZL15flash_attn_tileILi80ELi80ELi2ELi1ELb0EEvPKcS1_S1_S1_S1_PKiPfP15HIP_vector_typeIfLj2EEffffjfiS5_IjLj3EEiiiiiiiiiiiliiliiiiil
		.amdhsa_group_segment_fixed_size 3712
		.amdhsa_private_segment_fixed_size 32
		.amdhsa_kernarg_size 464
		.amdhsa_user_sgpr_count 13
		.amdhsa_user_sgpr_dispatch_ptr 0
		.amdhsa_user_sgpr_queue_ptr 0
		.amdhsa_user_sgpr_kernarg_segment_ptr 1
		.amdhsa_user_sgpr_dispatch_id 0
		.amdhsa_user_sgpr_private_segment_size 0
		.amdhsa_wavefront_size32 1
		.amdhsa_uses_dynamic_stack 0
		.amdhsa_enable_private_segment 1
		.amdhsa_system_sgpr_workgroup_id_x 1
		.amdhsa_system_sgpr_workgroup_id_y 1
		.amdhsa_system_sgpr_workgroup_id_z 1
		.amdhsa_system_sgpr_workgroup_info 0
		.amdhsa_system_vgpr_workitem_id 1
		.amdhsa_next_free_vgpr 98
		.amdhsa_next_free_sgpr 52
		.amdhsa_reserve_vcc 1
		.amdhsa_float_round_mode_32 0
		.amdhsa_float_round_mode_16_64 0
		.amdhsa_float_denorm_mode_32 3
		.amdhsa_float_denorm_mode_16_64 3
		.amdhsa_dx10_clamp 1
		.amdhsa_ieee_mode 1
		.amdhsa_fp16_overflow 0
		.amdhsa_workgroup_processor_mode 1
		.amdhsa_memory_ordered 1
		.amdhsa_forward_progress 0
		.amdhsa_shared_vgpr_count 0
		.amdhsa_exception_fp_ieee_invalid_op 0
		.amdhsa_exception_fp_denorm_src 0
		.amdhsa_exception_fp_ieee_div_zero 0
		.amdhsa_exception_fp_ieee_overflow 0
		.amdhsa_exception_fp_ieee_underflow 0
		.amdhsa_exception_fp_ieee_inexact 0
		.amdhsa_exception_int_div_zero 0
	.end_amdhsa_kernel
	.section	.text._ZL15flash_attn_tileILi80ELi80ELi2ELi1ELb0EEvPKcS1_S1_S1_S1_PKiPfP15HIP_vector_typeIfLj2EEffffjfiS5_IjLj3EEiiiiiiiiiiiliiliiiiil,"axG",@progbits,_ZL15flash_attn_tileILi80ELi80ELi2ELi1ELb0EEvPKcS1_S1_S1_S1_PKiPfP15HIP_vector_typeIfLj2EEffffjfiS5_IjLj3EEiiiiiiiiiiiliiliiiiil,comdat
.Lfunc_end68:
	.size	_ZL15flash_attn_tileILi80ELi80ELi2ELi1ELb0EEvPKcS1_S1_S1_S1_PKiPfP15HIP_vector_typeIfLj2EEffffjfiS5_IjLj3EEiiiiiiiiiiiliiliiiiil, .Lfunc_end68-_ZL15flash_attn_tileILi80ELi80ELi2ELi1ELb0EEvPKcS1_S1_S1_S1_PKiPfP15HIP_vector_typeIfLj2EEffffjfiS5_IjLj3EEiiiiiiiiiiiliiliiiiil
                                        ; -- End function
	.section	.AMDGPU.csdata,"",@progbits
; Kernel info:
; codeLenInByte = 11216
; NumSgprs: 54
; NumVgprs: 98
; ScratchSize: 32
; MemoryBound: 0
; FloatMode: 240
; IeeeMode: 1
; LDSByteSize: 3712 bytes/workgroup (compile time only)
; SGPRBlocks: 6
; VGPRBlocks: 12
; NumSGPRsForWavesPerEU: 54
; NumVGPRsForWavesPerEU: 98
; Occupancy: 12
; WaveLimiterHint : 1
; COMPUTE_PGM_RSRC2:SCRATCH_EN: 1
; COMPUTE_PGM_RSRC2:USER_SGPR: 13
; COMPUTE_PGM_RSRC2:TRAP_HANDLER: 0
; COMPUTE_PGM_RSRC2:TGID_X_EN: 1
; COMPUTE_PGM_RSRC2:TGID_Y_EN: 1
; COMPUTE_PGM_RSRC2:TGID_Z_EN: 1
; COMPUTE_PGM_RSRC2:TIDIG_COMP_CNT: 1
	.section	.text._ZL33flash_attn_stream_k_fixup_uniformILi80ELi2ELi1EEvPfPK15HIP_vector_typeIfLj2EEiiiiiiS1_IjLj3EES5_S5_,"axG",@progbits,_ZL33flash_attn_stream_k_fixup_uniformILi80ELi2ELi1EEvPfPK15HIP_vector_typeIfLj2EEiiiiiiS1_IjLj3EES5_S5_,comdat
	.globl	_ZL33flash_attn_stream_k_fixup_uniformILi80ELi2ELi1EEvPfPK15HIP_vector_typeIfLj2EEiiiiiiS1_IjLj3EES5_S5_ ; -- Begin function _ZL33flash_attn_stream_k_fixup_uniformILi80ELi2ELi1EEvPfPK15HIP_vector_typeIfLj2EEiiiiiiS1_IjLj3EES5_S5_
	.p2align	8
	.type	_ZL33flash_attn_stream_k_fixup_uniformILi80ELi2ELi1EEvPfPK15HIP_vector_typeIfLj2EEiiiiiiS1_IjLj3EES5_S5_,@function
_ZL33flash_attn_stream_k_fixup_uniformILi80ELi2ELi1EEvPfPK15HIP_vector_typeIfLj2EEiiiiiiS1_IjLj3EES5_S5_: ; @_ZL33flash_attn_stream_k_fixup_uniformILi80ELi2ELi1EEvPfPK15HIP_vector_typeIfLj2EEiiiiiiS1_IjLj3EES5_S5_
; %bb.0:
	s_clause 0x1
	s_load_b256 s[4:11], s[0:1], 0x1c
	s_load_b128 s[16:19], s[0:1], 0x3c
	s_waitcnt lgkmcnt(0)
	s_mul_hi_u32 s2, s7, s13
	s_delay_alu instid0(SALU_CYCLE_1) | instskip(NEXT) | instid1(SALU_CYCLE_1)
	s_add_i32 s2, s13, s2
	s_lshr_b32 s2, s2, s8
	s_delay_alu instid0(SALU_CYCLE_1) | instskip(SKIP_2) | instid1(SALU_CYCLE_1)
	s_mul_i32 s3, s2, s9
	s_load_b64 s[8:9], s[0:1], 0x10
	s_sub_i32 s3, s13, s3
	s_mul_hi_u32 s7, s3, s10
	s_delay_alu instid0(SALU_CYCLE_1) | instskip(NEXT) | instid1(SALU_CYCLE_1)
	s_add_i32 s7, s3, s7
	s_lshr_b32 s7, s7, s11
	s_delay_alu instid0(SALU_CYCLE_1) | instskip(NEXT) | instid1(SALU_CYCLE_1)
	s_mul_i32 s10, s7, s16
	s_sub_i32 s3, s3, s10
	s_delay_alu instid0(SALU_CYCLE_1) | instskip(NEXT) | instid1(SALU_CYCLE_1)
	s_mul_hi_u32 s10, s3, s17
	s_add_i32 s10, s3, s10
	s_delay_alu instid0(SALU_CYCLE_1) | instskip(NEXT) | instid1(SALU_CYCLE_1)
	s_lshr_b32 s11, s10, s18
	s_mul_i32 s10, s11, s19
	s_delay_alu instid0(SALU_CYCLE_1) | instskip(NEXT) | instid1(SALU_CYCLE_1)
	s_sub_i32 s10, s3, s10
	s_lshl_b32 s3, s10, 1
	s_delay_alu instid0(SALU_CYCLE_1) | instskip(SKIP_4) | instid1(SALU_CYCLE_1)
	s_add_i32 s3, s3, s14
	s_waitcnt lgkmcnt(0)
	s_cmp_lt_i32 s3, s8
	s_cselect_b32 s3, -1, 0
	s_add_i32 s11, s11, s15
	s_cmp_lt_i32 s11, s5
	s_cselect_b32 s12, -1, 0
	s_delay_alu instid0(SALU_CYCLE_1) | instskip(NEXT) | instid1(SALU_CYCLE_1)
	s_and_b32 s3, s3, s12
	s_and_not1_b32 vcc_lo, exec_lo, s3
	s_cbranch_vccnz .LBB69_6
; %bb.1:
	s_mul_i32 s8, s2, s8
	s_mul_i32 s7, s7, s5
	s_add_i32 s8, s8, s14
	s_add_i32 s5, s11, s7
	s_mul_i32 s8, s8, s9
	s_load_b128 s[0:3], s[0:1], 0x0
	s_mul_i32 s7, s9, s10
	s_add_i32 s5, s5, s8
	s_mulk_i32 s7, 0xa0
	s_mulk_i32 s5, 0x50
	s_add_i32 s10, s14, s15
	v_add3_u32 v1, s5, s7, v0
	s_mul_i32 s5, s13, s6
	s_delay_alu instid0(SALU_CYCLE_1) | instskip(NEXT) | instid1(VALU_DEP_1)
	s_add_i32 s9, s5, s6
	v_ashrrev_i32_e32 v2, 31, v1
	s_delay_alu instid0(VALU_DEP_1) | instskip(SKIP_1) | instid1(VALU_DEP_1)
	v_lshlrev_b64 v[1:2], 2, v[1:2]
	s_waitcnt lgkmcnt(0)
	v_add_co_u32 v1, vcc_lo, s0, v1
	s_delay_alu instid0(VALU_DEP_2) | instskip(SKIP_1) | instid1(SALU_CYCLE_1)
	v_add_co_ci_u32_e32 v2, vcc_lo, s1, v2, vcc_lo
	s_lshl_b32 s0, s9, 1
	s_add_i32 s0, s10, s0
	global_load_b32 v5, v[1:2], off
	s_add_i32 s0, s0, -2
	s_delay_alu instid0(SALU_CYCLE_1) | instskip(NEXT) | instid1(SALU_CYCLE_1)
	s_ashr_i32 s1, s0, 31
	s_lshl_b64 s[0:1], s[0:1], 3
	s_delay_alu instid0(SALU_CYCLE_1)
	s_add_u32 s0, s2, s0
	s_addc_u32 s1, s3, s1
	s_add_i32 s7, s9, -2
	s_load_b32 s11, s[0:1], 0x4
	s_cmp_lt_i32 s7, s5
	s_cbranch_scc1 .LBB69_4
; %bb.2:
	s_load_b32 s12, s[0:1], 0x0
	s_lshl_b32 s0, s4, 3
	s_waitcnt lgkmcnt(0)
	v_mov_b32_e32 v6, s11
	s_ashr_i32 s1, s0, 31
	s_delay_alu instid0(SALU_CYCLE_1) | instskip(NEXT) | instid1(SALU_CYCLE_1)
	s_lshl_b64 s[0:1], s[0:1], 2
	s_add_u32 s7, s2, s0
	s_addc_u32 s8, s3, s1
	s_add_i32 s13, s13, 1
	s_mul_i32 s1, s10, 0x50
	s_mul_i32 s0, s6, s13
	s_delay_alu instid0(SALU_CYCLE_1)
	s_lshl_b32 s6, s0, 1
	s_mulk_i32 s0, 0xa0
	s_add_i32 s6, s10, s6
	s_add_i32 s1, s1, s0
	s_lshl_b32 s0, s4, 1
	v_add3_u32 v3, s1, v0, 0xfffffec0
	s_add_i32 s0, s6, s0
	v_mov_b32_e32 v0, s12
	s_add_i32 s4, s9, -1
	s_add_i32 s0, s0, -4
.LBB69_3:                               ; =>This Inner Loop Header: Depth=1
	s_delay_alu instid0(VALU_DEP_2) | instskip(SKIP_1) | instid1(SALU_CYCLE_1)
	v_ashrrev_i32_e32 v4, 31, v3
	s_ashr_i32 s1, s0, 31
	s_lshl_b64 s[10:11], s[0:1], 3
	s_delay_alu instid0(SALU_CYCLE_1) | instskip(NEXT) | instid1(VALU_DEP_1)
	s_add_u32 s10, s2, s10
	v_lshlrev_b64 v[7:8], 2, v[3:4]
	s_addc_u32 s11, s3, s11
	s_add_i32 s4, s4, -1
	s_add_i32 s0, s0, -2
	s_cmp_le_i32 s4, s5
	s_load_b64 s[10:11], s[10:11], 0x0
	v_add_co_u32 v7, vcc_lo, s7, v7
	v_add_co_ci_u32_e32 v8, vcc_lo, s8, v8, vcc_lo
	global_load_b32 v4, v[7:8], off
	v_max_f32_e32 v7, v0, v0
	s_waitcnt lgkmcnt(0)
	v_max_f32_e64 v8, s10, s10
	s_delay_alu instid0(VALU_DEP_1) | instskip(NEXT) | instid1(VALU_DEP_1)
	v_max_f32_e32 v7, v7, v8
	v_sub_f32_e32 v8, s10, v7
	s_delay_alu instid0(VALU_DEP_1) | instskip(NEXT) | instid1(VALU_DEP_1)
	v_dual_sub_f32 v0, v0, v7 :: v_dual_mul_f32 v9, 0x3fb8aa3b, v8
	v_fma_f32 v10, 0x3fb8aa3b, v8, -v9
	v_rndne_f32_e32 v11, v9
	s_delay_alu instid0(VALU_DEP_3) | instskip(NEXT) | instid1(VALU_DEP_2)
	v_mul_f32_e32 v12, 0x3fb8aa3b, v0
	v_dual_fmac_f32 v10, 0x32a5705f, v8 :: v_dual_sub_f32 v9, v9, v11
	v_cvt_i32_f32_e32 v11, v11
	s_delay_alu instid0(VALU_DEP_3) | instskip(SKIP_1) | instid1(VALU_DEP_4)
	v_fma_f32 v13, 0x3fb8aa3b, v0, -v12
	v_rndne_f32_e32 v14, v12
	v_add_f32_e32 v9, v9, v10
	v_cmp_ngt_f32_e32 vcc_lo, 0xc2ce8ed0, v8
	s_delay_alu instid0(VALU_DEP_3) | instskip(NEXT) | instid1(VALU_DEP_3)
	v_sub_f32_e32 v10, v12, v14
	v_exp_f32_e32 v9, v9
	s_waitcnt_depctr 0xfff
	v_ldexp_f32 v9, v9, v11
	v_cvt_i32_f32_e32 v11, v14
	s_delay_alu instid0(VALU_DEP_2) | instskip(SKIP_1) | instid1(VALU_DEP_2)
	v_cndmask_b32_e32 v9, 0, v9, vcc_lo
	v_cmp_nlt_f32_e32 vcc_lo, 0x42b17218, v8
	v_cndmask_b32_e32 v9, 0x7f800000, v9, vcc_lo
	v_cmp_ngt_f32_e32 vcc_lo, 0xc2ce8ed0, v0
	v_fmac_f32_e32 v13, 0x32a5705f, v0
	s_delay_alu instid0(VALU_DEP_1) | instskip(NEXT) | instid1(VALU_DEP_1)
	v_add_f32_e32 v10, v10, v13
	v_exp_f32_e32 v10, v10
	s_waitcnt_depctr 0xfff
	v_ldexp_f32 v10, v10, v11
	s_delay_alu instid0(VALU_DEP_1)
	v_dual_mov_b32 v11, v6 :: v_dual_cndmask_b32 v10, 0, v10
	v_cmp_le_f32_e32 vcc_lo, 0xc1a00000, v8
	s_waitcnt vmcnt(1)
	v_dual_cndmask_b32 v8, 0, v9 :: v_dual_mov_b32 v9, v5
	v_cmp_nlt_f32_e32 vcc_lo, 0x42b17218, v0
	v_cndmask_b32_e32 v5, 0x7f800000, v10, vcc_lo
	s_delay_alu instid0(VALU_DEP_3) | instskip(SKIP_2) | instid1(VALU_DEP_3)
	v_mul_f32_e32 v10, s11, v8
	v_cmp_le_f32_e32 vcc_lo, 0xc1a00000, v0
	v_mov_b32_e32 v0, v7
	v_mov_b32_e32 v6, v10
	s_waitcnt vmcnt(0)
	v_dual_cndmask_b32 v12, 0, v5 :: v_dual_mul_f32 v5, v4, v8
	s_delay_alu instid0(VALU_DEP_1) | instskip(NEXT) | instid1(VALU_DEP_2)
	v_dual_fmac_f32 v6, v11, v12 :: v_dual_add_nc_u32 v3, 0xffffff60, v3
	v_fmac_f32_e32 v5, v9, v12
	s_cbranch_scc0 .LBB69_3
	s_branch .LBB69_5
.LBB69_4:
	s_waitcnt lgkmcnt(0)
	v_mov_b32_e32 v6, s11
.LBB69_5:
	s_waitcnt vmcnt(0)
	s_delay_alu instid0(VALU_DEP_1) | instskip(NEXT) | instid1(VALU_DEP_1)
	v_div_scale_f32 v0, null, v6, v6, v5
	v_rcp_f32_e32 v3, v0
	s_waitcnt_depctr 0xfff
	v_fma_f32 v4, -v0, v3, 1.0
	s_delay_alu instid0(VALU_DEP_1) | instskip(SKIP_1) | instid1(VALU_DEP_1)
	v_fmac_f32_e32 v3, v4, v3
	v_div_scale_f32 v4, vcc_lo, v5, v6, v5
	v_mul_f32_e32 v7, v4, v3
	s_delay_alu instid0(VALU_DEP_1) | instskip(NEXT) | instid1(VALU_DEP_1)
	v_fma_f32 v8, -v0, v7, v4
	v_fmac_f32_e32 v7, v8, v3
	s_delay_alu instid0(VALU_DEP_1) | instskip(NEXT) | instid1(VALU_DEP_1)
	v_fma_f32 v0, -v0, v7, v4
	v_div_fmas_f32 v0, v0, v3, v7
	s_delay_alu instid0(VALU_DEP_1)
	v_div_fixup_f32 v0, v0, v6, v5
	global_store_b32 v[1:2], v0, off
.LBB69_6:
	s_nop 0
	s_sendmsg sendmsg(MSG_DEALLOC_VGPRS)
	s_endpgm
	.section	.rodata,"a",@progbits
	.p2align	6, 0x0
	.amdhsa_kernel _ZL33flash_attn_stream_k_fixup_uniformILi80ELi2ELi1EEvPfPK15HIP_vector_typeIfLj2EEiiiiiiS1_IjLj3EES5_S5_
		.amdhsa_group_segment_fixed_size 0
		.amdhsa_private_segment_fixed_size 0
		.amdhsa_kernarg_size 76
		.amdhsa_user_sgpr_count 13
		.amdhsa_user_sgpr_dispatch_ptr 0
		.amdhsa_user_sgpr_queue_ptr 0
		.amdhsa_user_sgpr_kernarg_segment_ptr 1
		.amdhsa_user_sgpr_dispatch_id 0
		.amdhsa_user_sgpr_private_segment_size 0
		.amdhsa_wavefront_size32 1
		.amdhsa_uses_dynamic_stack 0
		.amdhsa_enable_private_segment 0
		.amdhsa_system_sgpr_workgroup_id_x 1
		.amdhsa_system_sgpr_workgroup_id_y 1
		.amdhsa_system_sgpr_workgroup_id_z 1
		.amdhsa_system_sgpr_workgroup_info 0
		.amdhsa_system_vgpr_workitem_id 0
		.amdhsa_next_free_vgpr 15
		.amdhsa_next_free_sgpr 20
		.amdhsa_reserve_vcc 1
		.amdhsa_float_round_mode_32 0
		.amdhsa_float_round_mode_16_64 0
		.amdhsa_float_denorm_mode_32 3
		.amdhsa_float_denorm_mode_16_64 3
		.amdhsa_dx10_clamp 1
		.amdhsa_ieee_mode 1
		.amdhsa_fp16_overflow 0
		.amdhsa_workgroup_processor_mode 1
		.amdhsa_memory_ordered 1
		.amdhsa_forward_progress 0
		.amdhsa_shared_vgpr_count 0
		.amdhsa_exception_fp_ieee_invalid_op 0
		.amdhsa_exception_fp_denorm_src 0
		.amdhsa_exception_fp_ieee_div_zero 0
		.amdhsa_exception_fp_ieee_overflow 0
		.amdhsa_exception_fp_ieee_underflow 0
		.amdhsa_exception_fp_ieee_inexact 0
		.amdhsa_exception_int_div_zero 0
	.end_amdhsa_kernel
	.section	.text._ZL33flash_attn_stream_k_fixup_uniformILi80ELi2ELi1EEvPfPK15HIP_vector_typeIfLj2EEiiiiiiS1_IjLj3EES5_S5_,"axG",@progbits,_ZL33flash_attn_stream_k_fixup_uniformILi80ELi2ELi1EEvPfPK15HIP_vector_typeIfLj2EEiiiiiiS1_IjLj3EES5_S5_,comdat
.Lfunc_end69:
	.size	_ZL33flash_attn_stream_k_fixup_uniformILi80ELi2ELi1EEvPfPK15HIP_vector_typeIfLj2EEiiiiiiS1_IjLj3EES5_S5_, .Lfunc_end69-_ZL33flash_attn_stream_k_fixup_uniformILi80ELi2ELi1EEvPfPK15HIP_vector_typeIfLj2EEiiiiiiS1_IjLj3EES5_S5_
                                        ; -- End function
	.section	.AMDGPU.csdata,"",@progbits
; Kernel info:
; codeLenInByte = 976
; NumSgprs: 22
; NumVgprs: 15
; ScratchSize: 0
; MemoryBound: 0
; FloatMode: 240
; IeeeMode: 1
; LDSByteSize: 0 bytes/workgroup (compile time only)
; SGPRBlocks: 2
; VGPRBlocks: 1
; NumSGPRsForWavesPerEU: 22
; NumVGPRsForWavesPerEU: 15
; Occupancy: 16
; WaveLimiterHint : 0
; COMPUTE_PGM_RSRC2:SCRATCH_EN: 0
; COMPUTE_PGM_RSRC2:USER_SGPR: 13
; COMPUTE_PGM_RSRC2:TRAP_HANDLER: 0
; COMPUTE_PGM_RSRC2:TGID_X_EN: 1
; COMPUTE_PGM_RSRC2:TGID_Y_EN: 1
; COMPUTE_PGM_RSRC2:TGID_Z_EN: 1
; COMPUTE_PGM_RSRC2:TIDIG_COMP_CNT: 0
	.section	.text._ZL33flash_attn_stream_k_fixup_generalILi80ELi2ELi1EEvPfPK15HIP_vector_typeIfLj2EEiiiiS1_IjLj3EES5_S5_S5_,"axG",@progbits,_ZL33flash_attn_stream_k_fixup_generalILi80ELi2ELi1EEvPfPK15HIP_vector_typeIfLj2EEiiiiS1_IjLj3EES5_S5_S5_,comdat
	.globl	_ZL33flash_attn_stream_k_fixup_generalILi80ELi2ELi1EEvPfPK15HIP_vector_typeIfLj2EEiiiiS1_IjLj3EES5_S5_S5_ ; -- Begin function _ZL33flash_attn_stream_k_fixup_generalILi80ELi2ELi1EEvPfPK15HIP_vector_typeIfLj2EEiiiiS1_IjLj3EES5_S5_S5_
	.p2align	8
	.type	_ZL33flash_attn_stream_k_fixup_generalILi80ELi2ELi1EEvPfPK15HIP_vector_typeIfLj2EEiiiiS1_IjLj3EES5_S5_S5_,@function
_ZL33flash_attn_stream_k_fixup_generalILi80ELi2ELi1EEvPfPK15HIP_vector_typeIfLj2EEiiiiS1_IjLj3EES5_S5_S5_: ; @_ZL33flash_attn_stream_k_fixup_generalILi80ELi2ELi1EEvPfPK15HIP_vector_typeIfLj2EEiiiiS1_IjLj3EES5_S5_S5_
; %bb.0:
	s_clause 0x1
	s_load_b128 s[4:7], s[0:1], 0x10
	s_load_b32 s20, s[0:1], 0x50
	s_mov_b32 s2, 0
	s_waitcnt lgkmcnt(0)
	s_mul_hi_i32 s3, s7, s13
	s_mul_i32 s12, s7, s13
	s_cmp_lg_u64 s[2:3], 0
	s_cbranch_scc0 .LBB70_21
; %bb.1:
	v_cvt_f32_ubyte0_e32 v1, 0
	v_cvt_f32_u32_e32 v2, s20
	s_sub_u32 s10, 0, s20
	s_subb_u32 s11, 0, 0
	s_delay_alu instid0(VALU_DEP_1) | instskip(NEXT) | instid1(VALU_DEP_1)
	v_fmamk_f32 v1, v1, 0x4f800000, v2
	v_rcp_f32_e32 v1, v1
	s_waitcnt_depctr 0xfff
	v_mul_f32_e32 v1, 0x5f7ffffc, v1
	s_delay_alu instid0(VALU_DEP_1) | instskip(NEXT) | instid1(VALU_DEP_1)
	v_mul_f32_e32 v2, 0x2f800000, v1
	v_trunc_f32_e32 v2, v2
	s_delay_alu instid0(VALU_DEP_1) | instskip(SKIP_1) | instid1(VALU_DEP_2)
	v_fmamk_f32 v1, v2, 0xcf800000, v1
	v_cvt_u32_f32_e32 v2, v2
	v_cvt_u32_f32_e32 v1, v1
	s_delay_alu instid0(VALU_DEP_2) | instskip(NEXT) | instid1(VALU_DEP_2)
	v_readfirstlane_b32 s8, v2
	v_readfirstlane_b32 s9, v1
	s_delay_alu instid0(VALU_DEP_2) | instskip(NEXT) | instid1(VALU_DEP_1)
	s_mul_i32 s16, s10, s8
	s_mul_hi_u32 s18, s10, s9
	s_mul_i32 s17, s11, s9
	s_add_i32 s16, s18, s16
	s_mul_i32 s19, s10, s9
	s_add_i32 s16, s16, s17
	s_mul_hi_u32 s18, s9, s19
	s_mul_hi_u32 s21, s8, s19
	s_mul_i32 s17, s8, s19
	s_mul_hi_u32 s19, s9, s16
	s_mul_i32 s9, s9, s16
	s_mul_hi_u32 s22, s8, s16
	s_add_u32 s9, s18, s9
	s_addc_u32 s18, 0, s19
	s_add_u32 s9, s9, s17
	s_mul_i32 s16, s8, s16
	s_addc_u32 s9, s18, s21
	s_addc_u32 s17, s22, 0
	s_add_u32 s9, s9, s16
	s_addc_u32 s16, 0, s17
	v_add_co_u32 v1, s9, v1, s9
	s_delay_alu instid0(VALU_DEP_1) | instskip(SKIP_1) | instid1(VALU_DEP_1)
	s_cmp_lg_u32 s9, 0
	s_addc_u32 s8, s8, s16
	v_readfirstlane_b32 s9, v1
	s_mul_i32 s16, s10, s8
	s_delay_alu instid0(VALU_DEP_1)
	s_mul_hi_u32 s17, s10, s9
	s_mul_i32 s11, s11, s9
	s_add_i32 s16, s17, s16
	s_mul_i32 s10, s10, s9
	s_add_i32 s16, s16, s11
	s_mul_hi_u32 s17, s8, s10
	s_mul_i32 s18, s8, s10
	s_mul_hi_u32 s10, s9, s10
	s_mul_hi_u32 s19, s9, s16
	s_mul_i32 s9, s9, s16
	s_mul_hi_u32 s11, s8, s16
	s_add_u32 s9, s10, s9
	s_addc_u32 s10, 0, s19
	s_add_u32 s9, s9, s18
	s_mul_i32 s16, s8, s16
	s_addc_u32 s9, s10, s17
	s_addc_u32 s10, s11, 0
	s_add_u32 s9, s9, s16
	s_addc_u32 s10, 0, s10
	v_add_co_u32 v1, s9, v1, s9
	s_delay_alu instid0(VALU_DEP_1) | instskip(SKIP_2) | instid1(SALU_CYCLE_1)
	s_cmp_lg_u32 s9, 0
	s_addc_u32 s16, s8, s10
	s_ashr_i32 s8, s3, 31
	s_add_u32 s10, s12, s8
	s_addc_u32 s11, s3, s8
	v_readfirstlane_b32 s3, v1
	s_mov_b32 s9, s8
	s_delay_alu instid0(SALU_CYCLE_1) | instskip(NEXT) | instid1(SALU_CYCLE_1)
	s_xor_b64 s[10:11], s[10:11], s[8:9]
	s_mul_i32 s18, s10, s16
	s_delay_alu instid0(VALU_DEP_1)
	s_mul_hi_u32 s19, s10, s3
	s_mul_hi_u32 s17, s10, s16
	;; [unrolled: 1-line block ×3, first 2 shown]
	s_mul_i32 s3, s11, s3
	s_add_u32 s18, s19, s18
	s_addc_u32 s17, 0, s17
	s_mul_hi_u32 s21, s11, s16
	s_add_u32 s3, s18, s3
	s_mul_i32 s16, s11, s16
	s_addc_u32 s3, s17, s22
	s_addc_u32 s17, s21, 0
	s_add_u32 s3, s3, s16
	s_addc_u32 s16, 0, s17
	s_mul_i32 s18, s20, s3
	s_add_u32 s17, s3, 1
	v_sub_co_u32 v1, s10, s10, s18
	s_mul_hi_u32 s18, s20, s3
	s_addc_u32 s19, s16, 0
	s_mul_i32 s21, s20, s16
	s_delay_alu instid0(VALU_DEP_1)
	v_sub_co_u32 v2, s22, v1, s20
	s_add_u32 s23, s3, 2
	s_addc_u32 s24, s16, 0
	s_add_i32 s18, s18, s21
	s_cmp_lg_u32 s10, 0
	v_readfirstlane_b32 s10, v2
	s_subb_u32 s11, s11, s18
	s_cmp_lg_u32 s22, 0
	s_subb_u32 s18, s11, 0
	s_delay_alu instid0(VALU_DEP_1) | instskip(SKIP_4) | instid1(SALU_CYCLE_1)
	s_cmp_ge_u32 s10, s20
	s_cselect_b32 s10, -1, 0
	s_cmp_eq_u32 s18, 0
	v_readfirstlane_b32 s18, v1
	s_cselect_b32 s10, s10, -1
	s_cmp_lg_u32 s10, 0
	s_cselect_b32 s10, s23, s17
	s_cselect_b32 s17, s24, s19
	s_cmp_ge_u32 s18, s20
	s_cselect_b32 s18, -1, 0
	s_cmp_eq_u32 s11, 0
	s_cselect_b32 s11, s18, -1
	s_delay_alu instid0(SALU_CYCLE_1) | instskip(SKIP_2) | instid1(SALU_CYCLE_1)
	s_cmp_lg_u32 s11, 0
	s_cselect_b32 s11, s17, s16
	s_cselect_b32 s10, s10, s3
	s_xor_b64 s[10:11], s[10:11], s[8:9]
	s_delay_alu instid0(SALU_CYCLE_1)
	s_sub_u32 s16, s10, s8
	s_load_b128 s[8:11], s[0:1], 0x44
	s_and_not1_b32 vcc_lo, exec_lo, s2
	s_cbranch_vccnz .LBB70_3
.LBB70_2:
	v_cvt_f32_u32_e32 v1, s20
	s_sub_i32 s3, 0, s20
	s_delay_alu instid0(VALU_DEP_1) | instskip(SKIP_2) | instid1(VALU_DEP_1)
	v_rcp_iflag_f32_e32 v1, v1
	s_waitcnt_depctr 0xfff
	v_mul_f32_e32 v1, 0x4f7ffffe, v1
	v_cvt_u32_f32_e32 v1, v1
	s_delay_alu instid0(VALU_DEP_1) | instskip(NEXT) | instid1(VALU_DEP_1)
	v_readfirstlane_b32 s2, v1
	s_mul_i32 s3, s3, s2
	s_delay_alu instid0(SALU_CYCLE_1) | instskip(NEXT) | instid1(SALU_CYCLE_1)
	s_mul_hi_u32 s3, s2, s3
	s_add_i32 s2, s2, s3
	s_delay_alu instid0(SALU_CYCLE_1) | instskip(NEXT) | instid1(SALU_CYCLE_1)
	s_mul_hi_u32 s2, s12, s2
	s_mul_i32 s3, s2, s20
	s_waitcnt lgkmcnt(0)
	s_add_i32 s11, s2, 1
	s_sub_i32 s3, s12, s3
	s_delay_alu instid0(SALU_CYCLE_1)
	s_sub_i32 s12, s3, s20
	s_cmp_ge_u32 s3, s20
	s_cselect_b32 s2, s11, s2
	s_cselect_b32 s3, s12, s3
	s_add_i32 s11, s2, 1
	s_cmp_ge_u32 s3, s20
	s_cselect_b32 s16, s11, s2
.LBB70_3:
	s_waitcnt lgkmcnt(0)
	s_add_i32 s11, s13, 1
	s_mov_b32 s2, 0
	s_mul_hi_i32 s3, s7, s11
	s_mul_i32 s11, s7, s11
	s_cmp_lg_u64 s[2:3], 0
	s_cbranch_scc0 .LBB70_22
; %bb.4:
	v_cvt_f32_ubyte0_e32 v1, 0
	v_cvt_f32_u32_e32 v2, s20
	s_sub_u32 s18, 0, s20
	s_subb_u32 s19, 0, 0
	s_delay_alu instid0(VALU_DEP_1) | instskip(NEXT) | instid1(VALU_DEP_1)
	v_fmamk_f32 v1, v1, 0x4f800000, v2
	v_rcp_f32_e32 v1, v1
	s_waitcnt_depctr 0xfff
	v_mul_f32_e32 v1, 0x5f7ffffc, v1
	s_delay_alu instid0(VALU_DEP_1) | instskip(NEXT) | instid1(VALU_DEP_1)
	v_mul_f32_e32 v2, 0x2f800000, v1
	v_trunc_f32_e32 v2, v2
	s_delay_alu instid0(VALU_DEP_1) | instskip(SKIP_1) | instid1(VALU_DEP_2)
	v_fmamk_f32 v1, v2, 0xcf800000, v1
	v_cvt_u32_f32_e32 v2, v2
	v_cvt_u32_f32_e32 v1, v1
	s_delay_alu instid0(VALU_DEP_2) | instskip(NEXT) | instid1(VALU_DEP_2)
	v_readfirstlane_b32 s12, v2
	v_readfirstlane_b32 s17, v1
	s_delay_alu instid0(VALU_DEP_2) | instskip(NEXT) | instid1(VALU_DEP_1)
	s_mul_i32 s21, s18, s12
	s_mul_hi_u32 s23, s18, s17
	s_mul_i32 s22, s19, s17
	s_add_i32 s21, s23, s21
	s_mul_i32 s24, s18, s17
	s_add_i32 s21, s21, s22
	s_mul_hi_u32 s23, s17, s24
	s_mul_hi_u32 s25, s12, s24
	s_mul_i32 s22, s12, s24
	s_mul_hi_u32 s24, s17, s21
	s_mul_i32 s17, s17, s21
	s_mul_hi_u32 s26, s12, s21
	s_add_u32 s17, s23, s17
	s_addc_u32 s23, 0, s24
	s_add_u32 s17, s17, s22
	s_mul_i32 s21, s12, s21
	s_addc_u32 s17, s23, s25
	s_addc_u32 s22, s26, 0
	s_add_u32 s17, s17, s21
	s_addc_u32 s21, 0, s22
	v_add_co_u32 v1, s17, v1, s17
	s_delay_alu instid0(VALU_DEP_1) | instskip(SKIP_1) | instid1(VALU_DEP_1)
	s_cmp_lg_u32 s17, 0
	s_addc_u32 s12, s12, s21
	v_readfirstlane_b32 s17, v1
	s_mul_i32 s21, s18, s12
	s_delay_alu instid0(VALU_DEP_1)
	s_mul_hi_u32 s22, s18, s17
	s_mul_i32 s19, s19, s17
	s_add_i32 s21, s22, s21
	s_mul_i32 s18, s18, s17
	s_add_i32 s21, s21, s19
	s_mul_hi_u32 s22, s12, s18
	s_mul_i32 s23, s12, s18
	s_mul_hi_u32 s18, s17, s18
	s_mul_hi_u32 s24, s17, s21
	s_mul_i32 s17, s17, s21
	s_mul_hi_u32 s19, s12, s21
	s_add_u32 s17, s18, s17
	s_addc_u32 s18, 0, s24
	s_add_u32 s17, s17, s23
	s_mul_i32 s21, s12, s21
	s_addc_u32 s17, s18, s22
	s_addc_u32 s18, s19, 0
	s_add_u32 s17, s17, s21
	s_addc_u32 s18, 0, s18
	v_add_co_u32 v1, s17, v1, s17
	s_delay_alu instid0(VALU_DEP_1) | instskip(SKIP_2) | instid1(SALU_CYCLE_1)
	s_cmp_lg_u32 s17, 0
	s_addc_u32 s12, s12, s18
	s_ashr_i32 s18, s3, 31
	s_add_u32 s22, s11, s18
	s_addc_u32 s23, s3, s18
	v_readfirstlane_b32 s3, v1
	s_mov_b32 s19, s18
	s_delay_alu instid0(SALU_CYCLE_1) | instskip(NEXT) | instid1(SALU_CYCLE_1)
	s_xor_b64 s[22:23], s[22:23], s[18:19]
	s_mul_i32 s21, s22, s12
	s_delay_alu instid0(VALU_DEP_1)
	s_mul_hi_u32 s24, s22, s3
	s_mul_hi_u32 s17, s22, s12
	;; [unrolled: 1-line block ×3, first 2 shown]
	s_mul_i32 s3, s23, s3
	s_add_u32 s21, s24, s21
	s_addc_u32 s17, 0, s17
	s_mul_hi_u32 s25, s23, s12
	s_add_u32 s3, s21, s3
	s_mul_i32 s12, s23, s12
	s_addc_u32 s3, s17, s26
	s_addc_u32 s17, s25, 0
	s_add_u32 s3, s3, s12
	s_addc_u32 s12, 0, s17
	s_mul_i32 s21, s20, s3
	s_add_u32 s17, s3, 1
	v_sub_co_u32 v1, s21, s22, s21
	s_mul_hi_u32 s22, s20, s3
	s_addc_u32 s24, s12, 0
	s_mul_i32 s25, s20, s12
	s_delay_alu instid0(VALU_DEP_1)
	v_sub_co_u32 v2, s26, v1, s20
	s_add_u32 s27, s3, 2
	s_addc_u32 s28, s12, 0
	s_add_i32 s22, s22, s25
	s_cmp_lg_u32 s21, 0
	v_readfirstlane_b32 s21, v2
	s_subb_u32 s22, s23, s22
	s_cmp_lg_u32 s26, 0
	s_subb_u32 s23, s22, 0
	s_delay_alu instid0(VALU_DEP_1) | instskip(SKIP_4) | instid1(SALU_CYCLE_1)
	s_cmp_ge_u32 s21, s20
	s_cselect_b32 s21, -1, 0
	s_cmp_eq_u32 s23, 0
	v_readfirstlane_b32 s23, v1
	s_cselect_b32 s21, s21, -1
	s_cmp_lg_u32 s21, 0
	s_cselect_b32 s17, s27, s17
	s_cselect_b32 s21, s28, s24
	s_cmp_ge_u32 s23, s20
	s_cselect_b32 s23, -1, 0
	s_cmp_eq_u32 s22, 0
	s_cselect_b32 s22, s23, -1
	s_delay_alu instid0(SALU_CYCLE_1) | instskip(SKIP_2) | instid1(SALU_CYCLE_1)
	s_cmp_lg_u32 s22, 0
	s_cselect_b32 s23, s21, s12
	s_cselect_b32 s22, s17, s3
	s_xor_b64 s[22:23], s[22:23], s[18:19]
	s_delay_alu instid0(SALU_CYCLE_1)
	s_sub_u32 s18, s22, s18
	s_and_not1_b32 vcc_lo, exec_lo, s2
	s_cbranch_vccnz .LBB70_6
.LBB70_5:
	v_cvt_f32_u32_e32 v1, s20
	s_sub_i32 s3, 0, s20
	s_delay_alu instid0(VALU_DEP_1) | instskip(SKIP_2) | instid1(VALU_DEP_1)
	v_rcp_iflag_f32_e32 v1, v1
	s_waitcnt_depctr 0xfff
	v_mul_f32_e32 v1, 0x4f7ffffe, v1
	v_cvt_u32_f32_e32 v1, v1
	s_delay_alu instid0(VALU_DEP_1) | instskip(NEXT) | instid1(VALU_DEP_1)
	v_readfirstlane_b32 s2, v1
	s_mul_i32 s3, s3, s2
	s_delay_alu instid0(SALU_CYCLE_1) | instskip(NEXT) | instid1(SALU_CYCLE_1)
	s_mul_hi_u32 s3, s2, s3
	s_add_i32 s2, s2, s3
	s_delay_alu instid0(SALU_CYCLE_1) | instskip(NEXT) | instid1(SALU_CYCLE_1)
	s_mul_hi_u32 s2, s11, s2
	s_mul_i32 s3, s2, s20
	s_delay_alu instid0(SALU_CYCLE_1)
	s_sub_i32 s3, s11, s3
	s_add_i32 s11, s2, 1
	s_sub_i32 s12, s3, s20
	s_cmp_ge_u32 s3, s20
	s_cselect_b32 s2, s11, s2
	s_cselect_b32 s3, s12, s3
	s_add_i32 s11, s2, 1
	s_cmp_ge_u32 s3, s20
	s_cselect_b32 s18, s11, s2
.LBB70_6:
	s_delay_alu instid0(SALU_CYCLE_1) | instskip(SKIP_3) | instid1(SALU_CYCLE_1)
	s_cmp_eq_u32 s16, s18
	s_mul_hi_u32 s2, s16, s8
	s_cselect_b32 s3, -1, 0
	s_add_i32 s2, s2, s16
	s_lshr_b32 s11, s2, s9
	s_delay_alu instid0(SALU_CYCLE_1) | instskip(NEXT) | instid1(SALU_CYCLE_1)
	s_mul_i32 s2, s11, s10
	s_cmp_eq_u32 s2, s16
	s_mul_hi_u32 s2, s18, s8
	s_cselect_b32 s12, -1, 0
	s_add_i32 s2, s2, s18
	s_delay_alu instid0(SALU_CYCLE_1) | instskip(NEXT) | instid1(SALU_CYCLE_1)
	s_lshr_b32 s2, s2, s9
	s_cmp_eq_u32 s11, s2
	s_mul_i32 s2, s2, s10
	s_cselect_b32 s17, -1, 0
	s_cmp_lg_u32 s2, s18
	s_cselect_b32 s2, -1, 0
	s_or_b32 s3, s3, s12
	s_and_b32 s2, s17, s2
	s_delay_alu instid0(SALU_CYCLE_1) | instskip(NEXT) | instid1(SALU_CYCLE_1)
	s_or_b32 s2, s3, s2
	s_and_b32 vcc_lo, exec_lo, s2
	s_cbranch_vccnz .LBB70_24
; %bb.7:
	s_load_b256 s[24:31], s[0:1], 0x20
	s_waitcnt lgkmcnt(0)
	s_mul_hi_u32 s2, s16, s24
	s_delay_alu instid0(SALU_CYCLE_1) | instskip(NEXT) | instid1(SALU_CYCLE_1)
	s_add_i32 s2, s2, s16
	s_lshr_b32 s17, s2, s25
	s_load_b32 s2, s[0:1], 0x40
	s_mul_i32 s3, s17, s26
	s_delay_alu instid0(SALU_CYCLE_1) | instskip(NEXT) | instid1(SALU_CYCLE_1)
	s_sub_i32 s3, s16, s3
	s_mul_hi_u32 s12, s3, s27
	s_delay_alu instid0(SALU_CYCLE_1) | instskip(NEXT) | instid1(SALU_CYCLE_1)
	s_add_i32 s12, s3, s12
	s_lshr_b32 s19, s12, s28
	s_delay_alu instid0(SALU_CYCLE_1) | instskip(NEXT) | instid1(SALU_CYCLE_1)
	s_mul_i32 s12, s19, s29
	s_sub_i32 s3, s3, s12
	s_delay_alu instid0(SALU_CYCLE_1) | instskip(NEXT) | instid1(SALU_CYCLE_1)
	s_mul_hi_u32 s12, s3, s30
	s_add_i32 s12, s3, s12
	s_delay_alu instid0(SALU_CYCLE_1) | instskip(SKIP_3) | instid1(SALU_CYCLE_1)
	s_lshr_b32 s21, s12, s31
	s_mov_b32 s12, 0
	s_waitcnt lgkmcnt(0)
	s_mul_i32 s2, s21, s2
	s_sub_i32 s2, s3, s2
	s_delay_alu instid0(SALU_CYCLE_1) | instskip(NEXT) | instid1(SALU_CYCLE_1)
	s_mul_hi_u32 s3, s2, s8
	s_add_i32 s2, s2, s3
	s_delay_alu instid0(SALU_CYCLE_1) | instskip(NEXT) | instid1(SALU_CYCLE_1)
	s_lshr_b32 s18, s2, s9
	s_lshl_b32 s2, s18, 1
	s_delay_alu instid0(SALU_CYCLE_1) | instskip(NEXT) | instid1(SALU_CYCLE_1)
	s_add_i32 s2, s2, s14
	s_cmp_lt_i32 s2, s4
	s_cselect_b32 s2, -1, 0
	s_add_i32 s21, s21, s15
	s_delay_alu instid0(SALU_CYCLE_1) | instskip(SKIP_1) | instid1(SALU_CYCLE_1)
	s_cmp_lt_i32 s21, s6
	s_cselect_b32 s3, -1, 0
	s_and_b32 s2, s2, s3
	s_delay_alu instid0(SALU_CYCLE_1)
	s_and_not1_b32 vcc_lo, exec_lo, s2
	s_cbranch_vccnz .LBB70_24
; %bb.8:
	s_load_b128 s[0:3], s[0:1], 0x0
	s_lshl_b32 s22, s20, 3
	s_mov_b32 s23, s12
	s_add_i32 s15, s14, s15
	s_lshl_b64 s[22:23], s[22:23], 2
	s_mul_i32 s4, s17, s4
	s_mul_i32 s19, s19, s6
	v_cvt_f32_ubyte0_e32 v3, 0
	v_cvt_f32_u32_e32 v4, s20
	s_waitcnt lgkmcnt(0)
	s_add_u32 s6, s2, s22
	s_addc_u32 s17, s3, s23
	s_add_i32 s4, s4, s14
	s_add_i32 s14, s21, s19
	s_mul_i32 s4, s4, s5
	s_mul_i32 s5, s5, s18
	s_add_i32 s4, s14, s4
	s_mulk_i32 s5, 0xa0
	s_mulk_i32 s4, 0x50
	s_delay_alu instid0(SALU_CYCLE_1) | instskip(NEXT) | instid1(VALU_DEP_1)
	v_add3_u32 v1, s5, s4, v0
	v_ashrrev_i32_e32 v2, 31, v1
	s_delay_alu instid0(VALU_DEP_1) | instskip(NEXT) | instid1(VALU_DEP_1)
	v_lshlrev_b64 v[1:2], 2, v[1:2]
	v_add_co_u32 v1, vcc_lo, s0, v1
	s_delay_alu instid0(VALU_DEP_2) | instskip(SKIP_1) | instid1(SALU_CYCLE_1)
	v_add_co_ci_u32_e32 v2, vcc_lo, s1, v2, vcc_lo
	s_lshl_b32 s0, s13, 1
	s_add_i32 s0, s0, s15
	global_load_b32 v5, v[1:2], off
	s_ashr_i32 s1, s0, 31
	s_delay_alu instid0(SALU_CYCLE_1) | instskip(NEXT) | instid1(SALU_CYCLE_1)
	s_lshl_b64 s[0:1], s[0:1], 3
	s_add_u32 s0, s2, s0
	s_addc_u32 s1, s3, s1
	s_add_i32 s18, s13, -1
	s_load_b64 s[0:1], s[0:1], 0x0
	v_fmac_f32_e32 v4, 0x4f800000, v3
	s_sub_i32 s14, 0, s20
	s_delay_alu instid0(VALU_DEP_1)
	v_rcp_f32_e32 v3, v4
	s_waitcnt_depctr 0xfff
	v_mul_f32_e32 v6, 0x5f7ffffc, v3
	v_cvt_f32_u32_e32 v3, s20
	s_waitcnt lgkmcnt(0)
	v_mov_b32_e32 v8, s0
	s_delay_alu instid0(VALU_DEP_3) | instskip(NEXT) | instid1(VALU_DEP_3)
	v_mul_f32_e32 v4, 0x2f800000, v6
	v_rcp_iflag_f32_e32 v7, v3
	s_delay_alu instid0(VALU_DEP_1) | instskip(SKIP_1) | instid1(VALU_DEP_2)
	v_trunc_f32_e32 v9, v4
	v_mad_u64_u32 v[3:4], null, 0x50, s15, v[0:1]
	v_fmac_f32_e32 v6, 0xcf800000, v9
	s_waitcnt_depctr 0xfff
	v_dual_mul_f32 v10, 0x4f7ffffe, v7 :: v_dual_mov_b32 v7, s1
	v_cvt_u32_f32_e32 v4, v9
	v_cvt_u32_f32_e32 v0, v6
	s_delay_alu instid0(VALU_DEP_3)
	v_cvt_u32_f32_e32 v6, v10
.LBB70_9:                               ; =>This Inner Loop Header: Depth=1
	s_mul_hi_i32 s13, s18, s7
	s_mul_i32 s4, s18, s7
	s_cmp_lg_u64 s[12:13], 0
	s_mov_b32 s5, -1
                                        ; implicit-def: $sgpr0_sgpr1
	s_cbranch_scc0 .LBB70_11
; %bb.10:                               ;   in Loop: Header=BB70_9 Depth=1
	v_readfirstlane_b32 s0, v0
	v_readfirstlane_b32 s1, v4
	s_sub_u32 s5, 0, s20
	s_subb_u32 s19, 0, 0
	s_delay_alu instid0(VALU_DEP_2) | instskip(NEXT) | instid1(VALU_DEP_1)
	s_mul_hi_u32 s21, s5, s0
	s_mul_i32 s22, s5, s1
	s_mul_i32 s23, s19, s0
	s_add_i32 s21, s21, s22
	s_mul_i32 s22, s5, s0
	s_add_i32 s21, s21, s23
	s_mul_hi_u32 s23, s0, s22
	s_mul_i32 s24, s0, s21
	s_mul_hi_u32 s0, s0, s21
	s_add_u32 s23, s23, s24
	s_mul_i32 s25, s1, s22
	s_addc_u32 s0, 0, s0
	s_mul_hi_u32 s22, s1, s22
	s_mul_hi_u32 s24, s1, s21
	s_add_u32 s23, s23, s25
	s_addc_u32 s0, s0, s22
	s_mul_i32 s21, s1, s21
	s_addc_u32 s22, s24, 0
	s_add_u32 s0, s0, s21
	s_addc_u32 s21, 0, s22
	v_add_co_u32 v9, s0, v0, s0
	s_delay_alu instid0(VALU_DEP_1) | instskip(SKIP_1) | instid1(VALU_DEP_1)
	s_cmp_lg_u32 s0, 0
	s_addc_u32 s1, s1, s21
	v_readfirstlane_b32 s0, v9
	s_mul_i32 s21, s5, s1
	s_delay_alu instid0(VALU_DEP_1)
	s_mul_hi_u32 s22, s5, s0
	s_mul_i32 s19, s19, s0
	s_add_i32 s21, s22, s21
	s_mul_i32 s5, s5, s0
	s_add_i32 s21, s21, s19
	s_mul_hi_u32 s19, s1, s5
	s_mul_i32 s23, s1, s5
	s_mul_i32 s24, s0, s21
	s_mul_hi_u32 s5, s0, s5
	s_mul_hi_u32 s0, s0, s21
	s_add_u32 s5, s5, s24
	s_addc_u32 s0, 0, s0
	s_mul_hi_u32 s22, s1, s21
	s_add_u32 s5, s5, s23
	s_addc_u32 s0, s0, s19
	s_mul_i32 s5, s1, s21
	s_addc_u32 s19, s22, 0
	s_add_u32 s0, s0, s5
	s_addc_u32 s5, 0, s19
	v_add_co_u32 v9, s0, v9, s0
	s_delay_alu instid0(VALU_DEP_1) | instskip(SKIP_2) | instid1(SALU_CYCLE_1)
	s_cmp_lg_u32 s0, 0
	s_addc_u32 s5, s1, s5
	s_ashr_i32 s0, s13, 31
	s_add_u32 s22, s4, s0
	s_addc_u32 s23, s13, s0
	v_readfirstlane_b32 s13, v9
	s_mov_b32 s1, s0
	s_delay_alu instid0(SALU_CYCLE_1) | instskip(NEXT) | instid1(SALU_CYCLE_1)
	s_xor_b64 s[22:23], s[22:23], s[0:1]
	s_mul_i32 s19, s22, s5
	s_delay_alu instid0(VALU_DEP_1)
	s_mul_hi_u32 s21, s22, s13
	s_mul_hi_u32 s24, s22, s5
	s_add_u32 s19, s21, s19
	s_mul_i32 s25, s23, s13
	s_addc_u32 s21, 0, s24
	s_mul_hi_u32 s13, s23, s13
	s_mul_hi_u32 s24, s23, s5
	s_add_u32 s19, s19, s25
	s_addc_u32 s13, s21, s13
	s_mul_i32 s5, s23, s5
	s_addc_u32 s19, s24, 0
	s_add_u32 s5, s13, s5
	s_addc_u32 s13, 0, s19
	s_mul_i32 s21, s20, s5
	s_add_u32 s19, s5, 1
	v_sub_co_u32 v9, s21, s22, s21
	s_addc_u32 s22, s13, 0
	s_mul_i32 s25, s20, s13
	s_mul_hi_u32 s27, s20, s5
	s_delay_alu instid0(VALU_DEP_1)
	v_sub_co_u32 v10, s26, v9, s20
	s_add_u32 s24, s5, 2
	s_addc_u32 s28, s13, 0
	s_add_i32 s27, s27, s25
	s_cmp_lg_u32 s21, 0
	v_readfirstlane_b32 s21, v10
	s_subb_u32 s23, s23, s27
	s_cmp_lg_u32 s26, 0
	s_subb_u32 s25, s23, 0
	s_delay_alu instid0(VALU_DEP_1) | instskip(SKIP_4) | instid1(SALU_CYCLE_1)
	s_cmp_ge_u32 s21, s20
	s_cselect_b32 s21, -1, 0
	s_cmp_eq_u32 s25, 0
	v_readfirstlane_b32 s25, v9
	s_cselect_b32 s21, s21, -1
	s_cmp_lg_u32 s21, 0
	s_cselect_b32 s19, s24, s19
	s_cselect_b32 s21, s28, s22
	s_cmp_ge_u32 s25, s20
	s_cselect_b32 s22, -1, 0
	s_cmp_eq_u32 s23, 0
	s_cselect_b32 s22, s22, -1
	s_delay_alu instid0(SALU_CYCLE_1) | instskip(SKIP_4) | instid1(SALU_CYCLE_1)
	s_cmp_lg_u32 s22, 0
	s_cselect_b32 s23, s21, s13
	s_cselect_b32 s22, s19, s5
	s_mov_b32 s5, 0
	s_xor_b64 s[22:23], s[22:23], s[0:1]
	s_sub_u32 s0, s22, s0
.LBB70_11:                              ;   in Loop: Header=BB70_9 Depth=1
	s_and_not1_b32 vcc_lo, exec_lo, s5
	s_cbranch_vccnz .LBB70_13
; %bb.12:                               ;   in Loop: Header=BB70_9 Depth=1
	v_readfirstlane_b32 s0, v6
	s_delay_alu instid0(VALU_DEP_1) | instskip(NEXT) | instid1(SALU_CYCLE_1)
	s_mul_i32 s1, s14, s0
	s_mul_hi_u32 s1, s0, s1
	s_delay_alu instid0(SALU_CYCLE_1) | instskip(NEXT) | instid1(SALU_CYCLE_1)
	s_add_i32 s0, s0, s1
	s_mul_hi_u32 s0, s4, s0
	s_delay_alu instid0(SALU_CYCLE_1) | instskip(NEXT) | instid1(SALU_CYCLE_1)
	s_mul_i32 s1, s0, s20
	s_sub_i32 s1, s4, s1
	s_add_i32 s4, s0, 1
	s_sub_i32 s5, s1, s20
	s_cmp_ge_u32 s1, s20
	s_cselect_b32 s0, s4, s0
	s_cselect_b32 s1, s5, s1
	s_add_i32 s4, s0, 1
	s_cmp_ge_u32 s1, s20
	s_cselect_b32 s0, s4, s0
.LBB70_13:                              ;   in Loop: Header=BB70_9 Depth=1
	s_delay_alu instid0(SALU_CYCLE_1)
	s_cmp_lg_u32 s16, s0
	s_cbranch_scc0 .LBB70_17
; %bb.14:                               ;   in Loop: Header=BB70_9 Depth=1
	s_add_i32 s1, s18, s20
	s_mov_b32 s5, s12
	s_lshl_b32 s1, s1, 1
	s_mov_b32 s19, s16
	s_add_i32 s4, s1, s15
	s_mul_hi_u32 s1, s0, s8
	s_lshl_b64 s[4:5], s[4:5], 3
	s_delay_alu instid0(SALU_CYCLE_1) | instskip(SKIP_2) | instid1(SALU_CYCLE_1)
	s_add_u32 s4, s2, s4
	s_addc_u32 s5, s3, s5
	s_add_i32 s1, s1, s0
	s_lshr_b32 s1, s1, s9
	s_delay_alu instid0(SALU_CYCLE_1) | instskip(NEXT) | instid1(SALU_CYCLE_1)
	s_mul_i32 s13, s1, s10
	s_cmp_eq_u32 s13, s0
	s_cselect_b32 s13, -1, 0
	s_cmp_lt_u32 s1, s11
	s_cselect_b32 s1, -1, 0
	s_delay_alu instid0(SALU_CYCLE_1)
	s_or_b32 s1, s1, s13
	s_mov_b32 s13, -1
	s_and_b32 vcc_lo, exec_lo, s1
	s_mov_b32 s1, s18
	s_cbranch_vccnz .LBB70_16
; %bb.15:                               ;   in Loop: Header=BB70_9 Depth=1
	s_add_i32 s1, s18, -1
	s_mov_b32 s13, 0
	s_mov_b32 s19, s0
.LBB70_16:                              ;   in Loop: Header=BB70_9 Depth=1
	v_mad_u64_u32 v[9:10], null, 0xa0, s18, v[3:4]
	s_load_b64 s[4:5], s[4:5], 0x0
	s_delay_alu instid0(VALU_DEP_1) | instskip(NEXT) | instid1(VALU_DEP_1)
	v_ashrrev_i32_e32 v10, 31, v9
	v_lshlrev_b64 v[9:10], 2, v[9:10]
	s_delay_alu instid0(VALU_DEP_1) | instskip(NEXT) | instid1(VALU_DEP_2)
	v_add_co_u32 v9, vcc_lo, s6, v9
	v_add_co_ci_u32_e32 v10, vcc_lo, s17, v10, vcc_lo
	s_waitcnt lgkmcnt(0)
	v_max_f32_e64 v11, s4, s4
	global_load_b32 v10, v[9:10], off
	v_max_f32_e32 v9, v8, v8
	s_delay_alu instid0(VALU_DEP_1) | instskip(NEXT) | instid1(VALU_DEP_1)
	v_max_f32_e32 v9, v9, v11
	v_sub_f32_e32 v12, v8, v9
	s_delay_alu instid0(VALU_DEP_1) | instskip(NEXT) | instid1(VALU_DEP_1)
	v_dual_mul_f32 v14, 0x3fb8aa3b, v12 :: v_dual_sub_f32 v11, s4, v9
	v_rndne_f32_e32 v18, v14
	s_delay_alu instid0(VALU_DEP_2) | instskip(SKIP_2) | instid1(VALU_DEP_4)
	v_mul_f32_e32 v13, 0x3fb8aa3b, v11
	v_fma_f32 v17, 0x3fb8aa3b, v12, -v14
	v_cmp_ngt_f32_e32 vcc_lo, 0xc2ce8ed0, v11
	v_sub_f32_e32 v14, v14, v18
	s_delay_alu instid0(VALU_DEP_4) | instskip(SKIP_2) | instid1(VALU_DEP_3)
	v_fma_f32 v15, 0x3fb8aa3b, v11, -v13
	v_rndne_f32_e32 v16, v13
	v_fmac_f32_e32 v17, 0x32a5705f, v12
	v_fmac_f32_e32 v15, 0x32a5705f, v11
	s_delay_alu instid0(VALU_DEP_2) | instskip(NEXT) | instid1(VALU_DEP_1)
	v_dual_sub_f32 v13, v13, v16 :: v_dual_add_f32 v14, v14, v17
	v_add_f32_e32 v13, v13, v15
	s_delay_alu instid0(VALU_DEP_2) | instskip(SKIP_2) | instid1(VALU_DEP_3)
	v_exp_f32_e32 v14, v14
	v_cvt_i32_f32_e32 v15, v16
	v_cvt_i32_f32_e32 v16, v18
	v_exp_f32_e32 v13, v13
	s_waitcnt_depctr 0xfff
	v_ldexp_f32 v14, v14, v16
	v_ldexp_f32 v13, v13, v15
	s_delay_alu instid0(VALU_DEP_1) | instskip(SKIP_1) | instid1(VALU_DEP_4)
	v_cndmask_b32_e32 v13, 0, v13, vcc_lo
	v_cmp_ngt_f32_e32 vcc_lo, 0xc2ce8ed0, v12
	v_cndmask_b32_e32 v14, 0, v14, vcc_lo
	v_cmp_nlt_f32_e32 vcc_lo, 0x42b17218, v11
	s_delay_alu instid0(VALU_DEP_4) | instskip(SKIP_1) | instid1(VALU_DEP_4)
	v_cndmask_b32_e32 v13, 0x7f800000, v13, vcc_lo
	v_cmp_nlt_f32_e32 vcc_lo, 0x42b17218, v12
	v_cndmask_b32_e32 v14, 0x7f800000, v14, vcc_lo
	v_cmp_le_f32_e32 vcc_lo, 0xc1a00000, v11
	s_delay_alu instid0(VALU_DEP_4) | instskip(SKIP_1) | instid1(VALU_DEP_4)
	v_cndmask_b32_e32 v11, 0, v13, vcc_lo
	v_cmp_le_f32_e32 vcc_lo, 0xc1a00000, v12
	v_cndmask_b32_e32 v12, 0, v14, vcc_lo
	s_waitcnt vmcnt(0)
	s_delay_alu instid0(VALU_DEP_3) | instskip(NEXT) | instid1(VALU_DEP_1)
	v_mul_f32_e32 v10, v10, v11
	v_dual_mul_f32 v11, s5, v11 :: v_dual_fmac_f32 v10, v5, v12
	s_delay_alu instid0(VALU_DEP_1)
	v_fmac_f32_e32 v11, v7, v12
	s_cbranch_execz .LBB70_18
	s_branch .LBB70_19
.LBB70_17:                              ;   in Loop: Header=BB70_9 Depth=1
                                        ; implicit-def: $sgpr13
                                        ; implicit-def: $vgpr10
                                        ; implicit-def: $vgpr9
                                        ; implicit-def: $vgpr11
                                        ; implicit-def: $sgpr1
                                        ; implicit-def: $sgpr19
.LBB70_18:                              ;   in Loop: Header=BB70_9 Depth=1
	s_waitcnt vmcnt(0)
	v_dual_mov_b32 v11, v7 :: v_dual_mov_b32 v10, v5
	v_mov_b32_e32 v9, v8
	s_add_i32 s1, s18, -1
	s_mov_b32 s13, 0
	s_mov_b32 s19, s16
.LBB70_19:                              ;   in Loop: Header=BB70_9 Depth=1
	s_and_not1_b32 vcc_lo, exec_lo, s13
	s_cbranch_vccz .LBB70_23
; %bb.20:                               ;   in Loop: Header=BB70_9 Depth=1
	v_dual_mov_b32 v7, v11 :: v_dual_mov_b32 v8, v9
	s_waitcnt vmcnt(0)
	v_mov_b32_e32 v5, v10
	s_mov_b32 s16, s19
	s_mov_b32 s18, s1
	s_branch .LBB70_9
.LBB70_21:
                                        ; implicit-def: $sgpr16_sgpr17
	s_load_b128 s[8:11], s[0:1], 0x44
	s_branch .LBB70_2
.LBB70_22:
                                        ; implicit-def: $sgpr18_sgpr19
	s_branch .LBB70_5
.LBB70_23:
	v_div_scale_f32 v0, null, v11, v11, v10
	s_delay_alu instid0(VALU_DEP_1) | instskip(SKIP_2) | instid1(VALU_DEP_1)
	v_rcp_f32_e32 v3, v0
	s_waitcnt_depctr 0xfff
	v_fma_f32 v4, -v0, v3, 1.0
	v_fmac_f32_e32 v3, v4, v3
	v_div_scale_f32 v4, vcc_lo, v10, v11, v10
	s_waitcnt vmcnt(0)
	s_delay_alu instid0(VALU_DEP_1) | instskip(NEXT) | instid1(VALU_DEP_1)
	v_mul_f32_e32 v5, v4, v3
	v_fma_f32 v6, -v0, v5, v4
	s_delay_alu instid0(VALU_DEP_1) | instskip(NEXT) | instid1(VALU_DEP_1)
	v_fmac_f32_e32 v5, v6, v3
	v_fma_f32 v0, -v0, v5, v4
	s_delay_alu instid0(VALU_DEP_1) | instskip(NEXT) | instid1(VALU_DEP_1)
	v_div_fmas_f32 v0, v0, v3, v5
	v_div_fixup_f32 v0, v0, v11, v10
	global_store_b32 v[1:2], v0, off
.LBB70_24:
	s_nop 0
	s_sendmsg sendmsg(MSG_DEALLOC_VGPRS)
	s_endpgm
	.section	.rodata,"a",@progbits
	.p2align	6, 0x0
	.amdhsa_kernel _ZL33flash_attn_stream_k_fixup_generalILi80ELi2ELi1EEvPfPK15HIP_vector_typeIfLj2EEiiiiS1_IjLj3EES5_S5_S5_
		.amdhsa_group_segment_fixed_size 0
		.amdhsa_private_segment_fixed_size 0
		.amdhsa_kernarg_size 336
		.amdhsa_user_sgpr_count 13
		.amdhsa_user_sgpr_dispatch_ptr 0
		.amdhsa_user_sgpr_queue_ptr 0
		.amdhsa_user_sgpr_kernarg_segment_ptr 1
		.amdhsa_user_sgpr_dispatch_id 0
		.amdhsa_user_sgpr_private_segment_size 0
		.amdhsa_wavefront_size32 1
		.amdhsa_uses_dynamic_stack 0
		.amdhsa_enable_private_segment 0
		.amdhsa_system_sgpr_workgroup_id_x 1
		.amdhsa_system_sgpr_workgroup_id_y 1
		.amdhsa_system_sgpr_workgroup_id_z 1
		.amdhsa_system_sgpr_workgroup_info 0
		.amdhsa_system_vgpr_workitem_id 0
		.amdhsa_next_free_vgpr 19
		.amdhsa_next_free_sgpr 32
		.amdhsa_reserve_vcc 1
		.amdhsa_float_round_mode_32 0
		.amdhsa_float_round_mode_16_64 0
		.amdhsa_float_denorm_mode_32 3
		.amdhsa_float_denorm_mode_16_64 3
		.amdhsa_dx10_clamp 1
		.amdhsa_ieee_mode 1
		.amdhsa_fp16_overflow 0
		.amdhsa_workgroup_processor_mode 1
		.amdhsa_memory_ordered 1
		.amdhsa_forward_progress 0
		.amdhsa_shared_vgpr_count 0
		.amdhsa_exception_fp_ieee_invalid_op 0
		.amdhsa_exception_fp_denorm_src 0
		.amdhsa_exception_fp_ieee_div_zero 0
		.amdhsa_exception_fp_ieee_overflow 0
		.amdhsa_exception_fp_ieee_underflow 0
		.amdhsa_exception_fp_ieee_inexact 0
		.amdhsa_exception_int_div_zero 0
	.end_amdhsa_kernel
	.section	.text._ZL33flash_attn_stream_k_fixup_generalILi80ELi2ELi1EEvPfPK15HIP_vector_typeIfLj2EEiiiiS1_IjLj3EES5_S5_S5_,"axG",@progbits,_ZL33flash_attn_stream_k_fixup_generalILi80ELi2ELi1EEvPfPK15HIP_vector_typeIfLj2EEiiiiS1_IjLj3EES5_S5_S5_,comdat
.Lfunc_end70:
	.size	_ZL33flash_attn_stream_k_fixup_generalILi80ELi2ELi1EEvPfPK15HIP_vector_typeIfLj2EEiiiiS1_IjLj3EES5_S5_S5_, .Lfunc_end70-_ZL33flash_attn_stream_k_fixup_generalILi80ELi2ELi1EEvPfPK15HIP_vector_typeIfLj2EEiiiiS1_IjLj3EES5_S5_S5_
                                        ; -- End function
	.section	.AMDGPU.csdata,"",@progbits
; Kernel info:
; codeLenInByte = 3220
; NumSgprs: 34
; NumVgprs: 19
; ScratchSize: 0
; MemoryBound: 0
; FloatMode: 240
; IeeeMode: 1
; LDSByteSize: 0 bytes/workgroup (compile time only)
; SGPRBlocks: 4
; VGPRBlocks: 2
; NumSGPRsForWavesPerEU: 34
; NumVGPRsForWavesPerEU: 19
; Occupancy: 16
; WaveLimiterHint : 0
; COMPUTE_PGM_RSRC2:SCRATCH_EN: 0
; COMPUTE_PGM_RSRC2:USER_SGPR: 13
; COMPUTE_PGM_RSRC2:TRAP_HANDLER: 0
; COMPUTE_PGM_RSRC2:TGID_X_EN: 1
; COMPUTE_PGM_RSRC2:TGID_Y_EN: 1
; COMPUTE_PGM_RSRC2:TGID_Z_EN: 1
; COMPUTE_PGM_RSRC2:TIDIG_COMP_CNT: 0
	.text
	.p2align	2                               ; -- Begin function __ockl_printf_append_string_n
	.type	__ockl_printf_append_string_n,@function
__ockl_printf_append_string_n:          ; @__ockl_printf_append_string_n
; %bb.0:
	s_waitcnt vmcnt(0) expcnt(0) lgkmcnt(0)
	v_dual_mov_b32 v7, v3 :: v_dual_mov_b32 v6, v2
	v_mov_b32_e32 v3, v0
	v_mbcnt_lo_u32_b32 v32, -1, 0
	s_mov_b32 s0, exec_lo
	s_delay_alu instid0(VALU_DEP_3)
	v_cmpx_ne_u64_e32 0, v[6:7]
	s_xor_b32 s10, exec_lo, s0
	s_cbranch_execz .LBB71_86
; %bb.1:
	s_load_b64 s[2:3], s[8:9], 0x50
	v_dual_mov_b32 v10, 2 :: v_dual_and_b32 v33, 2, v3
	v_dual_mov_b32 v9, 0 :: v_dual_and_b32 v0, -3, v3
	v_mov_b32_e32 v11, 1
	s_mov_b32 s12, 0
	s_mov_b32 s11, 0
	s_branch .LBB71_3
.LBB71_2:                               ;   in Loop: Header=BB71_3 Depth=1
	s_or_b32 exec_lo, exec_lo, s1
	v_sub_co_u32 v4, vcc_lo, v4, v28
	v_sub_co_ci_u32_e32 v5, vcc_lo, v5, v29, vcc_lo
	v_add_co_u32 v6, s0, v6, v28
	s_delay_alu instid0(VALU_DEP_1) | instskip(NEXT) | instid1(VALU_DEP_3)
	v_add_co_ci_u32_e64 v7, s0, v7, v29, s0
	v_cmp_eq_u64_e32 vcc_lo, 0, v[4:5]
	s_or_b32 s11, vcc_lo, s11
	s_delay_alu instid0(SALU_CYCLE_1)
	s_and_not1_b32 exec_lo, exec_lo, s11
	s_cbranch_execz .LBB71_85
.LBB71_3:                               ; =>This Loop Header: Depth=1
                                        ;     Child Loop BB71_6 Depth 2
                                        ;     Child Loop BB71_14 Depth 2
	;; [unrolled: 1-line block ×11, first 2 shown]
	v_cmp_gt_u64_e32 vcc_lo, 56, v[4:5]
	s_mov_b32 s1, exec_lo
                                        ; implicit-def: $vgpr2_vgpr3
                                        ; implicit-def: $sgpr4
	v_dual_cndmask_b32 v29, 0, v5 :: v_dual_cndmask_b32 v28, 56, v4
	v_cmpx_gt_u64_e32 8, v[4:5]
	s_xor_b32 s1, exec_lo, s1
	s_cbranch_execz .LBB71_9
; %bb.4:                                ;   in Loop: Header=BB71_3 Depth=1
	s_waitcnt vmcnt(0)
	v_mov_b32_e32 v2, 0
	v_mov_b32_e32 v3, 0
	s_mov_b64 s[4:5], 0
	s_mov_b32 s6, exec_lo
	v_cmpx_ne_u64_e32 0, v[4:5]
	s_cbranch_execz .LBB71_8
; %bb.5:                                ;   in Loop: Header=BB71_3 Depth=1
	v_lshlrev_b64 v[12:13], 3, v[28:29]
	v_mov_b32_e32 v2, 0
	v_dual_mov_b32 v3, 0 :: v_dual_mov_b32 v14, v7
	v_mov_b32_e32 v13, v6
	s_mov_b32 s7, 0
	.p2align	6
.LBB71_6:                               ;   Parent Loop BB71_3 Depth=1
                                        ; =>  This Inner Loop Header: Depth=2
	flat_load_u8 v8, v[13:14]
	v_mov_b32_e32 v16, s12
	v_add_co_u32 v13, vcc_lo, v13, 1
	v_add_co_ci_u32_e32 v14, vcc_lo, 0, v14, vcc_lo
	s_waitcnt vmcnt(0) lgkmcnt(0)
	v_and_b32_e32 v15, 0xffff, v8
	s_delay_alu instid0(VALU_DEP_1) | instskip(SKIP_3) | instid1(VALU_DEP_2)
	v_lshlrev_b64 v[15:16], s4, v[15:16]
	s_add_u32 s4, s4, 8
	s_addc_u32 s5, s5, 0
	v_cmp_eq_u32_e64 s0, s4, v12
	v_or_b32_e32 v3, v16, v3
	s_delay_alu instid0(VALU_DEP_3) | instskip(NEXT) | instid1(VALU_DEP_3)
	v_or_b32_e32 v2, v15, v2
	s_or_b32 s7, s0, s7
	s_delay_alu instid0(SALU_CYCLE_1)
	s_and_not1_b32 exec_lo, exec_lo, s7
	s_cbranch_execnz .LBB71_6
; %bb.7:                                ;   in Loop: Header=BB71_3 Depth=1
	s_or_b32 exec_lo, exec_lo, s7
.LBB71_8:                               ;   in Loop: Header=BB71_3 Depth=1
	s_delay_alu instid0(SALU_CYCLE_1)
	s_or_b32 exec_lo, exec_lo, s6
	s_mov_b32 s4, 0
.LBB71_9:                               ;   in Loop: Header=BB71_3 Depth=1
	s_or_saveexec_b32 s0, s1
	v_dual_mov_b32 v8, s4 :: v_dual_mov_b32 v25, v7
	v_mov_b32_e32 v24, v6
	s_xor_b32 exec_lo, exec_lo, s0
	s_cbranch_execz .LBB71_11
; %bb.10:                               ;   in Loop: Header=BB71_3 Depth=1
	s_waitcnt vmcnt(0)
	flat_load_b64 v[2:3], v[6:7]
	v_add_co_u32 v24, vcc_lo, v6, 8
	v_add_co_ci_u32_e32 v25, vcc_lo, 0, v7, vcc_lo
	s_waitcnt vmcnt(0) lgkmcnt(0)
	v_and_b32_e32 v8, 0xff, v3
	v_and_b32_e32 v12, 0xff00, v3
	;; [unrolled: 1-line block ×4, first 2 shown]
	v_or3_b32 v2, v2, 0, 0
	s_delay_alu instid0(VALU_DEP_4) | instskip(SKIP_1) | instid1(VALU_DEP_2)
	v_or_b32_e32 v12, v8, v12
	v_add_nc_u32_e32 v8, -8, v28
	v_or3_b32 v3, v12, v13, v3
.LBB71_11:                              ;   in Loop: Header=BB71_3 Depth=1
	s_or_b32 exec_lo, exec_lo, s0
                                        ; implicit-def: $vgpr12_vgpr13
                                        ; implicit-def: $sgpr1
	s_delay_alu instid0(SALU_CYCLE_1) | instskip(NEXT) | instid1(VALU_DEP_2)
	s_mov_b32 s0, exec_lo
	v_cmpx_gt_u32_e32 8, v8
	s_xor_b32 s6, exec_lo, s0
	s_cbranch_execz .LBB71_17
; %bb.12:                               ;   in Loop: Header=BB71_3 Depth=1
	v_mov_b32_e32 v12, 0
	v_mov_b32_e32 v13, 0
	s_mov_b32 s7, exec_lo
	v_cmpx_ne_u32_e32 0, v8
	s_cbranch_execz .LBB71_16
; %bb.13:                               ;   in Loop: Header=BB71_3 Depth=1
	v_mov_b32_e32 v12, 0
	v_mov_b32_e32 v13, 0
	s_mov_b64 s[0:1], 0
	s_mov_b32 s13, 0
	s_mov_b64 s[4:5], 0
	.p2align	6
.LBB71_14:                              ;   Parent Loop BB71_3 Depth=1
                                        ; =>  This Inner Loop Header: Depth=2
	s_delay_alu instid0(SALU_CYCLE_1)
	v_add_co_u32 v14, vcc_lo, v24, s4
	v_add_co_ci_u32_e32 v15, vcc_lo, s5, v25, vcc_lo
	s_add_u32 s4, s4, 1
	s_addc_u32 s5, s5, 0
	v_cmp_eq_u32_e32 vcc_lo, s4, v8
	flat_load_u8 v14, v[14:15]
	s_waitcnt vmcnt(0) lgkmcnt(0)
	v_dual_mov_b32 v15, s12 :: v_dual_and_b32 v14, 0xffff, v14
	s_delay_alu instid0(VALU_DEP_1) | instskip(SKIP_3) | instid1(VALU_DEP_1)
	v_lshlrev_b64 v[14:15], s0, v[14:15]
	s_add_u32 s0, s0, 8
	s_addc_u32 s1, s1, 0
	s_or_b32 s13, vcc_lo, s13
	v_or_b32_e32 v13, v15, v13
	s_delay_alu instid0(VALU_DEP_2)
	v_or_b32_e32 v12, v14, v12
	s_and_not1_b32 exec_lo, exec_lo, s13
	s_cbranch_execnz .LBB71_14
; %bb.15:                               ;   in Loop: Header=BB71_3 Depth=1
	s_or_b32 exec_lo, exec_lo, s13
.LBB71_16:                              ;   in Loop: Header=BB71_3 Depth=1
	s_delay_alu instid0(SALU_CYCLE_1)
	s_or_b32 exec_lo, exec_lo, s7
	s_mov_b32 s1, 0
                                        ; implicit-def: $vgpr8
.LBB71_17:                              ;   in Loop: Header=BB71_3 Depth=1
	s_or_saveexec_b32 s0, s6
	v_mov_b32_e32 v16, s1
	s_xor_b32 exec_lo, exec_lo, s0
	s_cbranch_execz .LBB71_19
; %bb.18:                               ;   in Loop: Header=BB71_3 Depth=1
	flat_load_b64 v[12:13], v[24:25]
	v_add_co_u32 v24, vcc_lo, v24, 8
	v_add_nc_u32_e32 v16, -8, v8
	v_add_co_ci_u32_e32 v25, vcc_lo, 0, v25, vcc_lo
	s_waitcnt vmcnt(0) lgkmcnt(0)
	v_and_b32_e32 v14, 0xff, v13
	v_and_b32_e32 v15, 0xff00, v13
	;; [unrolled: 1-line block ×4, first 2 shown]
	v_or3_b32 v12, v12, 0, 0
	s_delay_alu instid0(VALU_DEP_4) | instskip(NEXT) | instid1(VALU_DEP_1)
	v_or_b32_e32 v14, v14, v15
	v_or3_b32 v13, v14, v17, v13
.LBB71_19:                              ;   in Loop: Header=BB71_3 Depth=1
	s_or_b32 exec_lo, exec_lo, s0
                                        ; implicit-def: $sgpr1
	s_delay_alu instid0(SALU_CYCLE_1)
	s_mov_b32 s0, exec_lo
	v_cmpx_gt_u32_e32 8, v16
	s_xor_b32 s6, exec_lo, s0
	s_cbranch_execz .LBB71_25
; %bb.20:                               ;   in Loop: Header=BB71_3 Depth=1
	v_mov_b32_e32 v14, 0
	v_mov_b32_e32 v15, 0
	s_mov_b32 s7, exec_lo
	v_cmpx_ne_u32_e32 0, v16
	s_cbranch_execz .LBB71_24
; %bb.21:                               ;   in Loop: Header=BB71_3 Depth=1
	v_mov_b32_e32 v14, 0
	v_mov_b32_e32 v15, 0
	s_mov_b64 s[0:1], 0
	s_mov_b32 s13, 0
	s_mov_b64 s[4:5], 0
	.p2align	6
.LBB71_22:                              ;   Parent Loop BB71_3 Depth=1
                                        ; =>  This Inner Loop Header: Depth=2
	s_delay_alu instid0(SALU_CYCLE_1)
	v_add_co_u32 v17, vcc_lo, v24, s4
	v_add_co_ci_u32_e32 v18, vcc_lo, s5, v25, vcc_lo
	s_add_u32 s4, s4, 1
	s_addc_u32 s5, s5, 0
	v_cmp_eq_u32_e32 vcc_lo, s4, v16
	flat_load_u8 v8, v[17:18]
	s_waitcnt vmcnt(0) lgkmcnt(0)
	v_dual_mov_b32 v18, s12 :: v_dual_and_b32 v17, 0xffff, v8
	s_delay_alu instid0(VALU_DEP_1) | instskip(SKIP_3) | instid1(VALU_DEP_1)
	v_lshlrev_b64 v[17:18], s0, v[17:18]
	s_add_u32 s0, s0, 8
	s_addc_u32 s1, s1, 0
	s_or_b32 s13, vcc_lo, s13
	v_or_b32_e32 v15, v18, v15
	s_delay_alu instid0(VALU_DEP_2)
	v_or_b32_e32 v14, v17, v14
	s_and_not1_b32 exec_lo, exec_lo, s13
	s_cbranch_execnz .LBB71_22
; %bb.23:                               ;   in Loop: Header=BB71_3 Depth=1
	s_or_b32 exec_lo, exec_lo, s13
.LBB71_24:                              ;   in Loop: Header=BB71_3 Depth=1
	s_delay_alu instid0(SALU_CYCLE_1)
	s_or_b32 exec_lo, exec_lo, s7
	s_mov_b32 s1, 0
                                        ; implicit-def: $vgpr16
.LBB71_25:                              ;   in Loop: Header=BB71_3 Depth=1
	s_or_saveexec_b32 s0, s6
	v_mov_b32_e32 v8, s1
	s_xor_b32 exec_lo, exec_lo, s0
	s_cbranch_execz .LBB71_27
; %bb.26:                               ;   in Loop: Header=BB71_3 Depth=1
	flat_load_b64 v[14:15], v[24:25]
	v_add_co_u32 v24, vcc_lo, v24, 8
	v_add_co_ci_u32_e32 v25, vcc_lo, 0, v25, vcc_lo
	s_waitcnt vmcnt(0) lgkmcnt(0)
	v_and_b32_e32 v8, 0xff, v15
	v_and_b32_e32 v17, 0xff00, v15
	;; [unrolled: 1-line block ×4, first 2 shown]
	v_or3_b32 v14, v14, 0, 0
	s_delay_alu instid0(VALU_DEP_4) | instskip(SKIP_1) | instid1(VALU_DEP_2)
	v_or_b32_e32 v17, v8, v17
	v_add_nc_u32_e32 v8, -8, v16
	v_or3_b32 v15, v17, v18, v15
.LBB71_27:                              ;   in Loop: Header=BB71_3 Depth=1
	s_or_b32 exec_lo, exec_lo, s0
                                        ; implicit-def: $vgpr16_vgpr17
                                        ; implicit-def: $sgpr1
	s_delay_alu instid0(SALU_CYCLE_1) | instskip(NEXT) | instid1(VALU_DEP_1)
	s_mov_b32 s0, exec_lo
	v_cmpx_gt_u32_e32 8, v8
	s_xor_b32 s6, exec_lo, s0
	s_cbranch_execz .LBB71_33
; %bb.28:                               ;   in Loop: Header=BB71_3 Depth=1
	v_mov_b32_e32 v16, 0
	v_mov_b32_e32 v17, 0
	s_mov_b32 s7, exec_lo
	v_cmpx_ne_u32_e32 0, v8
	s_cbranch_execz .LBB71_32
; %bb.29:                               ;   in Loop: Header=BB71_3 Depth=1
	v_mov_b32_e32 v16, 0
	v_mov_b32_e32 v17, 0
	s_mov_b64 s[0:1], 0
	s_mov_b32 s13, 0
	s_mov_b64 s[4:5], 0
	.p2align	6
.LBB71_30:                              ;   Parent Loop BB71_3 Depth=1
                                        ; =>  This Inner Loop Header: Depth=2
	s_delay_alu instid0(SALU_CYCLE_1)
	v_add_co_u32 v18, vcc_lo, v24, s4
	v_add_co_ci_u32_e32 v19, vcc_lo, s5, v25, vcc_lo
	s_add_u32 s4, s4, 1
	s_addc_u32 s5, s5, 0
	v_cmp_eq_u32_e32 vcc_lo, s4, v8
	flat_load_u8 v18, v[18:19]
	s_waitcnt vmcnt(0) lgkmcnt(0)
	v_dual_mov_b32 v19, s12 :: v_dual_and_b32 v18, 0xffff, v18
	s_delay_alu instid0(VALU_DEP_1) | instskip(SKIP_3) | instid1(VALU_DEP_1)
	v_lshlrev_b64 v[18:19], s0, v[18:19]
	s_add_u32 s0, s0, 8
	s_addc_u32 s1, s1, 0
	s_or_b32 s13, vcc_lo, s13
	v_or_b32_e32 v17, v19, v17
	s_delay_alu instid0(VALU_DEP_2)
	v_or_b32_e32 v16, v18, v16
	s_and_not1_b32 exec_lo, exec_lo, s13
	s_cbranch_execnz .LBB71_30
; %bb.31:                               ;   in Loop: Header=BB71_3 Depth=1
	s_or_b32 exec_lo, exec_lo, s13
.LBB71_32:                              ;   in Loop: Header=BB71_3 Depth=1
	s_delay_alu instid0(SALU_CYCLE_1)
	s_or_b32 exec_lo, exec_lo, s7
	s_mov_b32 s1, 0
                                        ; implicit-def: $vgpr8
.LBB71_33:                              ;   in Loop: Header=BB71_3 Depth=1
	s_or_saveexec_b32 s0, s6
	v_mov_b32_e32 v20, s1
	s_xor_b32 exec_lo, exec_lo, s0
	s_cbranch_execz .LBB71_35
; %bb.34:                               ;   in Loop: Header=BB71_3 Depth=1
	flat_load_b64 v[16:17], v[24:25]
	v_add_co_u32 v24, vcc_lo, v24, 8
	v_add_nc_u32_e32 v20, -8, v8
	v_add_co_ci_u32_e32 v25, vcc_lo, 0, v25, vcc_lo
	s_waitcnt vmcnt(0) lgkmcnt(0)
	v_and_b32_e32 v18, 0xff, v17
	v_and_b32_e32 v19, 0xff00, v17
	;; [unrolled: 1-line block ×4, first 2 shown]
	v_or3_b32 v16, v16, 0, 0
	s_delay_alu instid0(VALU_DEP_4) | instskip(NEXT) | instid1(VALU_DEP_1)
	v_or_b32_e32 v18, v18, v19
	v_or3_b32 v17, v18, v21, v17
.LBB71_35:                              ;   in Loop: Header=BB71_3 Depth=1
	s_or_b32 exec_lo, exec_lo, s0
                                        ; implicit-def: $sgpr1
	s_delay_alu instid0(SALU_CYCLE_1)
	s_mov_b32 s0, exec_lo
	v_cmpx_gt_u32_e32 8, v20
	s_xor_b32 s6, exec_lo, s0
	s_cbranch_execz .LBB71_41
; %bb.36:                               ;   in Loop: Header=BB71_3 Depth=1
	v_mov_b32_e32 v18, 0
	v_mov_b32_e32 v19, 0
	s_mov_b32 s7, exec_lo
	v_cmpx_ne_u32_e32 0, v20
	s_cbranch_execz .LBB71_40
; %bb.37:                               ;   in Loop: Header=BB71_3 Depth=1
	v_mov_b32_e32 v18, 0
	v_mov_b32_e32 v19, 0
	s_mov_b64 s[0:1], 0
	s_mov_b32 s13, 0
	s_mov_b64 s[4:5], 0
	.p2align	6
.LBB71_38:                              ;   Parent Loop BB71_3 Depth=1
                                        ; =>  This Inner Loop Header: Depth=2
	s_delay_alu instid0(SALU_CYCLE_1)
	v_add_co_u32 v21, vcc_lo, v24, s4
	v_add_co_ci_u32_e32 v22, vcc_lo, s5, v25, vcc_lo
	s_add_u32 s4, s4, 1
	s_addc_u32 s5, s5, 0
	v_cmp_eq_u32_e32 vcc_lo, s4, v20
	flat_load_u8 v8, v[21:22]
	s_waitcnt vmcnt(0) lgkmcnt(0)
	v_dual_mov_b32 v22, s12 :: v_dual_and_b32 v21, 0xffff, v8
	s_delay_alu instid0(VALU_DEP_1) | instskip(SKIP_3) | instid1(VALU_DEP_1)
	v_lshlrev_b64 v[21:22], s0, v[21:22]
	s_add_u32 s0, s0, 8
	s_addc_u32 s1, s1, 0
	s_or_b32 s13, vcc_lo, s13
	v_or_b32_e32 v19, v22, v19
	s_delay_alu instid0(VALU_DEP_2)
	v_or_b32_e32 v18, v21, v18
	s_and_not1_b32 exec_lo, exec_lo, s13
	s_cbranch_execnz .LBB71_38
; %bb.39:                               ;   in Loop: Header=BB71_3 Depth=1
	s_or_b32 exec_lo, exec_lo, s13
.LBB71_40:                              ;   in Loop: Header=BB71_3 Depth=1
	s_delay_alu instid0(SALU_CYCLE_1)
	s_or_b32 exec_lo, exec_lo, s7
	s_mov_b32 s1, 0
                                        ; implicit-def: $vgpr20
.LBB71_41:                              ;   in Loop: Header=BB71_3 Depth=1
	s_or_saveexec_b32 s0, s6
	v_mov_b32_e32 v8, s1
	s_xor_b32 exec_lo, exec_lo, s0
	s_cbranch_execz .LBB71_43
; %bb.42:                               ;   in Loop: Header=BB71_3 Depth=1
	flat_load_b64 v[18:19], v[24:25]
	v_add_co_u32 v24, vcc_lo, v24, 8
	v_add_co_ci_u32_e32 v25, vcc_lo, 0, v25, vcc_lo
	s_waitcnt vmcnt(0) lgkmcnt(0)
	v_and_b32_e32 v8, 0xff, v19
	v_and_b32_e32 v21, 0xff00, v19
	;; [unrolled: 1-line block ×4, first 2 shown]
	v_or3_b32 v18, v18, 0, 0
	s_delay_alu instid0(VALU_DEP_4) | instskip(SKIP_1) | instid1(VALU_DEP_2)
	v_or_b32_e32 v21, v8, v21
	v_add_nc_u32_e32 v8, -8, v20
	v_or3_b32 v19, v21, v22, v19
.LBB71_43:                              ;   in Loop: Header=BB71_3 Depth=1
	s_or_b32 exec_lo, exec_lo, s0
                                        ; implicit-def: $vgpr20_vgpr21
                                        ; implicit-def: $sgpr1
	s_delay_alu instid0(SALU_CYCLE_1) | instskip(NEXT) | instid1(VALU_DEP_1)
	s_mov_b32 s0, exec_lo
	v_cmpx_gt_u32_e32 8, v8
	s_xor_b32 s6, exec_lo, s0
	s_cbranch_execz .LBB71_49
; %bb.44:                               ;   in Loop: Header=BB71_3 Depth=1
	v_mov_b32_e32 v20, 0
	v_mov_b32_e32 v21, 0
	s_mov_b32 s7, exec_lo
	v_cmpx_ne_u32_e32 0, v8
	s_cbranch_execz .LBB71_48
; %bb.45:                               ;   in Loop: Header=BB71_3 Depth=1
	v_mov_b32_e32 v20, 0
	v_mov_b32_e32 v21, 0
	s_mov_b64 s[0:1], 0
	s_mov_b32 s13, 0
	s_mov_b64 s[4:5], 0
	.p2align	6
.LBB71_46:                              ;   Parent Loop BB71_3 Depth=1
                                        ; =>  This Inner Loop Header: Depth=2
	s_delay_alu instid0(SALU_CYCLE_1)
	v_add_co_u32 v22, vcc_lo, v24, s4
	v_add_co_ci_u32_e32 v23, vcc_lo, s5, v25, vcc_lo
	s_add_u32 s4, s4, 1
	s_addc_u32 s5, s5, 0
	v_cmp_eq_u32_e32 vcc_lo, s4, v8
	flat_load_u8 v22, v[22:23]
	s_waitcnt vmcnt(0) lgkmcnt(0)
	v_dual_mov_b32 v23, s12 :: v_dual_and_b32 v22, 0xffff, v22
	s_delay_alu instid0(VALU_DEP_1) | instskip(SKIP_3) | instid1(VALU_DEP_1)
	v_lshlrev_b64 v[22:23], s0, v[22:23]
	s_add_u32 s0, s0, 8
	s_addc_u32 s1, s1, 0
	s_or_b32 s13, vcc_lo, s13
	v_or_b32_e32 v21, v23, v21
	s_delay_alu instid0(VALU_DEP_2)
	v_or_b32_e32 v20, v22, v20
	s_and_not1_b32 exec_lo, exec_lo, s13
	s_cbranch_execnz .LBB71_46
; %bb.47:                               ;   in Loop: Header=BB71_3 Depth=1
	s_or_b32 exec_lo, exec_lo, s13
.LBB71_48:                              ;   in Loop: Header=BB71_3 Depth=1
	s_delay_alu instid0(SALU_CYCLE_1)
	s_or_b32 exec_lo, exec_lo, s7
	s_mov_b32 s1, 0
                                        ; implicit-def: $vgpr8
.LBB71_49:                              ;   in Loop: Header=BB71_3 Depth=1
	s_or_saveexec_b32 s0, s6
	v_mov_b32_e32 v26, s1
	s_xor_b32 exec_lo, exec_lo, s0
	s_cbranch_execz .LBB71_51
; %bb.50:                               ;   in Loop: Header=BB71_3 Depth=1
	flat_load_b64 v[20:21], v[24:25]
	v_add_co_u32 v24, vcc_lo, v24, 8
	v_add_nc_u32_e32 v26, -8, v8
	v_add_co_ci_u32_e32 v25, vcc_lo, 0, v25, vcc_lo
	s_waitcnt vmcnt(0) lgkmcnt(0)
	v_and_b32_e32 v22, 0xff, v21
	v_and_b32_e32 v23, 0xff00, v21
	;; [unrolled: 1-line block ×4, first 2 shown]
	v_or3_b32 v20, v20, 0, 0
	s_delay_alu instid0(VALU_DEP_4) | instskip(NEXT) | instid1(VALU_DEP_1)
	v_or_b32_e32 v22, v22, v23
	v_or3_b32 v21, v22, v27, v21
.LBB71_51:                              ;   in Loop: Header=BB71_3 Depth=1
	s_or_b32 exec_lo, exec_lo, s0
	s_delay_alu instid0(SALU_CYCLE_1)
	s_mov_b32 s0, exec_lo
	v_cmpx_gt_u32_e32 8, v26
	s_xor_b32 s4, exec_lo, s0
	s_cbranch_execz .LBB71_57
; %bb.52:                               ;   in Loop: Header=BB71_3 Depth=1
	v_mov_b32_e32 v22, 0
	v_mov_b32_e32 v23, 0
	s_mov_b32 s5, exec_lo
	v_cmpx_ne_u32_e32 0, v26
	s_cbranch_execz .LBB71_56
; %bb.53:                               ;   in Loop: Header=BB71_3 Depth=1
	v_mov_b32_e32 v22, 0
	v_mov_b32_e32 v23, 0
	s_mov_b64 s[0:1], 0
	s_mov_b32 s6, 0
	.p2align	6
.LBB71_54:                              ;   Parent Loop BB71_3 Depth=1
                                        ; =>  This Inner Loop Header: Depth=2
	flat_load_u8 v8, v[24:25]
	v_dual_mov_b32 v31, s12 :: v_dual_add_nc_u32 v26, -1, v26
	v_add_co_u32 v24, vcc_lo, v24, 1
	v_add_co_ci_u32_e32 v25, vcc_lo, 0, v25, vcc_lo
	s_delay_alu instid0(VALU_DEP_3) | instskip(SKIP_2) | instid1(VALU_DEP_1)
	v_cmp_eq_u32_e32 vcc_lo, 0, v26
	s_waitcnt vmcnt(0) lgkmcnt(0)
	v_and_b32_e32 v30, 0xffff, v8
	v_lshlrev_b64 v[30:31], s0, v[30:31]
	s_add_u32 s0, s0, 8
	s_addc_u32 s1, s1, 0
	s_or_b32 s6, vcc_lo, s6
	s_delay_alu instid0(VALU_DEP_1) | instskip(NEXT) | instid1(VALU_DEP_2)
	v_or_b32_e32 v23, v31, v23
	v_or_b32_e32 v22, v30, v22
	s_and_not1_b32 exec_lo, exec_lo, s6
	s_cbranch_execnz .LBB71_54
; %bb.55:                               ;   in Loop: Header=BB71_3 Depth=1
	s_or_b32 exec_lo, exec_lo, s6
.LBB71_56:                              ;   in Loop: Header=BB71_3 Depth=1
	s_delay_alu instid0(SALU_CYCLE_1)
	s_or_b32 exec_lo, exec_lo, s5
                                        ; implicit-def: $vgpr24_vgpr25
.LBB71_57:                              ;   in Loop: Header=BB71_3 Depth=1
	s_and_not1_saveexec_b32 s0, s4
	s_cbranch_execz .LBB71_59
; %bb.58:                               ;   in Loop: Header=BB71_3 Depth=1
	flat_load_b64 v[22:23], v[24:25]
	s_waitcnt vmcnt(0) lgkmcnt(0)
	v_and_b32_e32 v8, 0xff, v23
	v_and_b32_e32 v24, 0xff00, v23
	;; [unrolled: 1-line block ×4, first 2 shown]
	v_or3_b32 v22, v22, 0, 0
	s_delay_alu instid0(VALU_DEP_4) | instskip(NEXT) | instid1(VALU_DEP_1)
	v_or_b32_e32 v8, v8, v24
	v_or3_b32 v23, v8, v25, v23
.LBB71_59:                              ;   in Loop: Header=BB71_3 Depth=1
	s_or_b32 exec_lo, exec_lo, s0
	v_readfirstlane_b32 s0, v32
	v_mov_b32_e32 v30, 0
	v_mov_b32_e32 v31, 0
	s_delay_alu instid0(VALU_DEP_3) | instskip(NEXT) | instid1(VALU_DEP_1)
	v_cmp_eq_u32_e64 s0, s0, v32
	s_and_saveexec_b32 s1, s0
	s_cbranch_execz .LBB71_65
; %bb.60:                               ;   in Loop: Header=BB71_3 Depth=1
	s_waitcnt lgkmcnt(0)
	global_load_b64 v[26:27], v9, s[2:3] offset:24 glc
	s_waitcnt vmcnt(0)
	buffer_gl1_inv
	buffer_gl0_inv
	s_clause 0x1
	global_load_b64 v[24:25], v9, s[2:3] offset:40
	global_load_b64 v[30:31], v9, s[2:3]
	s_mov_b32 s4, exec_lo
	s_waitcnt vmcnt(1)
	v_and_b32_e32 v8, v25, v27
	v_and_b32_e32 v24, v24, v26
	s_delay_alu instid0(VALU_DEP_2) | instskip(NEXT) | instid1(VALU_DEP_2)
	v_mul_lo_u32 v8, v8, 24
	v_mul_hi_u32 v25, v24, 24
	v_mul_lo_u32 v24, v24, 24
	s_delay_alu instid0(VALU_DEP_2) | instskip(SKIP_1) | instid1(VALU_DEP_2)
	v_add_nc_u32_e32 v8, v25, v8
	s_waitcnt vmcnt(0)
	v_add_co_u32 v24, vcc_lo, v30, v24
	s_delay_alu instid0(VALU_DEP_2)
	v_add_co_ci_u32_e32 v25, vcc_lo, v31, v8, vcc_lo
	global_load_b64 v[24:25], v[24:25], off glc
	s_waitcnt vmcnt(0)
	global_atomic_cmpswap_b64 v[30:31], v9, v[24:27], s[2:3] offset:24 glc
	s_waitcnt vmcnt(0)
	buffer_gl1_inv
	buffer_gl0_inv
	v_cmpx_ne_u64_e64 v[30:31], v[26:27]
	s_cbranch_execz .LBB71_64
; %bb.61:                               ;   in Loop: Header=BB71_3 Depth=1
	s_mov_b32 s5, 0
	.p2align	6
.LBB71_62:                              ;   Parent Loop BB71_3 Depth=1
                                        ; =>  This Inner Loop Header: Depth=2
	s_sleep 1
	s_clause 0x1
	global_load_b64 v[24:25], v9, s[2:3] offset:40
	global_load_b64 v[34:35], v9, s[2:3]
	v_dual_mov_b32 v26, v30 :: v_dual_mov_b32 v27, v31
	s_waitcnt vmcnt(1)
	s_delay_alu instid0(VALU_DEP_1) | instskip(SKIP_1) | instid1(VALU_DEP_1)
	v_and_b32_e32 v8, v24, v26
	s_waitcnt vmcnt(0)
	v_mad_u64_u32 v[30:31], null, v8, 24, v[34:35]
	v_and_b32_e32 v34, v25, v27
	s_delay_alu instid0(VALU_DEP_2) | instskip(NEXT) | instid1(VALU_DEP_1)
	v_mov_b32_e32 v8, v31
	v_mad_u64_u32 v[24:25], null, v34, 24, v[8:9]
	s_delay_alu instid0(VALU_DEP_1)
	v_mov_b32_e32 v31, v24
	global_load_b64 v[24:25], v[30:31], off glc
	s_waitcnt vmcnt(0)
	global_atomic_cmpswap_b64 v[30:31], v9, v[24:27], s[2:3] offset:24 glc
	s_waitcnt vmcnt(0)
	buffer_gl1_inv
	buffer_gl0_inv
	v_cmp_eq_u64_e32 vcc_lo, v[30:31], v[26:27]
	s_or_b32 s5, vcc_lo, s5
	s_delay_alu instid0(SALU_CYCLE_1)
	s_and_not1_b32 exec_lo, exec_lo, s5
	s_cbranch_execnz .LBB71_62
; %bb.63:                               ;   in Loop: Header=BB71_3 Depth=1
	s_or_b32 exec_lo, exec_lo, s5
.LBB71_64:                              ;   in Loop: Header=BB71_3 Depth=1
	s_delay_alu instid0(SALU_CYCLE_1)
	s_or_b32 exec_lo, exec_lo, s4
.LBB71_65:                              ;   in Loop: Header=BB71_3 Depth=1
	s_delay_alu instid0(SALU_CYCLE_1)
	s_or_b32 exec_lo, exec_lo, s1
	s_waitcnt lgkmcnt(0)
	s_clause 0x1
	global_load_b64 v[34:35], v9, s[2:3] offset:40
	global_load_b128 v[24:27], v9, s[2:3]
	v_readfirstlane_b32 s4, v30
	v_readfirstlane_b32 s5, v31
	s_mov_b32 s1, exec_lo
	s_waitcnt vmcnt(1)
	v_readfirstlane_b32 s6, v34
	v_readfirstlane_b32 s7, v35
	s_delay_alu instid0(VALU_DEP_1) | instskip(NEXT) | instid1(SALU_CYCLE_1)
	s_and_b64 s[6:7], s[4:5], s[6:7]
	s_mul_i32 s13, s7, 24
	s_mul_hi_u32 s14, s6, 24
	s_mul_i32 s15, s6, 24
	s_add_i32 s14, s14, s13
	s_waitcnt vmcnt(0)
	v_add_co_u32 v30, vcc_lo, v24, s15
	v_add_co_ci_u32_e32 v31, vcc_lo, s14, v25, vcc_lo
	s_and_saveexec_b32 s13, s0
	s_cbranch_execz .LBB71_67
; %bb.66:                               ;   in Loop: Header=BB71_3 Depth=1
	v_mov_b32_e32 v8, s1
	global_store_b128 v[30:31], v[8:11], off offset:8
.LBB71_67:                              ;   in Loop: Header=BB71_3 Depth=1
	s_or_b32 exec_lo, exec_lo, s13
	v_cmp_lt_u64_e32 vcc_lo, 56, v[4:5]
	v_or_b32_e32 v8, 0, v1
	v_or_b32_e32 v34, v0, v33
	v_lshl_add_u32 v35, v28, 2, 28
	s_lshl_b64 s[6:7], s[6:7], 12
	s_delay_alu instid0(SALU_CYCLE_1) | instskip(NEXT) | instid1(VALU_DEP_1)
	v_add_co_u32 v26, s1, v26, s6
	v_add_co_ci_u32_e64 v27, s1, s7, v27, s1
	v_dual_cndmask_b32 v1, v8, v1 :: v_dual_cndmask_b32 v0, v34, v0
	v_and_b32_e32 v8, 0x1e0, v35
	v_lshlrev_b32_e32 v34, 6, v32
	v_readfirstlane_b32 s6, v26
	v_readfirstlane_b32 s7, v27
	s_delay_alu instid0(VALU_DEP_4)
	v_and_or_b32 v0, 0xffffff1f, v0, v8
	s_clause 0x3
	global_store_b128 v34, v[0:3], s[6:7]
	global_store_b128 v34, v[12:15], s[6:7] offset:16
	global_store_b128 v34, v[16:19], s[6:7] offset:32
	;; [unrolled: 1-line block ×3, first 2 shown]
	s_and_saveexec_b32 s1, s0
	s_cbranch_execz .LBB71_75
; %bb.68:                               ;   in Loop: Header=BB71_3 Depth=1
	s_clause 0x1
	global_load_b64 v[16:17], v9, s[2:3] offset:32 glc
	global_load_b64 v[0:1], v9, s[2:3] offset:40
	v_dual_mov_b32 v14, s4 :: v_dual_mov_b32 v15, s5
	s_waitcnt vmcnt(0)
	v_readfirstlane_b32 s6, v0
	v_readfirstlane_b32 s7, v1
	s_delay_alu instid0(VALU_DEP_1) | instskip(NEXT) | instid1(SALU_CYCLE_1)
	s_and_b64 s[6:7], s[6:7], s[4:5]
	s_mul_i32 s7, s7, 24
	s_mul_hi_u32 s13, s6, 24
	s_mul_i32 s6, s6, 24
	s_add_i32 s13, s13, s7
	v_add_co_u32 v12, vcc_lo, v24, s6
	v_add_co_ci_u32_e32 v13, vcc_lo, s13, v25, vcc_lo
	s_mov_b32 s6, exec_lo
	global_store_b64 v[12:13], v[16:17], off
	s_waitcnt_vscnt null, 0x0
	global_atomic_cmpswap_b64 v[2:3], v9, v[14:17], s[2:3] offset:32 glc
	s_waitcnt vmcnt(0)
	v_cmpx_ne_u64_e64 v[2:3], v[16:17]
	s_cbranch_execz .LBB71_71
; %bb.69:                               ;   in Loop: Header=BB71_3 Depth=1
	s_mov_b32 s7, 0
.LBB71_70:                              ;   Parent Loop BB71_3 Depth=1
                                        ; =>  This Inner Loop Header: Depth=2
	v_dual_mov_b32 v0, s4 :: v_dual_mov_b32 v1, s5
	s_sleep 1
	global_store_b64 v[12:13], v[2:3], off
	s_waitcnt_vscnt null, 0x0
	global_atomic_cmpswap_b64 v[0:1], v9, v[0:3], s[2:3] offset:32 glc
	s_waitcnt vmcnt(0)
	v_cmp_eq_u64_e32 vcc_lo, v[0:1], v[2:3]
	v_dual_mov_b32 v3, v1 :: v_dual_mov_b32 v2, v0
	s_or_b32 s7, vcc_lo, s7
	s_delay_alu instid0(SALU_CYCLE_1)
	s_and_not1_b32 exec_lo, exec_lo, s7
	s_cbranch_execnz .LBB71_70
.LBB71_71:                              ;   in Loop: Header=BB71_3 Depth=1
	s_or_b32 exec_lo, exec_lo, s6
	global_load_b64 v[0:1], v9, s[2:3] offset:16
	s_mov_b32 s7, exec_lo
	s_mov_b32 s6, exec_lo
	v_mbcnt_lo_u32_b32 v2, s7, 0
	s_delay_alu instid0(VALU_DEP_1)
	v_cmpx_eq_u32_e32 0, v2
	s_cbranch_execz .LBB71_73
; %bb.72:                               ;   in Loop: Header=BB71_3 Depth=1
	s_bcnt1_i32_b32 s7, s7
	s_delay_alu instid0(SALU_CYCLE_1)
	v_mov_b32_e32 v8, s7
	s_waitcnt vmcnt(0)
	global_atomic_add_u64 v[0:1], v[8:9], off offset:8
.LBB71_73:                              ;   in Loop: Header=BB71_3 Depth=1
	s_or_b32 exec_lo, exec_lo, s6
	s_waitcnt vmcnt(0)
	global_load_b64 v[2:3], v[0:1], off offset:16
	s_waitcnt vmcnt(0)
	v_cmp_eq_u64_e32 vcc_lo, 0, v[2:3]
	s_cbranch_vccnz .LBB71_75
; %bb.74:                               ;   in Loop: Header=BB71_3 Depth=1
	global_load_b32 v8, v[0:1], off offset:24
	s_waitcnt vmcnt(0)
	v_and_b32_e32 v0, 0xffffff, v8
	s_waitcnt_vscnt null, 0x0
	global_store_b64 v[2:3], v[8:9], off
	v_readfirstlane_b32 m0, v0
	s_sendmsg sendmsg(MSG_INTERRUPT)
.LBB71_75:                              ;   in Loop: Header=BB71_3 Depth=1
	s_or_b32 exec_lo, exec_lo, s1
	v_add_co_u32 v0, vcc_lo, v26, v34
	v_add_co_ci_u32_e32 v1, vcc_lo, 0, v27, vcc_lo
	s_branch .LBB71_79
	.p2align	6
.LBB71_76:                              ;   in Loop: Header=BB71_79 Depth=2
	s_or_b32 exec_lo, exec_lo, s1
	s_delay_alu instid0(VALU_DEP_1) | instskip(NEXT) | instid1(VALU_DEP_1)
	v_readfirstlane_b32 s1, v2
	s_cmp_eq_u32 s1, 0
	s_cbranch_scc1 .LBB71_78
; %bb.77:                               ;   in Loop: Header=BB71_79 Depth=2
	s_sleep 1
	s_cbranch_execnz .LBB71_79
	s_branch .LBB71_81
	.p2align	6
.LBB71_78:                              ;   in Loop: Header=BB71_3 Depth=1
	s_branch .LBB71_81
.LBB71_79:                              ;   Parent Loop BB71_3 Depth=1
                                        ; =>  This Inner Loop Header: Depth=2
	v_mov_b32_e32 v2, 1
	s_and_saveexec_b32 s1, s0
	s_cbranch_execz .LBB71_76
; %bb.80:                               ;   in Loop: Header=BB71_79 Depth=2
	global_load_b32 v2, v[30:31], off offset:20 glc
	s_waitcnt vmcnt(0)
	buffer_gl1_inv
	buffer_gl0_inv
	v_and_b32_e32 v2, 1, v2
	s_branch .LBB71_76
.LBB71_81:                              ;   in Loop: Header=BB71_3 Depth=1
	global_load_b128 v[0:3], v[0:1], off
	s_and_saveexec_b32 s1, s0
	s_cbranch_execz .LBB71_2
; %bb.82:                               ;   in Loop: Header=BB71_3 Depth=1
	s_clause 0x2
	global_load_b64 v[2:3], v9, s[2:3] offset:40
	global_load_b64 v[16:17], v9, s[2:3] offset:24 glc
	global_load_b64 v[14:15], v9, s[2:3]
	s_waitcnt vmcnt(2)
	v_add_co_u32 v8, vcc_lo, v2, 1
	v_add_co_ci_u32_e32 v18, vcc_lo, 0, v3, vcc_lo
	s_delay_alu instid0(VALU_DEP_2) | instskip(NEXT) | instid1(VALU_DEP_2)
	v_add_co_u32 v12, vcc_lo, v8, s4
	v_add_co_ci_u32_e32 v13, vcc_lo, s5, v18, vcc_lo
	s_delay_alu instid0(VALU_DEP_1) | instskip(SKIP_1) | instid1(VALU_DEP_1)
	v_cmp_eq_u64_e32 vcc_lo, 0, v[12:13]
	v_dual_cndmask_b32 v13, v13, v18 :: v_dual_cndmask_b32 v12, v12, v8
	v_and_b32_e32 v3, v13, v3
	s_delay_alu instid0(VALU_DEP_2) | instskip(NEXT) | instid1(VALU_DEP_1)
	v_and_b32_e32 v2, v12, v2
	v_mul_hi_u32 v8, v2, 24
	v_mul_lo_u32 v2, v2, 24
	s_waitcnt vmcnt(0)
	s_delay_alu instid0(VALU_DEP_1) | instskip(SKIP_2) | instid1(VALU_DEP_1)
	v_add_co_u32 v2, vcc_lo, v14, v2
	v_mov_b32_e32 v14, v16
	v_mul_lo_u32 v3, v3, 24
	v_add_nc_u32_e32 v3, v8, v3
	s_delay_alu instid0(VALU_DEP_1)
	v_add_co_ci_u32_e32 v3, vcc_lo, v15, v3, vcc_lo
	v_mov_b32_e32 v15, v17
	global_store_b64 v[2:3], v[16:17], off
	s_waitcnt_vscnt null, 0x0
	global_atomic_cmpswap_b64 v[14:15], v9, v[12:15], s[2:3] offset:24 glc
	s_waitcnt vmcnt(0)
	v_cmp_ne_u64_e32 vcc_lo, v[14:15], v[16:17]
	s_and_b32 exec_lo, exec_lo, vcc_lo
	s_cbranch_execz .LBB71_2
; %bb.83:                               ;   in Loop: Header=BB71_3 Depth=1
	s_mov_b32 s0, 0
.LBB71_84:                              ;   Parent Loop BB71_3 Depth=1
                                        ; =>  This Inner Loop Header: Depth=2
	s_sleep 1
	global_store_b64 v[2:3], v[14:15], off
	s_waitcnt_vscnt null, 0x0
	global_atomic_cmpswap_b64 v[16:17], v9, v[12:15], s[2:3] offset:24 glc
	s_waitcnt vmcnt(0)
	v_cmp_eq_u64_e32 vcc_lo, v[16:17], v[14:15]
	v_dual_mov_b32 v14, v16 :: v_dual_mov_b32 v15, v17
	s_or_b32 s0, vcc_lo, s0
	s_delay_alu instid0(SALU_CYCLE_1)
	s_and_not1_b32 exec_lo, exec_lo, s0
	s_cbranch_execnz .LBB71_84
	s_branch .LBB71_2
.LBB71_85:
	s_or_b32 exec_lo, exec_lo, s11
                                        ; implicit-def: $vgpr3
                                        ; implicit-def: $vgpr32
.LBB71_86:
	s_and_not1_saveexec_b32 s1, s10
	s_cbranch_execz .LBB71_108
; %bb.87:
	s_load_b64 s[2:3], s[8:9], 0x50
	v_readfirstlane_b32 s0, v32
	v_mov_b32_e32 v8, 0
	v_mov_b32_e32 v9, 0
	s_delay_alu instid0(VALU_DEP_3) | instskip(NEXT) | instid1(VALU_DEP_1)
	v_cmp_eq_u32_e64 s0, s0, v32
	s_and_saveexec_b32 s4, s0
	s_cbranch_execz .LBB71_93
; %bb.88:
	s_waitcnt vmcnt(0)
	v_mov_b32_e32 v0, 0
	s_mov_b32 s5, exec_lo
	s_waitcnt lgkmcnt(0)
	global_load_b64 v[6:7], v0, s[2:3] offset:24 glc
	s_waitcnt vmcnt(0)
	buffer_gl1_inv
	buffer_gl0_inv
	s_clause 0x1
	global_load_b64 v[4:5], v0, s[2:3] offset:40
	global_load_b64 v[8:9], v0, s[2:3]
	s_waitcnt vmcnt(1)
	v_and_b32_e32 v2, v5, v7
	v_and_b32_e32 v4, v4, v6
	s_delay_alu instid0(VALU_DEP_2) | instskip(NEXT) | instid1(VALU_DEP_2)
	v_mul_lo_u32 v2, v2, 24
	v_mul_hi_u32 v5, v4, 24
	v_mul_lo_u32 v4, v4, 24
	s_delay_alu instid0(VALU_DEP_2) | instskip(SKIP_1) | instid1(VALU_DEP_2)
	v_add_nc_u32_e32 v2, v5, v2
	s_waitcnt vmcnt(0)
	v_add_co_u32 v4, vcc_lo, v8, v4
	s_delay_alu instid0(VALU_DEP_2)
	v_add_co_ci_u32_e32 v5, vcc_lo, v9, v2, vcc_lo
	global_load_b64 v[4:5], v[4:5], off glc
	s_waitcnt vmcnt(0)
	global_atomic_cmpswap_b64 v[8:9], v0, v[4:7], s[2:3] offset:24 glc
	s_waitcnt vmcnt(0)
	buffer_gl1_inv
	buffer_gl0_inv
	v_cmpx_ne_u64_e64 v[8:9], v[6:7]
	s_cbranch_execz .LBB71_92
; %bb.89:
	s_mov_b32 s6, 0
	.p2align	6
.LBB71_90:                              ; =>This Inner Loop Header: Depth=1
	s_sleep 1
	s_clause 0x1
	global_load_b64 v[4:5], v0, s[2:3] offset:40
	global_load_b64 v[10:11], v0, s[2:3]
	v_dual_mov_b32 v6, v8 :: v_dual_mov_b32 v7, v9
	s_waitcnt vmcnt(1)
	s_delay_alu instid0(VALU_DEP_1) | instskip(SKIP_1) | instid1(VALU_DEP_1)
	v_and_b32_e32 v2, v4, v6
	s_waitcnt vmcnt(0)
	v_mad_u64_u32 v[8:9], null, v2, 24, v[10:11]
	v_and_b32_e32 v10, v5, v7
	s_delay_alu instid0(VALU_DEP_2) | instskip(NEXT) | instid1(VALU_DEP_1)
	v_mov_b32_e32 v2, v9
	v_mad_u64_u32 v[4:5], null, v10, 24, v[2:3]
	s_delay_alu instid0(VALU_DEP_1)
	v_mov_b32_e32 v9, v4
	global_load_b64 v[4:5], v[8:9], off glc
	s_waitcnt vmcnt(0)
	global_atomic_cmpswap_b64 v[8:9], v0, v[4:7], s[2:3] offset:24 glc
	s_waitcnt vmcnt(0)
	buffer_gl1_inv
	buffer_gl0_inv
	v_cmp_eq_u64_e32 vcc_lo, v[8:9], v[6:7]
	s_or_b32 s6, vcc_lo, s6
	s_delay_alu instid0(SALU_CYCLE_1)
	s_and_not1_b32 exec_lo, exec_lo, s6
	s_cbranch_execnz .LBB71_90
; %bb.91:
	s_or_b32 exec_lo, exec_lo, s6
.LBB71_92:
	s_delay_alu instid0(SALU_CYCLE_1)
	s_or_b32 exec_lo, exec_lo, s5
.LBB71_93:
	s_delay_alu instid0(SALU_CYCLE_1)
	s_or_b32 exec_lo, exec_lo, s4
	s_waitcnt vmcnt(0)
	v_mov_b32_e32 v2, 0
	v_readfirstlane_b32 s4, v8
	v_readfirstlane_b32 s5, v9
	s_mov_b32 s8, exec_lo
	s_waitcnt lgkmcnt(0)
	s_clause 0x1
	global_load_b64 v[10:11], v2, s[2:3] offset:40
	global_load_b128 v[4:7], v2, s[2:3]
	s_waitcnt vmcnt(1)
	v_readfirstlane_b32 s6, v10
	v_readfirstlane_b32 s7, v11
	s_delay_alu instid0(VALU_DEP_1) | instskip(NEXT) | instid1(SALU_CYCLE_1)
	s_and_b64 s[6:7], s[4:5], s[6:7]
	s_mul_i32 s9, s7, 24
	s_mul_hi_u32 s10, s6, 24
	s_mul_i32 s11, s6, 24
	s_add_i32 s10, s10, s9
	s_waitcnt vmcnt(0)
	v_add_co_u32 v8, vcc_lo, v4, s11
	v_add_co_ci_u32_e32 v9, vcc_lo, s10, v5, vcc_lo
	s_and_saveexec_b32 s9, s0
	s_cbranch_execz .LBB71_95
; %bb.94:
	v_dual_mov_b32 v10, s8 :: v_dual_mov_b32 v11, v2
	v_dual_mov_b32 v12, 2 :: v_dual_mov_b32 v13, 1
	global_store_b128 v[8:9], v[10:13], off offset:8
.LBB71_95:
	s_or_b32 exec_lo, exec_lo, s9
	s_lshl_b64 s[6:7], s[6:7], 12
	v_lshlrev_b32_e32 v14, 6, v32
	v_add_co_u32 v6, vcc_lo, v6, s6
	v_add_co_ci_u32_e32 v7, vcc_lo, s7, v7, vcc_lo
	s_mov_b32 s8, 0
	v_and_or_b32 v0, 0xffffff1f, v3, 32
	v_mov_b32_e32 v3, v2
	v_readfirstlane_b32 s6, v6
	s_mov_b32 s11, s8
	v_add_co_u32 v6, vcc_lo, v6, v14
	s_mov_b32 s9, s8
	s_mov_b32 s10, s8
	v_readfirstlane_b32 s7, v7
	v_dual_mov_b32 v13, s11 :: v_dual_mov_b32 v12, s10
	v_add_co_ci_u32_e32 v7, vcc_lo, 0, v7, vcc_lo
	v_dual_mov_b32 v11, s9 :: v_dual_mov_b32 v10, s8
	s_clause 0x3
	global_store_b128 v14, v[0:3], s[6:7]
	global_store_b128 v14, v[10:13], s[6:7] offset:16
	global_store_b128 v14, v[10:13], s[6:7] offset:32
	;; [unrolled: 1-line block ×3, first 2 shown]
	s_and_saveexec_b32 s6, s0
	s_cbranch_execz .LBB71_102
; %bb.96:
	v_mov_b32_e32 v10, 0
	s_mov_b32 s7, exec_lo
	s_clause 0x1
	global_load_b64 v[13:14], v10, s[2:3] offset:32 glc
	global_load_b64 v[0:1], v10, s[2:3] offset:40
	v_dual_mov_b32 v11, s4 :: v_dual_mov_b32 v12, s5
	s_waitcnt vmcnt(0)
	v_and_b32_e32 v1, s5, v1
	v_and_b32_e32 v0, s4, v0
	s_delay_alu instid0(VALU_DEP_2) | instskip(NEXT) | instid1(VALU_DEP_2)
	v_mul_lo_u32 v1, v1, 24
	v_mul_hi_u32 v2, v0, 24
	v_mul_lo_u32 v0, v0, 24
	s_delay_alu instid0(VALU_DEP_2) | instskip(NEXT) | instid1(VALU_DEP_2)
	v_add_nc_u32_e32 v1, v2, v1
	v_add_co_u32 v4, vcc_lo, v4, v0
	s_delay_alu instid0(VALU_DEP_2)
	v_add_co_ci_u32_e32 v5, vcc_lo, v5, v1, vcc_lo
	global_store_b64 v[4:5], v[13:14], off
	s_waitcnt_vscnt null, 0x0
	global_atomic_cmpswap_b64 v[2:3], v10, v[11:14], s[2:3] offset:32 glc
	s_waitcnt vmcnt(0)
	v_cmpx_ne_u64_e64 v[2:3], v[13:14]
	s_cbranch_execz .LBB71_98
.LBB71_97:                              ; =>This Inner Loop Header: Depth=1
	v_dual_mov_b32 v0, s4 :: v_dual_mov_b32 v1, s5
	s_sleep 1
	global_store_b64 v[4:5], v[2:3], off
	s_waitcnt_vscnt null, 0x0
	global_atomic_cmpswap_b64 v[0:1], v10, v[0:3], s[2:3] offset:32 glc
	s_waitcnt vmcnt(0)
	v_cmp_eq_u64_e32 vcc_lo, v[0:1], v[2:3]
	v_dual_mov_b32 v3, v1 :: v_dual_mov_b32 v2, v0
	s_or_b32 s8, vcc_lo, s8
	s_delay_alu instid0(SALU_CYCLE_1)
	s_and_not1_b32 exec_lo, exec_lo, s8
	s_cbranch_execnz .LBB71_97
.LBB71_98:
	s_or_b32 exec_lo, exec_lo, s7
	v_mov_b32_e32 v3, 0
	s_mov_b32 s8, exec_lo
	s_mov_b32 s7, exec_lo
	v_mbcnt_lo_u32_b32 v2, s8, 0
	global_load_b64 v[0:1], v3, s[2:3] offset:16
	v_cmpx_eq_u32_e32 0, v2
	s_cbranch_execz .LBB71_100
; %bb.99:
	s_bcnt1_i32_b32 s8, s8
	s_delay_alu instid0(SALU_CYCLE_1)
	v_mov_b32_e32 v2, s8
	s_waitcnt vmcnt(0)
	global_atomic_add_u64 v[0:1], v[2:3], off offset:8
.LBB71_100:
	s_or_b32 exec_lo, exec_lo, s7
	s_waitcnt vmcnt(0)
	global_load_b64 v[2:3], v[0:1], off offset:16
	s_waitcnt vmcnt(0)
	v_cmp_eq_u64_e32 vcc_lo, 0, v[2:3]
	s_cbranch_vccnz .LBB71_102
; %bb.101:
	global_load_b32 v0, v[0:1], off offset:24
	s_waitcnt vmcnt(0)
	v_dual_mov_b32 v1, 0 :: v_dual_and_b32 v4, 0xffffff, v0
	s_waitcnt_vscnt null, 0x0
	global_store_b64 v[2:3], v[0:1], off
	v_readfirstlane_b32 m0, v4
	s_sendmsg sendmsg(MSG_INTERRUPT)
.LBB71_102:
	s_or_b32 exec_lo, exec_lo, s6
	s_branch .LBB71_106
	.p2align	6
.LBB71_103:                             ;   in Loop: Header=BB71_106 Depth=1
	s_or_b32 exec_lo, exec_lo, s6
	s_delay_alu instid0(VALU_DEP_1) | instskip(NEXT) | instid1(VALU_DEP_1)
	v_readfirstlane_b32 s6, v0
	s_cmp_eq_u32 s6, 0
	s_cbranch_scc1 .LBB71_105
; %bb.104:                              ;   in Loop: Header=BB71_106 Depth=1
	s_sleep 1
	s_cbranch_execnz .LBB71_106
	s_branch .LBB71_109
	.p2align	6
.LBB71_105:
	s_branch .LBB71_109
.LBB71_106:                             ; =>This Inner Loop Header: Depth=1
	v_mov_b32_e32 v0, 1
	s_and_saveexec_b32 s6, s0
	s_cbranch_execz .LBB71_103
; %bb.107:                              ;   in Loop: Header=BB71_106 Depth=1
	global_load_b32 v0, v[8:9], off offset:20 glc
	s_waitcnt vmcnt(0)
	buffer_gl1_inv
	buffer_gl0_inv
	v_and_b32_e32 v0, 1, v0
	s_branch .LBB71_103
.LBB71_108:
	s_or_b32 exec_lo, exec_lo, s1
	s_waitcnt vmcnt(0) lgkmcnt(0)
	s_setpc_b64 s[30:31]
.LBB71_109:
	global_load_b64 v[0:1], v[6:7], off
	s_and_saveexec_b32 s6, s0
	s_cbranch_execz .LBB71_113
; %bb.110:
	v_mov_b32_e32 v8, 0
	s_clause 0x2
	global_load_b64 v[4:5], v8, s[2:3] offset:40
	global_load_b64 v[9:10], v8, s[2:3] offset:24 glc
	global_load_b64 v[6:7], v8, s[2:3]
	s_waitcnt vmcnt(2)
	v_add_co_u32 v11, vcc_lo, v4, 1
	v_add_co_ci_u32_e32 v12, vcc_lo, 0, v5, vcc_lo
	s_delay_alu instid0(VALU_DEP_2) | instskip(NEXT) | instid1(VALU_DEP_2)
	v_add_co_u32 v2, vcc_lo, v11, s4
	v_add_co_ci_u32_e32 v3, vcc_lo, s5, v12, vcc_lo
	s_delay_alu instid0(VALU_DEP_1) | instskip(SKIP_1) | instid1(VALU_DEP_1)
	v_cmp_eq_u64_e32 vcc_lo, 0, v[2:3]
	v_dual_cndmask_b32 v3, v3, v12 :: v_dual_cndmask_b32 v2, v2, v11
	v_and_b32_e32 v5, v3, v5
	s_delay_alu instid0(VALU_DEP_2) | instskip(NEXT) | instid1(VALU_DEP_2)
	v_and_b32_e32 v4, v2, v4
	v_mul_lo_u32 v5, v5, 24
	s_delay_alu instid0(VALU_DEP_2) | instskip(SKIP_1) | instid1(VALU_DEP_2)
	v_mul_hi_u32 v11, v4, 24
	v_mul_lo_u32 v4, v4, 24
	v_add_nc_u32_e32 v5, v11, v5
	s_waitcnt vmcnt(0)
	s_delay_alu instid0(VALU_DEP_2) | instskip(SKIP_1) | instid1(VALU_DEP_3)
	v_add_co_u32 v6, vcc_lo, v6, v4
	v_mov_b32_e32 v4, v9
	v_add_co_ci_u32_e32 v7, vcc_lo, v7, v5, vcc_lo
	v_mov_b32_e32 v5, v10
	global_store_b64 v[6:7], v[9:10], off
	s_waitcnt_vscnt null, 0x0
	global_atomic_cmpswap_b64 v[4:5], v8, v[2:5], s[2:3] offset:24 glc
	s_waitcnt vmcnt(0)
	v_cmp_ne_u64_e32 vcc_lo, v[4:5], v[9:10]
	s_and_b32 exec_lo, exec_lo, vcc_lo
	s_cbranch_execz .LBB71_113
; %bb.111:
	s_mov_b32 s0, 0
.LBB71_112:                             ; =>This Inner Loop Header: Depth=1
	s_sleep 1
	global_store_b64 v[6:7], v[4:5], off
	s_waitcnt_vscnt null, 0x0
	global_atomic_cmpswap_b64 v[9:10], v8, v[2:5], s[2:3] offset:24 glc
	s_waitcnt vmcnt(0)
	v_cmp_eq_u64_e32 vcc_lo, v[9:10], v[4:5]
	v_dual_mov_b32 v4, v9 :: v_dual_mov_b32 v5, v10
	s_or_b32 s0, vcc_lo, s0
	s_delay_alu instid0(SALU_CYCLE_1)
	s_and_not1_b32 exec_lo, exec_lo, s0
	s_cbranch_execnz .LBB71_112
.LBB71_113:
	s_or_b32 exec_lo, exec_lo, s6
	s_delay_alu instid0(SALU_CYCLE_1)
	s_or_b32 exec_lo, exec_lo, s1
	s_waitcnt vmcnt(0) lgkmcnt(0)
	s_setpc_b64 s[30:31]
.Lfunc_end71:
	.size	__ockl_printf_append_string_n, .Lfunc_end71-__ockl_printf_append_string_n
                                        ; -- End function
	.section	.AMDGPU.csdata,"",@progbits
; Function info:
; codeLenInByte = 4760
; NumSgprs: 34
; NumVgprs: 36
; ScratchSize: 0
; MemoryBound: 0
	.text
	.p2align	2                               ; -- Begin function __ockl_printf_append_args
	.type	__ockl_printf_append_args,@function
__ockl_printf_append_args:              ; @__ockl_printf_append_args
; %bb.0:
	s_waitcnt vmcnt(0) expcnt(0) lgkmcnt(0)
	s_load_b64 s[2:3], s[8:9], 0x50
	v_mbcnt_lo_u32_b32 v15, -1, 0
	v_mov_b32_e32 v11, 0
	v_mov_b32_e32 v12, 0
	s_delay_alu instid0(VALU_DEP_3) | instskip(NEXT) | instid1(VALU_DEP_1)
	v_readfirstlane_b32 s0, v15
	v_cmp_eq_u32_e64 s0, s0, v15
	s_delay_alu instid0(VALU_DEP_1)
	s_and_saveexec_b32 s1, s0
	s_cbranch_execz .LBB72_6
; %bb.1:
	v_mov_b32_e32 v5, 0
	s_mov_b32 s4, exec_lo
	s_waitcnt lgkmcnt(0)
	global_load_b64 v[8:9], v5, s[2:3] offset:24 glc
	s_waitcnt vmcnt(0)
	buffer_gl1_inv
	buffer_gl0_inv
	s_clause 0x1
	global_load_b64 v[6:7], v5, s[2:3] offset:40
	global_load_b64 v[10:11], v5, s[2:3]
	s_waitcnt vmcnt(1)
	v_and_b32_e32 v6, v6, v8
	v_and_b32_e32 v7, v7, v9
	s_delay_alu instid0(VALU_DEP_2) | instskip(NEXT) | instid1(VALU_DEP_2)
	v_mul_hi_u32 v12, v6, 24
	v_mul_lo_u32 v7, v7, 24
	v_mul_lo_u32 v6, v6, 24
	s_delay_alu instid0(VALU_DEP_2) | instskip(SKIP_1) | instid1(VALU_DEP_2)
	v_add_nc_u32_e32 v7, v12, v7
	s_waitcnt vmcnt(0)
	v_add_co_u32 v6, vcc_lo, v10, v6
	s_delay_alu instid0(VALU_DEP_2)
	v_add_co_ci_u32_e32 v7, vcc_lo, v11, v7, vcc_lo
	global_load_b64 v[6:7], v[6:7], off glc
	s_waitcnt vmcnt(0)
	global_atomic_cmpswap_b64 v[11:12], v5, v[6:9], s[2:3] offset:24 glc
	s_waitcnt vmcnt(0)
	buffer_gl1_inv
	buffer_gl0_inv
	v_cmpx_ne_u64_e64 v[11:12], v[8:9]
	s_cbranch_execz .LBB72_5
; %bb.2:
	s_mov_b32 s5, 0
	.p2align	6
.LBB72_3:                               ; =>This Inner Loop Header: Depth=1
	s_sleep 1
	s_clause 0x1
	global_load_b64 v[6:7], v5, s[2:3] offset:40
	global_load_b64 v[13:14], v5, s[2:3]
	v_dual_mov_b32 v8, v11 :: v_dual_mov_b32 v9, v12
	s_waitcnt vmcnt(1)
	s_delay_alu instid0(VALU_DEP_1) | instskip(NEXT) | instid1(VALU_DEP_2)
	v_and_b32_e32 v6, v6, v8
	v_and_b32_e32 v7, v7, v9
	s_waitcnt vmcnt(0)
	s_delay_alu instid0(VALU_DEP_2) | instskip(NEXT) | instid1(VALU_DEP_1)
	v_mad_u64_u32 v[10:11], null, v6, 24, v[13:14]
	v_mov_b32_e32 v6, v11
	s_delay_alu instid0(VALU_DEP_1)
	v_mad_u64_u32 v[11:12], null, v7, 24, v[6:7]
	global_load_b64 v[6:7], v[10:11], off glc
	s_waitcnt vmcnt(0)
	global_atomic_cmpswap_b64 v[11:12], v5, v[6:9], s[2:3] offset:24 glc
	s_waitcnt vmcnt(0)
	buffer_gl1_inv
	buffer_gl0_inv
	v_cmp_eq_u64_e32 vcc_lo, v[11:12], v[8:9]
	s_or_b32 s5, vcc_lo, s5
	s_delay_alu instid0(SALU_CYCLE_1)
	s_and_not1_b32 exec_lo, exec_lo, s5
	s_cbranch_execnz .LBB72_3
; %bb.4:
	s_or_b32 exec_lo, exec_lo, s5
.LBB72_5:
	s_delay_alu instid0(SALU_CYCLE_1)
	s_or_b32 exec_lo, exec_lo, s4
.LBB72_6:
	s_delay_alu instid0(SALU_CYCLE_1)
	s_or_b32 exec_lo, exec_lo, s1
	v_mov_b32_e32 v10, 0
	v_readfirstlane_b32 s4, v11
	v_readfirstlane_b32 s5, v12
	s_mov_b32 s1, exec_lo
	s_waitcnt lgkmcnt(0)
	s_clause 0x1
	global_load_b64 v[13:14], v10, s[2:3] offset:40
	global_load_b128 v[5:8], v10, s[2:3]
	s_waitcnt vmcnt(1)
	v_readfirstlane_b32 s6, v13
	v_readfirstlane_b32 s7, v14
	s_delay_alu instid0(VALU_DEP_1) | instskip(NEXT) | instid1(SALU_CYCLE_1)
	s_and_b64 s[6:7], s[4:5], s[6:7]
	s_mul_i32 s8, s7, 24
	s_mul_hi_u32 s9, s6, 24
	s_mul_i32 s10, s6, 24
	s_add_i32 s9, s9, s8
	s_waitcnt vmcnt(0)
	v_add_co_u32 v13, vcc_lo, v5, s10
	v_add_co_ci_u32_e32 v14, vcc_lo, s9, v6, vcc_lo
	s_and_saveexec_b32 s8, s0
	s_cbranch_execz .LBB72_8
; %bb.7:
	v_dual_mov_b32 v9, s1 :: v_dual_mov_b32 v12, 1
	v_mov_b32_e32 v11, 2
	global_store_b128 v[13:14], v[9:12], off offset:8
.LBB72_8:
	s_or_b32 exec_lo, exec_lo, s8
	v_or_b32_e32 v9, 2, v0
	v_cmp_eq_u32_e32 vcc_lo, 0, v4
	s_lshl_b64 s[6:7], s[6:7], 12
	s_mov_b32 s8, 0
	v_lshlrev_b32_e32 v11, 6, v15
	s_mov_b32 s9, s8
	v_cndmask_b32_e32 v0, v9, v0, vcc_lo
	v_add_co_u32 v4, vcc_lo, v7, s6
	v_add_co_ci_u32_e32 v7, vcc_lo, s7, v8, vcc_lo
	s_mov_b32 s10, s8
	s_mov_b32 s11, s8
	v_and_or_b32 v0, 0xffffff1f, v0, 32
	v_readfirstlane_b32 s6, v4
	v_readfirstlane_b32 s7, v7
	v_dual_mov_b32 v7, s8 :: v_dual_mov_b32 v8, s9
	v_dual_mov_b32 v9, s10 :: v_dual_mov_b32 v10, s11
	s_clause 0x3
	global_store_b128 v11, v[0:3], s[6:7]
	global_store_b128 v11, v[7:10], s[6:7] offset:16
	global_store_b128 v11, v[7:10], s[6:7] offset:32
	;; [unrolled: 1-line block ×3, first 2 shown]
	s_and_saveexec_b32 s1, s0
	s_cbranch_execz .LBB72_16
; %bb.9:
	v_mov_b32_e32 v7, 0
	v_mov_b32_e32 v9, s5
	s_mov_b32 s6, exec_lo
	s_clause 0x1
	global_load_b64 v[10:11], v7, s[2:3] offset:32 glc
	global_load_b64 v[0:1], v7, s[2:3] offset:40
	v_mov_b32_e32 v8, s4
	s_waitcnt vmcnt(0)
	v_and_b32_e32 v0, s4, v0
	v_and_b32_e32 v1, s5, v1
	s_delay_alu instid0(VALU_DEP_2) | instskip(NEXT) | instid1(VALU_DEP_2)
	v_mul_hi_u32 v2, v0, 24
	v_mul_lo_u32 v1, v1, 24
	v_mul_lo_u32 v0, v0, 24
	s_delay_alu instid0(VALU_DEP_2) | instskip(NEXT) | instid1(VALU_DEP_2)
	v_add_nc_u32_e32 v1, v2, v1
	v_add_co_u32 v4, vcc_lo, v5, v0
	s_delay_alu instid0(VALU_DEP_2)
	v_add_co_ci_u32_e32 v5, vcc_lo, v6, v1, vcc_lo
	global_store_b64 v[4:5], v[10:11], off
	s_waitcnt_vscnt null, 0x0
	global_atomic_cmpswap_b64 v[2:3], v7, v[8:11], s[2:3] offset:32 glc
	s_waitcnt vmcnt(0)
	v_cmpx_ne_u64_e64 v[2:3], v[10:11]
	s_cbranch_execz .LBB72_12
; %bb.10:
	s_mov_b32 s7, 0
.LBB72_11:                              ; =>This Inner Loop Header: Depth=1
	v_dual_mov_b32 v0, s4 :: v_dual_mov_b32 v1, s5
	s_sleep 1
	global_store_b64 v[4:5], v[2:3], off
	s_waitcnt_vscnt null, 0x0
	global_atomic_cmpswap_b64 v[0:1], v7, v[0:3], s[2:3] offset:32 glc
	s_waitcnt vmcnt(0)
	v_cmp_eq_u64_e32 vcc_lo, v[0:1], v[2:3]
	v_dual_mov_b32 v3, v1 :: v_dual_mov_b32 v2, v0
	s_or_b32 s7, vcc_lo, s7
	s_delay_alu instid0(SALU_CYCLE_1)
	s_and_not1_b32 exec_lo, exec_lo, s7
	s_cbranch_execnz .LBB72_11
.LBB72_12:
	s_or_b32 exec_lo, exec_lo, s6
	v_mov_b32_e32 v3, 0
	s_mov_b32 s7, exec_lo
	s_mov_b32 s6, exec_lo
	v_mbcnt_lo_u32_b32 v2, s7, 0
	global_load_b64 v[0:1], v3, s[2:3] offset:16
	v_cmpx_eq_u32_e32 0, v2
	s_cbranch_execz .LBB72_14
; %bb.13:
	s_bcnt1_i32_b32 s7, s7
	s_delay_alu instid0(SALU_CYCLE_1)
	v_mov_b32_e32 v2, s7
	s_waitcnt vmcnt(0)
	global_atomic_add_u64 v[0:1], v[2:3], off offset:8
.LBB72_14:
	s_or_b32 exec_lo, exec_lo, s6
	s_waitcnt vmcnt(0)
	global_load_b64 v[2:3], v[0:1], off offset:16
	s_waitcnt vmcnt(0)
	v_cmp_eq_u64_e32 vcc_lo, 0, v[2:3]
	s_cbranch_vccnz .LBB72_16
; %bb.15:
	global_load_b32 v0, v[0:1], off offset:24
	s_waitcnt vmcnt(0)
	v_dual_mov_b32 v1, 0 :: v_dual_and_b32 v4, 0xffffff, v0
	s_waitcnt_vscnt null, 0x0
	global_store_b64 v[2:3], v[0:1], off
	v_readfirstlane_b32 m0, v4
	s_sendmsg sendmsg(MSG_INTERRUPT)
.LBB72_16:
	s_or_b32 exec_lo, exec_lo, s1
	s_branch .LBB72_20
	.p2align	6
.LBB72_17:                              ;   in Loop: Header=BB72_20 Depth=1
	s_or_b32 exec_lo, exec_lo, s1
	s_delay_alu instid0(VALU_DEP_1) | instskip(NEXT) | instid1(VALU_DEP_1)
	v_readfirstlane_b32 s1, v0
	s_cmp_eq_u32 s1, 0
	s_cbranch_scc1 .LBB72_19
; %bb.18:                               ;   in Loop: Header=BB72_20 Depth=1
	s_sleep 1
	s_cbranch_execnz .LBB72_20
	s_branch .LBB72_22
	.p2align	6
.LBB72_19:
	s_branch .LBB72_22
.LBB72_20:                              ; =>This Inner Loop Header: Depth=1
	v_mov_b32_e32 v0, 1
	s_and_saveexec_b32 s1, s0
	s_cbranch_execz .LBB72_17
; %bb.21:                               ;   in Loop: Header=BB72_20 Depth=1
	global_load_b32 v0, v[13:14], off offset:20 glc
	s_waitcnt vmcnt(0)
	buffer_gl1_inv
	buffer_gl0_inv
	v_and_b32_e32 v0, 1, v0
	s_branch .LBB72_17
.LBB72_22:
	s_and_saveexec_b32 s1, s0
	s_cbranch_execz .LBB72_26
; %bb.23:
	v_mov_b32_e32 v6, 0
	s_clause 0x2
	global_load_b64 v[2:3], v6, s[2:3] offset:40
	global_load_b64 v[7:8], v6, s[2:3] offset:24 glc
	global_load_b64 v[4:5], v6, s[2:3]
	s_waitcnt vmcnt(2)
	v_add_co_u32 v9, vcc_lo, v2, 1
	v_add_co_ci_u32_e32 v10, vcc_lo, 0, v3, vcc_lo
	s_delay_alu instid0(VALU_DEP_2) | instskip(NEXT) | instid1(VALU_DEP_2)
	v_add_co_u32 v0, vcc_lo, v9, s4
	v_add_co_ci_u32_e32 v1, vcc_lo, s5, v10, vcc_lo
	s_delay_alu instid0(VALU_DEP_1) | instskip(SKIP_1) | instid1(VALU_DEP_1)
	v_cmp_eq_u64_e32 vcc_lo, 0, v[0:1]
	v_dual_cndmask_b32 v1, v1, v10 :: v_dual_cndmask_b32 v0, v0, v9
	v_and_b32_e32 v3, v1, v3
	s_delay_alu instid0(VALU_DEP_2) | instskip(NEXT) | instid1(VALU_DEP_2)
	v_and_b32_e32 v2, v0, v2
	v_mul_lo_u32 v3, v3, 24
	s_delay_alu instid0(VALU_DEP_2) | instskip(SKIP_1) | instid1(VALU_DEP_2)
	v_mul_hi_u32 v9, v2, 24
	v_mul_lo_u32 v2, v2, 24
	v_add_nc_u32_e32 v3, v9, v3
	s_waitcnt vmcnt(0)
	s_delay_alu instid0(VALU_DEP_2) | instskip(SKIP_1) | instid1(VALU_DEP_3)
	v_add_co_u32 v4, vcc_lo, v4, v2
	v_mov_b32_e32 v2, v7
	v_add_co_ci_u32_e32 v5, vcc_lo, v5, v3, vcc_lo
	v_mov_b32_e32 v3, v8
	global_store_b64 v[4:5], v[7:8], off
	s_waitcnt_vscnt null, 0x0
	global_atomic_cmpswap_b64 v[2:3], v6, v[0:3], s[2:3] offset:24 glc
	s_waitcnt vmcnt(0)
	v_cmp_ne_u64_e32 vcc_lo, v[2:3], v[7:8]
	s_and_b32 exec_lo, exec_lo, vcc_lo
	s_cbranch_execz .LBB72_26
; %bb.24:
	s_mov_b32 s0, 0
.LBB72_25:                              ; =>This Inner Loop Header: Depth=1
	s_sleep 1
	global_store_b64 v[4:5], v[2:3], off
	s_waitcnt_vscnt null, 0x0
	global_atomic_cmpswap_b64 v[7:8], v6, v[0:3], s[2:3] offset:24 glc
	s_waitcnt vmcnt(0)
	v_cmp_eq_u64_e32 vcc_lo, v[7:8], v[2:3]
	v_dual_mov_b32 v2, v7 :: v_dual_mov_b32 v3, v8
	s_or_b32 s0, vcc_lo, s0
	s_delay_alu instid0(SALU_CYCLE_1)
	s_and_not1_b32 exec_lo, exec_lo, s0
	s_cbranch_execnz .LBB72_25
.LBB72_26:
	s_or_b32 exec_lo, exec_lo, s1
	s_waitcnt lgkmcnt(0)
	s_setpc_b64 s[30:31]
.Lfunc_end72:
	.size	__ockl_printf_append_args, .Lfunc_end72-__ockl_printf_append_args
                                        ; -- End function
	.section	.AMDGPU.csdata,"",@progbits
; Function info:
; codeLenInByte = 1352
; NumSgprs: 34
; NumVgprs: 16
; ScratchSize: 0
; MemoryBound: 0
	.text
	.p2align	2                               ; -- Begin function _ZL14no_device_codePKciS0_iS0_
	.type	_ZL14no_device_codePKciS0_iS0_,@function
_ZL14no_device_codePKciS0_iS0_:         ; @_ZL14no_device_codePKciS0_iS0_
; %bb.0:
	s_waitcnt vmcnt(0) expcnt(0) lgkmcnt(0)
	s_mov_b32 s20, s33
	s_mov_b32 s33, s32
	s_xor_saveexec_b32 s0, -1
	scratch_store_b32 off, v36, s33         ; 4-byte Folded Spill
	s_mov_b32 exec_lo, s0
	v_writelane_b32 v36, s30, 0
	s_add_i32 s32, s32, 16
	v_writelane_b32 v36, s31, 1
	s_load_b64 s[2:3], s[8:9], 0x50
	v_mbcnt_lo_u32_b32 v32, -1, 0
	v_mov_b32_e32 v6, 0
	v_mov_b32_e32 v7, 0
	s_delay_alu instid0(VALU_DEP_3) | instskip(NEXT) | instid1(VALU_DEP_1)
	v_readfirstlane_b32 s0, v32
	v_cmp_eq_u32_e64 s0, s0, v32
	s_delay_alu instid0(VALU_DEP_1)
	s_and_saveexec_b32 s1, s0
	s_cbranch_execz .LBB73_6
; %bb.1:
	v_mov_b32_e32 v0, 0
	s_mov_b32 s4, exec_lo
	s_waitcnt lgkmcnt(0)
	global_load_b64 v[3:4], v0, s[2:3] offset:24 glc
	s_waitcnt vmcnt(0)
	buffer_gl1_inv
	buffer_gl0_inv
	s_clause 0x1
	global_load_b64 v[1:2], v0, s[2:3] offset:40
	global_load_b64 v[5:6], v0, s[2:3]
	s_waitcnt vmcnt(1)
	v_and_b32_e32 v1, v1, v3
	v_and_b32_e32 v2, v2, v4
	s_delay_alu instid0(VALU_DEP_2) | instskip(NEXT) | instid1(VALU_DEP_2)
	v_mul_hi_u32 v7, v1, 24
	v_mul_lo_u32 v2, v2, 24
	v_mul_lo_u32 v1, v1, 24
	s_delay_alu instid0(VALU_DEP_2) | instskip(SKIP_1) | instid1(VALU_DEP_2)
	v_add_nc_u32_e32 v2, v7, v2
	s_waitcnt vmcnt(0)
	v_add_co_u32 v1, vcc_lo, v5, v1
	s_delay_alu instid0(VALU_DEP_2)
	v_add_co_ci_u32_e32 v2, vcc_lo, v6, v2, vcc_lo
	global_load_b64 v[1:2], v[1:2], off glc
	s_waitcnt vmcnt(0)
	global_atomic_cmpswap_b64 v[6:7], v0, v[1:4], s[2:3] offset:24 glc
	s_waitcnt vmcnt(0)
	buffer_gl1_inv
	buffer_gl0_inv
	v_cmpx_ne_u64_e64 v[6:7], v[3:4]
	s_cbranch_execz .LBB73_5
; %bb.2:
	s_mov_b32 s5, 0
	.p2align	6
.LBB73_3:                               ; =>This Inner Loop Header: Depth=1
	s_sleep 1
	s_clause 0x1
	global_load_b64 v[1:2], v0, s[2:3] offset:40
	global_load_b64 v[8:9], v0, s[2:3]
	v_dual_mov_b32 v3, v6 :: v_dual_mov_b32 v4, v7
	s_waitcnt vmcnt(1)
	s_delay_alu instid0(VALU_DEP_1) | instskip(NEXT) | instid1(VALU_DEP_2)
	v_and_b32_e32 v1, v1, v3
	v_and_b32_e32 v2, v2, v4
	s_waitcnt vmcnt(0)
	s_delay_alu instid0(VALU_DEP_2) | instskip(NEXT) | instid1(VALU_DEP_1)
	v_mad_u64_u32 v[5:6], null, v1, 24, v[8:9]
	v_mov_b32_e32 v1, v6
	s_delay_alu instid0(VALU_DEP_1)
	v_mad_u64_u32 v[6:7], null, v2, 24, v[1:2]
	global_load_b64 v[1:2], v[5:6], off glc
	s_waitcnt vmcnt(0)
	global_atomic_cmpswap_b64 v[6:7], v0, v[1:4], s[2:3] offset:24 glc
	s_waitcnt vmcnt(0)
	buffer_gl1_inv
	buffer_gl0_inv
	v_cmp_eq_u64_e32 vcc_lo, v[6:7], v[3:4]
	s_or_b32 s5, vcc_lo, s5
	s_delay_alu instid0(SALU_CYCLE_1)
	s_and_not1_b32 exec_lo, exec_lo, s5
	s_cbranch_execnz .LBB73_3
; %bb.4:
	s_or_b32 exec_lo, exec_lo, s5
.LBB73_5:
	s_delay_alu instid0(SALU_CYCLE_1)
	s_or_b32 exec_lo, exec_lo, s4
.LBB73_6:
	s_delay_alu instid0(SALU_CYCLE_1)
	s_or_b32 exec_lo, exec_lo, s1
	v_mov_b32_e32 v5, 0
	v_readfirstlane_b32 s4, v6
	v_readfirstlane_b32 s5, v7
	s_mov_b32 s1, exec_lo
	s_waitcnt lgkmcnt(0)
	s_clause 0x1
	global_load_b64 v[8:9], v5, s[2:3] offset:40
	global_load_b128 v[0:3], v5, s[2:3]
	s_waitcnt vmcnt(1)
	v_readfirstlane_b32 s6, v8
	v_readfirstlane_b32 s7, v9
	s_delay_alu instid0(VALU_DEP_1) | instskip(NEXT) | instid1(SALU_CYCLE_1)
	s_and_b64 s[6:7], s[4:5], s[6:7]
	s_mul_i32 s10, s7, 24
	s_mul_hi_u32 s11, s6, 24
	s_mul_i32 s12, s6, 24
	s_add_i32 s11, s11, s10
	s_waitcnt vmcnt(0)
	v_add_co_u32 v8, vcc_lo, v0, s12
	v_add_co_ci_u32_e32 v9, vcc_lo, s11, v1, vcc_lo
	s_and_saveexec_b32 s10, s0
	s_cbranch_execz .LBB73_8
; %bb.7:
	v_dual_mov_b32 v4, s1 :: v_dual_mov_b32 v7, 1
	v_mov_b32_e32 v6, 2
	global_store_b128 v[8:9], v[4:7], off offset:8
.LBB73_8:
	s_or_b32 exec_lo, exec_lo, s10
	s_lshl_b64 s[6:7], s[6:7], 12
	v_dual_mov_b32 v4, 33 :: v_dual_lshlrev_b32 v31, 6, v32
	v_add_co_u32 v2, vcc_lo, v2, s6
	v_add_co_ci_u32_e32 v3, vcc_lo, s7, v3, vcc_lo
	s_mov_b32 s12, 0
	s_delay_alu instid0(VALU_DEP_2)
	v_add_co_u32 v10, vcc_lo, v2, v31
	s_mov_b32 s13, s12
	s_mov_b32 s14, s12
	;; [unrolled: 1-line block ×3, first 2 shown]
	v_mov_b32_e32 v6, v5
	v_dual_mov_b32 v7, v5 :: v_dual_mov_b32 v12, s12
	v_readfirstlane_b32 s6, v2
	v_readfirstlane_b32 s7, v3
	v_add_co_ci_u32_e32 v11, vcc_lo, 0, v3, vcc_lo
	v_dual_mov_b32 v13, s13 :: v_dual_mov_b32 v14, s14
	v_mov_b32_e32 v15, s15
	s_clause 0x3
	global_store_b128 v31, v[4:7], s[6:7]
	global_store_b128 v31, v[12:15], s[6:7] offset:16
	global_store_b128 v31, v[12:15], s[6:7] offset:32
	;; [unrolled: 1-line block ×3, first 2 shown]
	s_and_saveexec_b32 s1, s0
	s_cbranch_execz .LBB73_16
; %bb.9:
	v_mov_b32_e32 v6, 0
	s_mov_b32 s6, exec_lo
	s_clause 0x1
	global_load_b64 v[14:15], v6, s[2:3] offset:32 glc
	global_load_b64 v[2:3], v6, s[2:3] offset:40
	v_dual_mov_b32 v13, s5 :: v_dual_mov_b32 v12, s4
	s_waitcnt vmcnt(0)
	v_and_b32_e32 v3, s5, v3
	v_and_b32_e32 v2, s4, v2
	s_delay_alu instid0(VALU_DEP_2) | instskip(NEXT) | instid1(VALU_DEP_2)
	v_mul_lo_u32 v3, v3, 24
	v_mul_hi_u32 v4, v2, 24
	v_mul_lo_u32 v2, v2, 24
	s_delay_alu instid0(VALU_DEP_2) | instskip(NEXT) | instid1(VALU_DEP_2)
	v_add_nc_u32_e32 v3, v4, v3
	v_add_co_u32 v4, vcc_lo, v0, v2
	s_delay_alu instid0(VALU_DEP_2)
	v_add_co_ci_u32_e32 v5, vcc_lo, v1, v3, vcc_lo
	global_store_b64 v[4:5], v[14:15], off
	s_waitcnt_vscnt null, 0x0
	global_atomic_cmpswap_b64 v[2:3], v6, v[12:15], s[2:3] offset:32 glc
	s_waitcnt vmcnt(0)
	v_cmpx_ne_u64_e64 v[2:3], v[14:15]
	s_cbranch_execz .LBB73_12
; %bb.10:
	s_mov_b32 s7, 0
.LBB73_11:                              ; =>This Inner Loop Header: Depth=1
	v_dual_mov_b32 v0, s4 :: v_dual_mov_b32 v1, s5
	s_sleep 1
	global_store_b64 v[4:5], v[2:3], off
	s_waitcnt_vscnt null, 0x0
	global_atomic_cmpswap_b64 v[0:1], v6, v[0:3], s[2:3] offset:32 glc
	s_waitcnt vmcnt(0)
	v_cmp_eq_u64_e32 vcc_lo, v[0:1], v[2:3]
	v_dual_mov_b32 v3, v1 :: v_dual_mov_b32 v2, v0
	s_or_b32 s7, vcc_lo, s7
	s_delay_alu instid0(SALU_CYCLE_1)
	s_and_not1_b32 exec_lo, exec_lo, s7
	s_cbranch_execnz .LBB73_11
.LBB73_12:
	s_or_b32 exec_lo, exec_lo, s6
	v_mov_b32_e32 v3, 0
	s_mov_b32 s7, exec_lo
	s_mov_b32 s6, exec_lo
	v_mbcnt_lo_u32_b32 v2, s7, 0
	global_load_b64 v[0:1], v3, s[2:3] offset:16
	v_cmpx_eq_u32_e32 0, v2
	s_cbranch_execz .LBB73_14
; %bb.13:
	s_bcnt1_i32_b32 s7, s7
	s_delay_alu instid0(SALU_CYCLE_1)
	v_mov_b32_e32 v2, s7
	s_waitcnt vmcnt(0)
	global_atomic_add_u64 v[0:1], v[2:3], off offset:8
.LBB73_14:
	s_or_b32 exec_lo, exec_lo, s6
	s_waitcnt vmcnt(0)
	global_load_b64 v[2:3], v[0:1], off offset:16
	s_waitcnt vmcnt(0)
	v_cmp_eq_u64_e32 vcc_lo, 0, v[2:3]
	s_cbranch_vccnz .LBB73_16
; %bb.15:
	global_load_b32 v0, v[0:1], off offset:24
	s_waitcnt vmcnt(0)
	v_dual_mov_b32 v1, 0 :: v_dual_and_b32 v4, 0xffffff, v0
	s_waitcnt_vscnt null, 0x0
	global_store_b64 v[2:3], v[0:1], off
	v_readfirstlane_b32 m0, v4
	s_sendmsg sendmsg(MSG_INTERRUPT)
.LBB73_16:
	s_or_b32 exec_lo, exec_lo, s1
	s_branch .LBB73_20
	.p2align	6
.LBB73_17:                              ;   in Loop: Header=BB73_20 Depth=1
	s_or_b32 exec_lo, exec_lo, s1
	s_delay_alu instid0(VALU_DEP_1) | instskip(NEXT) | instid1(VALU_DEP_1)
	v_readfirstlane_b32 s1, v0
	s_cmp_eq_u32 s1, 0
	s_cbranch_scc1 .LBB73_19
; %bb.18:                               ;   in Loop: Header=BB73_20 Depth=1
	s_sleep 1
	s_cbranch_execnz .LBB73_20
	s_branch .LBB73_22
	.p2align	6
.LBB73_19:
	s_branch .LBB73_22
.LBB73_20:                              ; =>This Inner Loop Header: Depth=1
	v_mov_b32_e32 v0, 1
	s_and_saveexec_b32 s1, s0
	s_cbranch_execz .LBB73_17
; %bb.21:                               ;   in Loop: Header=BB73_20 Depth=1
	global_load_b32 v0, v[8:9], off offset:20 glc
	s_waitcnt vmcnt(0)
	buffer_gl1_inv
	buffer_gl0_inv
	v_and_b32_e32 v0, 1, v0
	s_branch .LBB73_17
.LBB73_22:
	global_load_b64 v[4:5], v[10:11], off
	s_and_saveexec_b32 s1, s0
	s_cbranch_execz .LBB73_26
; %bb.23:
	v_mov_b32_e32 v8, 0
	s_clause 0x2
	global_load_b64 v[2:3], v8, s[2:3] offset:40
	global_load_b64 v[9:10], v8, s[2:3] offset:24 glc
	global_load_b64 v[6:7], v8, s[2:3]
	s_waitcnt vmcnt(2)
	v_add_co_u32 v11, vcc_lo, v2, 1
	v_add_co_ci_u32_e32 v12, vcc_lo, 0, v3, vcc_lo
	s_delay_alu instid0(VALU_DEP_2) | instskip(NEXT) | instid1(VALU_DEP_2)
	v_add_co_u32 v0, vcc_lo, v11, s4
	v_add_co_ci_u32_e32 v1, vcc_lo, s5, v12, vcc_lo
	s_delay_alu instid0(VALU_DEP_1) | instskip(SKIP_1) | instid1(VALU_DEP_1)
	v_cmp_eq_u64_e32 vcc_lo, 0, v[0:1]
	v_dual_cndmask_b32 v1, v1, v12 :: v_dual_cndmask_b32 v0, v0, v11
	v_and_b32_e32 v3, v1, v3
	s_delay_alu instid0(VALU_DEP_2) | instskip(NEXT) | instid1(VALU_DEP_2)
	v_and_b32_e32 v2, v0, v2
	v_mul_lo_u32 v3, v3, 24
	s_delay_alu instid0(VALU_DEP_2) | instskip(SKIP_1) | instid1(VALU_DEP_2)
	v_mul_hi_u32 v11, v2, 24
	v_mul_lo_u32 v2, v2, 24
	v_add_nc_u32_e32 v3, v11, v3
	s_waitcnt vmcnt(0)
	s_delay_alu instid0(VALU_DEP_2) | instskip(SKIP_1) | instid1(VALU_DEP_3)
	v_add_co_u32 v6, vcc_lo, v6, v2
	v_mov_b32_e32 v2, v9
	v_add_co_ci_u32_e32 v7, vcc_lo, v7, v3, vcc_lo
	v_mov_b32_e32 v3, v10
	global_store_b64 v[6:7], v[9:10], off
	s_waitcnt_vscnt null, 0x0
	global_atomic_cmpswap_b64 v[2:3], v8, v[0:3], s[2:3] offset:24 glc
	s_waitcnt vmcnt(0)
	v_cmp_ne_u64_e32 vcc_lo, v[2:3], v[9:10]
	s_and_b32 exec_lo, exec_lo, vcc_lo
	s_cbranch_execz .LBB73_26
; %bb.24:
	s_mov_b32 s0, 0
.LBB73_25:                              ; =>This Inner Loop Header: Depth=1
	s_sleep 1
	global_store_b64 v[6:7], v[2:3], off
	s_waitcnt_vscnt null, 0x0
	global_atomic_cmpswap_b64 v[9:10], v8, v[0:3], s[2:3] offset:24 glc
	s_waitcnt vmcnt(0)
	v_cmp_eq_u64_e32 vcc_lo, v[9:10], v[2:3]
	v_dual_mov_b32 v2, v9 :: v_dual_mov_b32 v3, v10
	s_or_b32 s0, vcc_lo, s0
	s_delay_alu instid0(SALU_CYCLE_1)
	s_and_not1_b32 exec_lo, exec_lo, s0
	s_cbranch_execnz .LBB73_25
.LBB73_26:
	s_or_b32 exec_lo, exec_lo, s1
	s_getpc_b64 s[4:5]
	s_add_u32 s4, s4, .str.3@rel32@lo+4
	s_addc_u32 s5, s5, .str.3@rel32@hi+12
	s_delay_alu instid0(SALU_CYCLE_1)
	s_cmp_lg_u64 s[4:5], 0
	s_cbranch_scc0 .LBB73_104
; %bb.27:
	s_waitcnt vmcnt(0)
	v_dual_mov_b32 v7, 0 :: v_dual_and_b32 v28, 2, v4
	v_dual_mov_b32 v1, v5 :: v_dual_and_b32 v0, -3, v4
	v_dual_mov_b32 v8, 2 :: v_dual_mov_b32 v9, 1
	s_mov_b64 s[6:7], 0x4d
	s_branch .LBB73_29
.LBB73_28:                              ;   in Loop: Header=BB73_29 Depth=1
	s_or_b32 exec_lo, exec_lo, s1
	s_sub_u32 s6, s6, s10
	s_subb_u32 s7, s7, s11
	s_add_u32 s4, s4, s10
	s_addc_u32 s5, s5, s11
	s_cmp_lg_u64 s[6:7], 0
	s_cbranch_scc0 .LBB73_105
.LBB73_29:                              ; =>This Loop Header: Depth=1
                                        ;     Child Loop BB73_38 Depth 2
                                        ;     Child Loop BB73_34 Depth 2
	;; [unrolled: 1-line block ×11, first 2 shown]
	v_cmp_lt_u64_e64 s0, s[6:7], 56
	v_cmp_gt_u64_e64 s1, s[6:7], 7
                                        ; implicit-def: $vgpr2_vgpr3
                                        ; implicit-def: $sgpr16
	s_delay_alu instid0(VALU_DEP_2) | instskip(SKIP_2) | instid1(VALU_DEP_1)
	s_and_b32 s0, s0, exec_lo
	s_cselect_b32 s11, s7, 0
	s_cselect_b32 s10, s6, 56
	s_and_b32 vcc_lo, exec_lo, s1
	s_mov_b32 s0, -1
	s_cbranch_vccz .LBB73_36
; %bb.30:                               ;   in Loop: Header=BB73_29 Depth=1
	s_and_not1_b32 vcc_lo, exec_lo, s0
	s_mov_b64 s[0:1], s[4:5]
	s_cbranch_vccz .LBB73_40
.LBB73_31:                              ;   in Loop: Header=BB73_29 Depth=1
	s_cmp_gt_u32 s16, 7
	s_cbranch_scc1 .LBB73_41
.LBB73_32:                              ;   in Loop: Header=BB73_29 Depth=1
	v_mov_b32_e32 v10, 0
	v_mov_b32_e32 v11, 0
	s_cmp_eq_u32 s16, 0
	s_cbranch_scc1 .LBB73_35
; %bb.33:                               ;   in Loop: Header=BB73_29 Depth=1
	s_mov_b64 s[12:13], 0
	s_mov_b64 s[14:15], 0
.LBB73_34:                              ;   Parent Loop BB73_29 Depth=1
                                        ; =>  This Inner Loop Header: Depth=2
	s_delay_alu instid0(SALU_CYCLE_1)
	s_add_u32 s18, s0, s14
	s_addc_u32 s19, s1, s15
	s_add_u32 s14, s14, 1
	global_load_u8 v6, v7, s[18:19]
	s_addc_u32 s15, s15, 0
	s_waitcnt vmcnt(0)
	v_and_b32_e32 v6, 0xffff, v6
	s_delay_alu instid0(VALU_DEP_1) | instskip(SKIP_3) | instid1(VALU_DEP_1)
	v_lshlrev_b64 v[12:13], s12, v[6:7]
	s_add_u32 s12, s12, 8
	s_addc_u32 s13, s13, 0
	s_cmp_lg_u32 s16, s14
	v_or_b32_e32 v10, v12, v10
	s_delay_alu instid0(VALU_DEP_2)
	v_or_b32_e32 v11, v13, v11
	s_cbranch_scc1 .LBB73_34
.LBB73_35:                              ;   in Loop: Header=BB73_29 Depth=1
	s_mov_b32 s17, 0
	s_cbranch_execz .LBB73_42
	s_branch .LBB73_43
.LBB73_36:                              ;   in Loop: Header=BB73_29 Depth=1
	s_waitcnt vmcnt(0)
	v_mov_b32_e32 v2, 0
	v_mov_b32_e32 v3, 0
	s_cmp_eq_u64 s[6:7], 0
	s_mov_b64 s[0:1], 0
	s_cbranch_scc1 .LBB73_39
; %bb.37:                               ;   in Loop: Header=BB73_29 Depth=1
	v_mov_b32_e32 v2, 0
	v_mov_b32_e32 v3, 0
	s_lshl_b64 s[12:13], s[10:11], 3
	s_mov_b64 s[14:15], s[4:5]
.LBB73_38:                              ;   Parent Loop BB73_29 Depth=1
                                        ; =>  This Inner Loop Header: Depth=2
	global_load_u8 v6, v7, s[14:15]
	s_waitcnt vmcnt(0)
	v_and_b32_e32 v6, 0xffff, v6
	s_delay_alu instid0(VALU_DEP_1)
	v_lshlrev_b64 v[10:11], s0, v[6:7]
	s_add_u32 s0, s0, 8
	s_addc_u32 s1, s1, 0
	s_add_u32 s14, s14, 1
	s_addc_u32 s15, s15, 0
	s_cmp_lg_u32 s12, s0
	v_or_b32_e32 v2, v10, v2
	v_or_b32_e32 v3, v11, v3
	s_cbranch_scc1 .LBB73_38
.LBB73_39:                              ;   in Loop: Header=BB73_29 Depth=1
	s_mov_b32 s16, 0
	s_mov_b64 s[0:1], s[4:5]
	s_cbranch_execnz .LBB73_31
.LBB73_40:                              ;   in Loop: Header=BB73_29 Depth=1
	global_load_b64 v[2:3], v7, s[4:5]
	s_add_i32 s16, s10, -8
	s_add_u32 s0, s4, 8
	s_addc_u32 s1, s5, 0
	s_cmp_gt_u32 s16, 7
	s_cbranch_scc0 .LBB73_32
.LBB73_41:                              ;   in Loop: Header=BB73_29 Depth=1
                                        ; implicit-def: $vgpr10_vgpr11
                                        ; implicit-def: $sgpr17
.LBB73_42:                              ;   in Loop: Header=BB73_29 Depth=1
	global_load_b64 v[10:11], v7, s[0:1]
	s_add_i32 s17, s16, -8
	s_add_u32 s0, s0, 8
	s_addc_u32 s1, s1, 0
.LBB73_43:                              ;   in Loop: Header=BB73_29 Depth=1
	s_cmp_gt_u32 s17, 7
	s_cbranch_scc1 .LBB73_48
; %bb.44:                               ;   in Loop: Header=BB73_29 Depth=1
	v_mov_b32_e32 v12, 0
	v_mov_b32_e32 v13, 0
	s_cmp_eq_u32 s17, 0
	s_cbranch_scc1 .LBB73_47
; %bb.45:                               ;   in Loop: Header=BB73_29 Depth=1
	s_mov_b64 s[12:13], 0
	s_mov_b64 s[14:15], 0
.LBB73_46:                              ;   Parent Loop BB73_29 Depth=1
                                        ; =>  This Inner Loop Header: Depth=2
	s_delay_alu instid0(SALU_CYCLE_1)
	s_add_u32 s18, s0, s14
	s_addc_u32 s19, s1, s15
	s_add_u32 s14, s14, 1
	global_load_u8 v6, v7, s[18:19]
	s_addc_u32 s15, s15, 0
	s_waitcnt vmcnt(0)
	v_and_b32_e32 v6, 0xffff, v6
	s_delay_alu instid0(VALU_DEP_1) | instskip(SKIP_3) | instid1(VALU_DEP_1)
	v_lshlrev_b64 v[14:15], s12, v[6:7]
	s_add_u32 s12, s12, 8
	s_addc_u32 s13, s13, 0
	s_cmp_lg_u32 s17, s14
	v_or_b32_e32 v12, v14, v12
	s_delay_alu instid0(VALU_DEP_2)
	v_or_b32_e32 v13, v15, v13
	s_cbranch_scc1 .LBB73_46
.LBB73_47:                              ;   in Loop: Header=BB73_29 Depth=1
	s_mov_b32 s16, 0
	s_cbranch_execz .LBB73_49
	s_branch .LBB73_50
.LBB73_48:                              ;   in Loop: Header=BB73_29 Depth=1
                                        ; implicit-def: $sgpr16
.LBB73_49:                              ;   in Loop: Header=BB73_29 Depth=1
	global_load_b64 v[12:13], v7, s[0:1]
	s_add_i32 s16, s17, -8
	s_add_u32 s0, s0, 8
	s_addc_u32 s1, s1, 0
.LBB73_50:                              ;   in Loop: Header=BB73_29 Depth=1
	s_cmp_gt_u32 s16, 7
	s_cbranch_scc1 .LBB73_55
; %bb.51:                               ;   in Loop: Header=BB73_29 Depth=1
	v_mov_b32_e32 v14, 0
	v_mov_b32_e32 v15, 0
	s_cmp_eq_u32 s16, 0
	s_cbranch_scc1 .LBB73_54
; %bb.52:                               ;   in Loop: Header=BB73_29 Depth=1
	s_mov_b64 s[12:13], 0
	s_mov_b64 s[14:15], 0
.LBB73_53:                              ;   Parent Loop BB73_29 Depth=1
                                        ; =>  This Inner Loop Header: Depth=2
	s_delay_alu instid0(SALU_CYCLE_1)
	s_add_u32 s18, s0, s14
	s_addc_u32 s19, s1, s15
	s_add_u32 s14, s14, 1
	global_load_u8 v6, v7, s[18:19]
	s_addc_u32 s15, s15, 0
	s_waitcnt vmcnt(0)
	v_and_b32_e32 v6, 0xffff, v6
	s_delay_alu instid0(VALU_DEP_1) | instskip(SKIP_3) | instid1(VALU_DEP_1)
	v_lshlrev_b64 v[16:17], s12, v[6:7]
	s_add_u32 s12, s12, 8
	s_addc_u32 s13, s13, 0
	s_cmp_lg_u32 s16, s14
	v_or_b32_e32 v14, v16, v14
	s_delay_alu instid0(VALU_DEP_2)
	v_or_b32_e32 v15, v17, v15
	s_cbranch_scc1 .LBB73_53
.LBB73_54:                              ;   in Loop: Header=BB73_29 Depth=1
	s_mov_b32 s17, 0
	s_cbranch_execz .LBB73_56
	s_branch .LBB73_57
.LBB73_55:                              ;   in Loop: Header=BB73_29 Depth=1
                                        ; implicit-def: $vgpr14_vgpr15
                                        ; implicit-def: $sgpr17
.LBB73_56:                              ;   in Loop: Header=BB73_29 Depth=1
	global_load_b64 v[14:15], v7, s[0:1]
	s_add_i32 s17, s16, -8
	s_add_u32 s0, s0, 8
	s_addc_u32 s1, s1, 0
.LBB73_57:                              ;   in Loop: Header=BB73_29 Depth=1
	s_cmp_gt_u32 s17, 7
	s_cbranch_scc1 .LBB73_62
; %bb.58:                               ;   in Loop: Header=BB73_29 Depth=1
	v_mov_b32_e32 v16, 0
	v_mov_b32_e32 v17, 0
	s_cmp_eq_u32 s17, 0
	s_cbranch_scc1 .LBB73_61
; %bb.59:                               ;   in Loop: Header=BB73_29 Depth=1
	s_mov_b64 s[12:13], 0
	s_mov_b64 s[14:15], 0
.LBB73_60:                              ;   Parent Loop BB73_29 Depth=1
                                        ; =>  This Inner Loop Header: Depth=2
	s_delay_alu instid0(SALU_CYCLE_1)
	s_add_u32 s18, s0, s14
	s_addc_u32 s19, s1, s15
	s_add_u32 s14, s14, 1
	global_load_u8 v6, v7, s[18:19]
	s_addc_u32 s15, s15, 0
	s_waitcnt vmcnt(0)
	v_and_b32_e32 v6, 0xffff, v6
	s_delay_alu instid0(VALU_DEP_1) | instskip(SKIP_3) | instid1(VALU_DEP_1)
	v_lshlrev_b64 v[18:19], s12, v[6:7]
	s_add_u32 s12, s12, 8
	s_addc_u32 s13, s13, 0
	s_cmp_lg_u32 s17, s14
	v_or_b32_e32 v16, v18, v16
	s_delay_alu instid0(VALU_DEP_2)
	v_or_b32_e32 v17, v19, v17
	s_cbranch_scc1 .LBB73_60
.LBB73_61:                              ;   in Loop: Header=BB73_29 Depth=1
	s_mov_b32 s16, 0
	s_cbranch_execz .LBB73_63
	s_branch .LBB73_64
.LBB73_62:                              ;   in Loop: Header=BB73_29 Depth=1
                                        ; implicit-def: $sgpr16
.LBB73_63:                              ;   in Loop: Header=BB73_29 Depth=1
	global_load_b64 v[16:17], v7, s[0:1]
	s_add_i32 s16, s17, -8
	s_add_u32 s0, s0, 8
	s_addc_u32 s1, s1, 0
.LBB73_64:                              ;   in Loop: Header=BB73_29 Depth=1
	s_cmp_gt_u32 s16, 7
	s_cbranch_scc1 .LBB73_69
; %bb.65:                               ;   in Loop: Header=BB73_29 Depth=1
	v_mov_b32_e32 v18, 0
	v_mov_b32_e32 v19, 0
	s_cmp_eq_u32 s16, 0
	s_cbranch_scc1 .LBB73_68
; %bb.66:                               ;   in Loop: Header=BB73_29 Depth=1
	s_mov_b64 s[12:13], 0
	s_mov_b64 s[14:15], 0
.LBB73_67:                              ;   Parent Loop BB73_29 Depth=1
                                        ; =>  This Inner Loop Header: Depth=2
	s_delay_alu instid0(SALU_CYCLE_1)
	s_add_u32 s18, s0, s14
	s_addc_u32 s19, s1, s15
	s_add_u32 s14, s14, 1
	global_load_u8 v6, v7, s[18:19]
	s_addc_u32 s15, s15, 0
	s_waitcnt vmcnt(0)
	v_and_b32_e32 v6, 0xffff, v6
	s_delay_alu instid0(VALU_DEP_1) | instskip(SKIP_3) | instid1(VALU_DEP_1)
	v_lshlrev_b64 v[20:21], s12, v[6:7]
	s_add_u32 s12, s12, 8
	s_addc_u32 s13, s13, 0
	s_cmp_lg_u32 s16, s14
	v_or_b32_e32 v18, v20, v18
	s_delay_alu instid0(VALU_DEP_2)
	v_or_b32_e32 v19, v21, v19
	s_cbranch_scc1 .LBB73_67
.LBB73_68:                              ;   in Loop: Header=BB73_29 Depth=1
	s_mov_b32 s17, 0
	s_cbranch_execz .LBB73_70
	s_branch .LBB73_71
.LBB73_69:                              ;   in Loop: Header=BB73_29 Depth=1
                                        ; implicit-def: $vgpr18_vgpr19
                                        ; implicit-def: $sgpr17
.LBB73_70:                              ;   in Loop: Header=BB73_29 Depth=1
	global_load_b64 v[18:19], v7, s[0:1]
	s_add_i32 s17, s16, -8
	s_add_u32 s0, s0, 8
	s_addc_u32 s1, s1, 0
.LBB73_71:                              ;   in Loop: Header=BB73_29 Depth=1
	s_cmp_gt_u32 s17, 7
	s_cbranch_scc1 .LBB73_76
; %bb.72:                               ;   in Loop: Header=BB73_29 Depth=1
	v_mov_b32_e32 v20, 0
	v_mov_b32_e32 v21, 0
	s_cmp_eq_u32 s17, 0
	s_cbranch_scc1 .LBB73_75
; %bb.73:                               ;   in Loop: Header=BB73_29 Depth=1
	s_mov_b64 s[12:13], 0
	s_mov_b64 s[14:15], s[0:1]
.LBB73_74:                              ;   Parent Loop BB73_29 Depth=1
                                        ; =>  This Inner Loop Header: Depth=2
	global_load_u8 v6, v7, s[14:15]
	s_add_i32 s17, s17, -1
	s_waitcnt vmcnt(0)
	v_and_b32_e32 v6, 0xffff, v6
	s_delay_alu instid0(VALU_DEP_1)
	v_lshlrev_b64 v[22:23], s12, v[6:7]
	s_add_u32 s12, s12, 8
	s_addc_u32 s13, s13, 0
	s_add_u32 s14, s14, 1
	s_addc_u32 s15, s15, 0
	s_cmp_lg_u32 s17, 0
	v_or_b32_e32 v20, v22, v20
	v_or_b32_e32 v21, v23, v21
	s_cbranch_scc1 .LBB73_74
.LBB73_75:                              ;   in Loop: Header=BB73_29 Depth=1
	s_cbranch_execz .LBB73_77
	s_branch .LBB73_78
.LBB73_76:                              ;   in Loop: Header=BB73_29 Depth=1
.LBB73_77:                              ;   in Loop: Header=BB73_29 Depth=1
	global_load_b64 v[20:21], v7, s[0:1]
.LBB73_78:                              ;   in Loop: Header=BB73_29 Depth=1
	v_readfirstlane_b32 s0, v32
	v_mov_b32_e32 v26, 0
	v_mov_b32_e32 v27, 0
	s_delay_alu instid0(VALU_DEP_3) | instskip(NEXT) | instid1(VALU_DEP_1)
	v_cmp_eq_u32_e64 s0, s0, v32
	s_and_saveexec_b32 s1, s0
	s_cbranch_execz .LBB73_84
; %bb.79:                               ;   in Loop: Header=BB73_29 Depth=1
	global_load_b64 v[24:25], v7, s[2:3] offset:24 glc
	s_waitcnt vmcnt(0)
	buffer_gl1_inv
	buffer_gl0_inv
	s_clause 0x1
	global_load_b64 v[22:23], v7, s[2:3] offset:40
	global_load_b64 v[26:27], v7, s[2:3]
	s_mov_b32 s12, exec_lo
	s_waitcnt vmcnt(1)
	v_and_b32_e32 v6, v23, v25
	v_and_b32_e32 v22, v22, v24
	s_delay_alu instid0(VALU_DEP_2) | instskip(NEXT) | instid1(VALU_DEP_2)
	v_mul_lo_u32 v6, v6, 24
	v_mul_hi_u32 v23, v22, 24
	v_mul_lo_u32 v22, v22, 24
	s_delay_alu instid0(VALU_DEP_2) | instskip(SKIP_1) | instid1(VALU_DEP_2)
	v_add_nc_u32_e32 v6, v23, v6
	s_waitcnt vmcnt(0)
	v_add_co_u32 v22, vcc_lo, v26, v22
	s_delay_alu instid0(VALU_DEP_2)
	v_add_co_ci_u32_e32 v23, vcc_lo, v27, v6, vcc_lo
	global_load_b64 v[22:23], v[22:23], off glc
	s_waitcnt vmcnt(0)
	global_atomic_cmpswap_b64 v[26:27], v7, v[22:25], s[2:3] offset:24 glc
	s_waitcnt vmcnt(0)
	buffer_gl1_inv
	buffer_gl0_inv
	v_cmpx_ne_u64_e64 v[26:27], v[24:25]
	s_cbranch_execz .LBB73_83
; %bb.80:                               ;   in Loop: Header=BB73_29 Depth=1
	s_mov_b32 s13, 0
	.p2align	6
.LBB73_81:                              ;   Parent Loop BB73_29 Depth=1
                                        ; =>  This Inner Loop Header: Depth=2
	s_sleep 1
	s_clause 0x1
	global_load_b64 v[22:23], v7, s[2:3] offset:40
	global_load_b64 v[29:30], v7, s[2:3]
	v_dual_mov_b32 v24, v26 :: v_dual_mov_b32 v25, v27
	s_waitcnt vmcnt(1)
	s_delay_alu instid0(VALU_DEP_1) | instskip(SKIP_1) | instid1(VALU_DEP_1)
	v_and_b32_e32 v6, v22, v24
	s_waitcnt vmcnt(0)
	v_mad_u64_u32 v[26:27], null, v6, 24, v[29:30]
	v_and_b32_e32 v29, v23, v25
	s_delay_alu instid0(VALU_DEP_2) | instskip(NEXT) | instid1(VALU_DEP_1)
	v_mov_b32_e32 v6, v27
	v_mad_u64_u32 v[22:23], null, v29, 24, v[6:7]
	s_delay_alu instid0(VALU_DEP_1)
	v_mov_b32_e32 v27, v22
	global_load_b64 v[22:23], v[26:27], off glc
	s_waitcnt vmcnt(0)
	global_atomic_cmpswap_b64 v[26:27], v7, v[22:25], s[2:3] offset:24 glc
	s_waitcnt vmcnt(0)
	buffer_gl1_inv
	buffer_gl0_inv
	v_cmp_eq_u64_e32 vcc_lo, v[26:27], v[24:25]
	s_or_b32 s13, vcc_lo, s13
	s_delay_alu instid0(SALU_CYCLE_1)
	s_and_not1_b32 exec_lo, exec_lo, s13
	s_cbranch_execnz .LBB73_81
; %bb.82:                               ;   in Loop: Header=BB73_29 Depth=1
	s_or_b32 exec_lo, exec_lo, s13
.LBB73_83:                              ;   in Loop: Header=BB73_29 Depth=1
	s_delay_alu instid0(SALU_CYCLE_1)
	s_or_b32 exec_lo, exec_lo, s12
.LBB73_84:                              ;   in Loop: Header=BB73_29 Depth=1
	s_delay_alu instid0(SALU_CYCLE_1)
	s_or_b32 exec_lo, exec_lo, s1
	s_clause 0x1
	global_load_b64 v[29:30], v7, s[2:3] offset:40
	global_load_b128 v[22:25], v7, s[2:3]
	v_readfirstlane_b32 s12, v26
	v_readfirstlane_b32 s13, v27
	s_mov_b32 s1, exec_lo
	s_waitcnt vmcnt(1)
	v_readfirstlane_b32 s14, v29
	v_readfirstlane_b32 s15, v30
	s_delay_alu instid0(VALU_DEP_1) | instskip(NEXT) | instid1(SALU_CYCLE_1)
	s_and_b64 s[14:15], s[12:13], s[14:15]
	s_mul_i32 s16, s15, 24
	s_mul_hi_u32 s17, s14, 24
	s_mul_i32 s18, s14, 24
	s_add_i32 s17, s17, s16
	s_waitcnt vmcnt(0)
	v_add_co_u32 v26, vcc_lo, v22, s18
	v_add_co_ci_u32_e32 v27, vcc_lo, s17, v23, vcc_lo
	s_and_saveexec_b32 s16, s0
	s_cbranch_execz .LBB73_86
; %bb.85:                               ;   in Loop: Header=BB73_29 Depth=1
	v_mov_b32_e32 v6, s1
	global_store_b128 v[26:27], v[6:9], off offset:8
.LBB73_86:                              ;   in Loop: Header=BB73_29 Depth=1
	s_or_b32 exec_lo, exec_lo, s16
	s_lshl_b64 s[14:15], s[14:15], 12
	v_cmp_gt_u64_e64 vcc_lo, s[6:7], 56
	v_or_b32_e32 v6, 0, v1
	v_or_b32_e32 v29, v0, v28
	v_add_co_u32 v24, s1, v24, s14
	s_delay_alu instid0(VALU_DEP_1) | instskip(SKIP_1) | instid1(VALU_DEP_3)
	v_add_co_ci_u32_e64 v25, s1, s15, v25, s1
	s_lshl_b32 s1, s10, 2
	v_dual_cndmask_b32 v1, v6, v1 :: v_dual_cndmask_b32 v0, v29, v0
	s_add_i32 s1, s1, 28
	v_readfirstlane_b32 s14, v24
	s_and_b32 s1, s1, 0x1e0
	v_readfirstlane_b32 s15, v25
	v_and_or_b32 v0, 0xffffff1f, v0, s1
	s_clause 0x3
	global_store_b128 v31, v[0:3], s[14:15]
	global_store_b128 v31, v[10:13], s[14:15] offset:16
	global_store_b128 v31, v[14:17], s[14:15] offset:32
	;; [unrolled: 1-line block ×3, first 2 shown]
	s_and_saveexec_b32 s1, s0
	s_cbranch_execz .LBB73_94
; %bb.87:                               ;   in Loop: Header=BB73_29 Depth=1
	s_clause 0x1
	global_load_b64 v[14:15], v7, s[2:3] offset:32 glc
	global_load_b64 v[0:1], v7, s[2:3] offset:40
	v_dual_mov_b32 v12, s12 :: v_dual_mov_b32 v13, s13
	s_waitcnt vmcnt(0)
	v_readfirstlane_b32 s14, v0
	v_readfirstlane_b32 s15, v1
	s_delay_alu instid0(VALU_DEP_1) | instskip(NEXT) | instid1(SALU_CYCLE_1)
	s_and_b64 s[14:15], s[14:15], s[12:13]
	s_mul_i32 s15, s15, 24
	s_mul_hi_u32 s16, s14, 24
	s_mul_i32 s14, s14, 24
	s_add_i32 s16, s16, s15
	v_add_co_u32 v10, vcc_lo, v22, s14
	v_add_co_ci_u32_e32 v11, vcc_lo, s16, v23, vcc_lo
	s_mov_b32 s14, exec_lo
	global_store_b64 v[10:11], v[14:15], off
	s_waitcnt_vscnt null, 0x0
	global_atomic_cmpswap_b64 v[2:3], v7, v[12:15], s[2:3] offset:32 glc
	s_waitcnt vmcnt(0)
	v_cmpx_ne_u64_e64 v[2:3], v[14:15]
	s_cbranch_execz .LBB73_90
; %bb.88:                               ;   in Loop: Header=BB73_29 Depth=1
	s_mov_b32 s15, 0
.LBB73_89:                              ;   Parent Loop BB73_29 Depth=1
                                        ; =>  This Inner Loop Header: Depth=2
	v_dual_mov_b32 v0, s12 :: v_dual_mov_b32 v1, s13
	s_sleep 1
	global_store_b64 v[10:11], v[2:3], off
	s_waitcnt_vscnt null, 0x0
	global_atomic_cmpswap_b64 v[0:1], v7, v[0:3], s[2:3] offset:32 glc
	s_waitcnt vmcnt(0)
	v_cmp_eq_u64_e32 vcc_lo, v[0:1], v[2:3]
	v_dual_mov_b32 v3, v1 :: v_dual_mov_b32 v2, v0
	s_or_b32 s15, vcc_lo, s15
	s_delay_alu instid0(SALU_CYCLE_1)
	s_and_not1_b32 exec_lo, exec_lo, s15
	s_cbranch_execnz .LBB73_89
.LBB73_90:                              ;   in Loop: Header=BB73_29 Depth=1
	s_or_b32 exec_lo, exec_lo, s14
	global_load_b64 v[0:1], v7, s[2:3] offset:16
	s_mov_b32 s15, exec_lo
	s_mov_b32 s14, exec_lo
	v_mbcnt_lo_u32_b32 v2, s15, 0
	s_delay_alu instid0(VALU_DEP_1)
	v_cmpx_eq_u32_e32 0, v2
	s_cbranch_execz .LBB73_92
; %bb.91:                               ;   in Loop: Header=BB73_29 Depth=1
	s_bcnt1_i32_b32 s15, s15
	s_delay_alu instid0(SALU_CYCLE_1)
	v_mov_b32_e32 v6, s15
	s_waitcnt vmcnt(0)
	global_atomic_add_u64 v[0:1], v[6:7], off offset:8
.LBB73_92:                              ;   in Loop: Header=BB73_29 Depth=1
	s_or_b32 exec_lo, exec_lo, s14
	s_waitcnt vmcnt(0)
	global_load_b64 v[2:3], v[0:1], off offset:16
	s_waitcnt vmcnt(0)
	v_cmp_eq_u64_e32 vcc_lo, 0, v[2:3]
	s_cbranch_vccnz .LBB73_94
; %bb.93:                               ;   in Loop: Header=BB73_29 Depth=1
	global_load_b32 v6, v[0:1], off offset:24
	s_waitcnt vmcnt(0)
	v_and_b32_e32 v0, 0xffffff, v6
	s_waitcnt_vscnt null, 0x0
	global_store_b64 v[2:3], v[6:7], off
	v_readfirstlane_b32 m0, v0
	s_sendmsg sendmsg(MSG_INTERRUPT)
.LBB73_94:                              ;   in Loop: Header=BB73_29 Depth=1
	s_or_b32 exec_lo, exec_lo, s1
	v_add_co_u32 v0, vcc_lo, v24, v31
	v_add_co_ci_u32_e32 v1, vcc_lo, 0, v25, vcc_lo
	s_branch .LBB73_98
	.p2align	6
.LBB73_95:                              ;   in Loop: Header=BB73_98 Depth=2
	s_or_b32 exec_lo, exec_lo, s1
	s_delay_alu instid0(VALU_DEP_1) | instskip(NEXT) | instid1(VALU_DEP_1)
	v_readfirstlane_b32 s1, v2
	s_cmp_eq_u32 s1, 0
	s_cbranch_scc1 .LBB73_97
; %bb.96:                               ;   in Loop: Header=BB73_98 Depth=2
	s_sleep 1
	s_cbranch_execnz .LBB73_98
	s_branch .LBB73_100
	.p2align	6
.LBB73_97:                              ;   in Loop: Header=BB73_29 Depth=1
	s_branch .LBB73_100
.LBB73_98:                              ;   Parent Loop BB73_29 Depth=1
                                        ; =>  This Inner Loop Header: Depth=2
	v_mov_b32_e32 v2, 1
	s_and_saveexec_b32 s1, s0
	s_cbranch_execz .LBB73_95
; %bb.99:                               ;   in Loop: Header=BB73_98 Depth=2
	global_load_b32 v2, v[26:27], off offset:20 glc
	s_waitcnt vmcnt(0)
	buffer_gl1_inv
	buffer_gl0_inv
	v_and_b32_e32 v2, 1, v2
	s_branch .LBB73_95
.LBB73_100:                             ;   in Loop: Header=BB73_29 Depth=1
	global_load_b128 v[0:3], v[0:1], off
	s_and_saveexec_b32 s1, s0
	s_cbranch_execz .LBB73_28
; %bb.101:                              ;   in Loop: Header=BB73_29 Depth=1
	s_clause 0x2
	global_load_b64 v[2:3], v7, s[2:3] offset:40
	global_load_b64 v[14:15], v7, s[2:3] offset:24 glc
	global_load_b64 v[12:13], v7, s[2:3]
	s_waitcnt vmcnt(2)
	v_add_co_u32 v6, vcc_lo, v2, 1
	v_add_co_ci_u32_e32 v16, vcc_lo, 0, v3, vcc_lo
	s_delay_alu instid0(VALU_DEP_2) | instskip(NEXT) | instid1(VALU_DEP_2)
	v_add_co_u32 v10, vcc_lo, v6, s12
	v_add_co_ci_u32_e32 v11, vcc_lo, s13, v16, vcc_lo
	s_delay_alu instid0(VALU_DEP_1) | instskip(SKIP_1) | instid1(VALU_DEP_1)
	v_cmp_eq_u64_e32 vcc_lo, 0, v[10:11]
	v_dual_cndmask_b32 v11, v11, v16 :: v_dual_cndmask_b32 v10, v10, v6
	v_and_b32_e32 v3, v11, v3
	s_delay_alu instid0(VALU_DEP_2) | instskip(NEXT) | instid1(VALU_DEP_1)
	v_and_b32_e32 v2, v10, v2
	v_mul_hi_u32 v6, v2, 24
	v_mul_lo_u32 v2, v2, 24
	s_waitcnt vmcnt(0)
	s_delay_alu instid0(VALU_DEP_1) | instskip(SKIP_2) | instid1(VALU_DEP_1)
	v_add_co_u32 v2, vcc_lo, v12, v2
	v_mov_b32_e32 v12, v14
	v_mul_lo_u32 v3, v3, 24
	v_add_nc_u32_e32 v3, v6, v3
	s_delay_alu instid0(VALU_DEP_1)
	v_add_co_ci_u32_e32 v3, vcc_lo, v13, v3, vcc_lo
	v_mov_b32_e32 v13, v15
	global_store_b64 v[2:3], v[14:15], off
	s_waitcnt_vscnt null, 0x0
	global_atomic_cmpswap_b64 v[12:13], v7, v[10:13], s[2:3] offset:24 glc
	s_waitcnt vmcnt(0)
	v_cmp_ne_u64_e32 vcc_lo, v[12:13], v[14:15]
	s_and_b32 exec_lo, exec_lo, vcc_lo
	s_cbranch_execz .LBB73_28
; %bb.102:                              ;   in Loop: Header=BB73_29 Depth=1
	s_mov_b32 s0, 0
.LBB73_103:                             ;   Parent Loop BB73_29 Depth=1
                                        ; =>  This Inner Loop Header: Depth=2
	s_sleep 1
	global_store_b64 v[2:3], v[12:13], off
	s_waitcnt_vscnt null, 0x0
	global_atomic_cmpswap_b64 v[14:15], v7, v[10:13], s[2:3] offset:24 glc
	s_waitcnt vmcnt(0)
	v_cmp_eq_u64_e32 vcc_lo, v[14:15], v[12:13]
	v_dual_mov_b32 v12, v14 :: v_dual_mov_b32 v13, v15
	s_or_b32 s0, vcc_lo, s0
	s_delay_alu instid0(SALU_CYCLE_1)
	s_and_not1_b32 exec_lo, exec_lo, s0
	s_cbranch_execnz .LBB73_103
	s_branch .LBB73_28
.LBB73_104:
                                        ; implicit-def: $vgpr0_vgpr1
	s_cbranch_execnz .LBB73_106
	s_branch .LBB73_133
.LBB73_105:
	s_branch .LBB73_133
.LBB73_106:
	v_readfirstlane_b32 s0, v32
	v_mov_b32_e32 v7, 0
	v_mov_b32_e32 v8, 0
	s_delay_alu instid0(VALU_DEP_3) | instskip(NEXT) | instid1(VALU_DEP_1)
	v_cmp_eq_u32_e64 s0, s0, v32
	s_and_saveexec_b32 s1, s0
	s_cbranch_execz .LBB73_112
; %bb.107:
	s_waitcnt vmcnt(0)
	v_mov_b32_e32 v0, 0
	s_mov_b32 s4, exec_lo
	global_load_b64 v[9:10], v0, s[2:3] offset:24 glc
	s_waitcnt vmcnt(0)
	buffer_gl1_inv
	buffer_gl0_inv
	s_clause 0x1
	global_load_b64 v[1:2], v0, s[2:3] offset:40
	global_load_b64 v[6:7], v0, s[2:3]
	s_waitcnt vmcnt(1)
	v_and_b32_e32 v1, v1, v9
	v_and_b32_e32 v2, v2, v10
	s_delay_alu instid0(VALU_DEP_2) | instskip(NEXT) | instid1(VALU_DEP_2)
	v_mul_hi_u32 v3, v1, 24
	v_mul_lo_u32 v2, v2, 24
	v_mul_lo_u32 v1, v1, 24
	s_delay_alu instid0(VALU_DEP_2) | instskip(SKIP_1) | instid1(VALU_DEP_2)
	v_add_nc_u32_e32 v2, v3, v2
	s_waitcnt vmcnt(0)
	v_add_co_u32 v1, vcc_lo, v6, v1
	s_delay_alu instid0(VALU_DEP_2)
	v_add_co_ci_u32_e32 v2, vcc_lo, v7, v2, vcc_lo
	global_load_b64 v[7:8], v[1:2], off glc
	s_waitcnt vmcnt(0)
	global_atomic_cmpswap_b64 v[7:8], v0, v[7:10], s[2:3] offset:24 glc
	s_waitcnt vmcnt(0)
	buffer_gl1_inv
	buffer_gl0_inv
	v_cmpx_ne_u64_e64 v[7:8], v[9:10]
	s_cbranch_execz .LBB73_111
; %bb.108:
	s_mov_b32 s5, 0
	.p2align	6
.LBB73_109:                             ; =>This Inner Loop Header: Depth=1
	s_sleep 1
	s_clause 0x1
	global_load_b64 v[1:2], v0, s[2:3] offset:40
	global_load_b64 v[11:12], v0, s[2:3]
	v_dual_mov_b32 v10, v8 :: v_dual_mov_b32 v9, v7
	s_waitcnt vmcnt(1)
	s_delay_alu instid0(VALU_DEP_1) | instskip(SKIP_1) | instid1(VALU_DEP_1)
	v_and_b32_e32 v1, v1, v9
	s_waitcnt vmcnt(0)
	v_mad_u64_u32 v[6:7], null, v1, 24, v[11:12]
	s_delay_alu instid0(VALU_DEP_1) | instskip(NEXT) | instid1(VALU_DEP_1)
	v_dual_mov_b32 v1, v7 :: v_dual_and_b32 v8, v2, v10
	v_mad_u64_u32 v[2:3], null, v8, 24, v[1:2]
	s_delay_alu instid0(VALU_DEP_1)
	v_mov_b32_e32 v7, v2
	global_load_b64 v[7:8], v[6:7], off glc
	s_waitcnt vmcnt(0)
	global_atomic_cmpswap_b64 v[7:8], v0, v[7:10], s[2:3] offset:24 glc
	s_waitcnt vmcnt(0)
	buffer_gl1_inv
	buffer_gl0_inv
	v_cmp_eq_u64_e32 vcc_lo, v[7:8], v[9:10]
	s_or_b32 s5, vcc_lo, s5
	s_delay_alu instid0(SALU_CYCLE_1)
	s_and_not1_b32 exec_lo, exec_lo, s5
	s_cbranch_execnz .LBB73_109
; %bb.110:
	s_or_b32 exec_lo, exec_lo, s5
.LBB73_111:
	s_delay_alu instid0(SALU_CYCLE_1)
	s_or_b32 exec_lo, exec_lo, s4
.LBB73_112:
	s_delay_alu instid0(SALU_CYCLE_1)
	s_or_b32 exec_lo, exec_lo, s1
	v_mov_b32_e32 v6, 0
	v_readfirstlane_b32 s4, v7
	v_readfirstlane_b32 s5, v8
	s_mov_b32 s1, exec_lo
	s_clause 0x1
	global_load_b64 v[9:10], v6, s[2:3] offset:40
	global_load_b128 v[0:3], v6, s[2:3]
	s_waitcnt vmcnt(1)
	v_readfirstlane_b32 s6, v9
	v_readfirstlane_b32 s7, v10
	s_delay_alu instid0(VALU_DEP_1) | instskip(NEXT) | instid1(SALU_CYCLE_1)
	s_and_b64 s[6:7], s[4:5], s[6:7]
	s_mul_i32 s10, s7, 24
	s_mul_hi_u32 s11, s6, 24
	s_mul_i32 s12, s6, 24
	s_add_i32 s11, s11, s10
	s_waitcnt vmcnt(0)
	v_add_co_u32 v8, vcc_lo, v0, s12
	v_add_co_ci_u32_e32 v9, vcc_lo, s11, v1, vcc_lo
	s_and_saveexec_b32 s10, s0
	s_cbranch_execz .LBB73_114
; %bb.113:
	v_dual_mov_b32 v10, s1 :: v_dual_mov_b32 v11, v6
	v_dual_mov_b32 v12, 2 :: v_dual_mov_b32 v13, 1
	global_store_b128 v[8:9], v[10:13], off offset:8
.LBB73_114:
	s_or_b32 exec_lo, exec_lo, s10
	s_lshl_b64 s[6:7], s[6:7], 12
	s_mov_b32 s12, 0
	v_add_co_u32 v2, vcc_lo, v2, s6
	v_add_co_ci_u32_e32 v3, vcc_lo, s7, v3, vcc_lo
	s_mov_b32 s13, s12
	s_delay_alu instid0(VALU_DEP_2)
	v_add_co_u32 v10, vcc_lo, v2, v31
	s_mov_b32 s14, s12
	s_mov_b32 s15, s12
	v_and_or_b32 v4, 0xffffff1f, v4, 32
	v_dual_mov_b32 v7, v6 :: v_dual_mov_b32 v12, s12
	v_readfirstlane_b32 s6, v2
	v_readfirstlane_b32 s7, v3
	v_add_co_ci_u32_e32 v11, vcc_lo, 0, v3, vcc_lo
	v_dual_mov_b32 v13, s13 :: v_dual_mov_b32 v14, s14
	v_mov_b32_e32 v15, s15
	s_clause 0x3
	global_store_b128 v31, v[4:7], s[6:7]
	global_store_b128 v31, v[12:15], s[6:7] offset:16
	global_store_b128 v31, v[12:15], s[6:7] offset:32
	global_store_b128 v31, v[12:15], s[6:7] offset:48
	s_and_saveexec_b32 s1, s0
	s_cbranch_execz .LBB73_122
; %bb.115:
	v_dual_mov_b32 v6, 0 :: v_dual_mov_b32 v13, s5
	v_mov_b32_e32 v12, s4
	s_clause 0x1
	global_load_b64 v[14:15], v6, s[2:3] offset:32 glc
	global_load_b64 v[2:3], v6, s[2:3] offset:40
	s_waitcnt vmcnt(0)
	v_readfirstlane_b32 s6, v2
	v_readfirstlane_b32 s7, v3
	s_delay_alu instid0(VALU_DEP_1) | instskip(NEXT) | instid1(SALU_CYCLE_1)
	s_and_b64 s[6:7], s[6:7], s[4:5]
	s_mul_i32 s7, s7, 24
	s_mul_hi_u32 s10, s6, 24
	s_mul_i32 s6, s6, 24
	s_add_i32 s10, s10, s7
	v_add_co_u32 v4, vcc_lo, v0, s6
	v_add_co_ci_u32_e32 v5, vcc_lo, s10, v1, vcc_lo
	s_mov_b32 s6, exec_lo
	global_store_b64 v[4:5], v[14:15], off
	s_waitcnt_vscnt null, 0x0
	global_atomic_cmpswap_b64 v[2:3], v6, v[12:15], s[2:3] offset:32 glc
	s_waitcnt vmcnt(0)
	v_cmpx_ne_u64_e64 v[2:3], v[14:15]
	s_cbranch_execz .LBB73_118
; %bb.116:
	s_mov_b32 s7, 0
.LBB73_117:                             ; =>This Inner Loop Header: Depth=1
	v_dual_mov_b32 v0, s4 :: v_dual_mov_b32 v1, s5
	s_sleep 1
	global_store_b64 v[4:5], v[2:3], off
	s_waitcnt_vscnt null, 0x0
	global_atomic_cmpswap_b64 v[0:1], v6, v[0:3], s[2:3] offset:32 glc
	s_waitcnt vmcnt(0)
	v_cmp_eq_u64_e32 vcc_lo, v[0:1], v[2:3]
	v_dual_mov_b32 v3, v1 :: v_dual_mov_b32 v2, v0
	s_or_b32 s7, vcc_lo, s7
	s_delay_alu instid0(SALU_CYCLE_1)
	s_and_not1_b32 exec_lo, exec_lo, s7
	s_cbranch_execnz .LBB73_117
.LBB73_118:
	s_or_b32 exec_lo, exec_lo, s6
	v_mov_b32_e32 v3, 0
	s_mov_b32 s7, exec_lo
	s_mov_b32 s6, exec_lo
	v_mbcnt_lo_u32_b32 v2, s7, 0
	global_load_b64 v[0:1], v3, s[2:3] offset:16
	v_cmpx_eq_u32_e32 0, v2
	s_cbranch_execz .LBB73_120
; %bb.119:
	s_bcnt1_i32_b32 s7, s7
	s_delay_alu instid0(SALU_CYCLE_1)
	v_mov_b32_e32 v2, s7
	s_waitcnt vmcnt(0)
	global_atomic_add_u64 v[0:1], v[2:3], off offset:8
.LBB73_120:
	s_or_b32 exec_lo, exec_lo, s6
	s_waitcnt vmcnt(0)
	global_load_b64 v[2:3], v[0:1], off offset:16
	s_waitcnt vmcnt(0)
	v_cmp_eq_u64_e32 vcc_lo, 0, v[2:3]
	s_cbranch_vccnz .LBB73_122
; %bb.121:
	global_load_b32 v0, v[0:1], off offset:24
	s_waitcnt vmcnt(0)
	v_dual_mov_b32 v1, 0 :: v_dual_and_b32 v4, 0xffffff, v0
	s_waitcnt_vscnt null, 0x0
	global_store_b64 v[2:3], v[0:1], off
	v_readfirstlane_b32 m0, v4
	s_sendmsg sendmsg(MSG_INTERRUPT)
.LBB73_122:
	s_or_b32 exec_lo, exec_lo, s1
	s_branch .LBB73_126
	.p2align	6
.LBB73_123:                             ;   in Loop: Header=BB73_126 Depth=1
	s_or_b32 exec_lo, exec_lo, s1
	s_delay_alu instid0(VALU_DEP_1) | instskip(NEXT) | instid1(VALU_DEP_1)
	v_readfirstlane_b32 s1, v0
	s_cmp_eq_u32 s1, 0
	s_cbranch_scc1 .LBB73_125
; %bb.124:                              ;   in Loop: Header=BB73_126 Depth=1
	s_sleep 1
	s_cbranch_execnz .LBB73_126
	s_branch .LBB73_128
	.p2align	6
.LBB73_125:
	s_branch .LBB73_128
.LBB73_126:                             ; =>This Inner Loop Header: Depth=1
	v_mov_b32_e32 v0, 1
	s_and_saveexec_b32 s1, s0
	s_cbranch_execz .LBB73_123
; %bb.127:                              ;   in Loop: Header=BB73_126 Depth=1
	global_load_b32 v0, v[8:9], off offset:20 glc
	s_waitcnt vmcnt(0)
	buffer_gl1_inv
	buffer_gl0_inv
	v_and_b32_e32 v0, 1, v0
	s_branch .LBB73_123
.LBB73_128:
	global_load_b64 v[0:1], v[10:11], off
	s_and_saveexec_b32 s1, s0
	s_cbranch_execz .LBB73_132
; %bb.129:
	v_mov_b32_e32 v8, 0
	s_clause 0x2
	global_load_b64 v[4:5], v8, s[2:3] offset:40
	global_load_b64 v[9:10], v8, s[2:3] offset:24 glc
	global_load_b64 v[6:7], v8, s[2:3]
	s_waitcnt vmcnt(2)
	v_add_co_u32 v11, vcc_lo, v4, 1
	v_add_co_ci_u32_e32 v12, vcc_lo, 0, v5, vcc_lo
	s_delay_alu instid0(VALU_DEP_2) | instskip(NEXT) | instid1(VALU_DEP_2)
	v_add_co_u32 v2, vcc_lo, v11, s4
	v_add_co_ci_u32_e32 v3, vcc_lo, s5, v12, vcc_lo
	s_delay_alu instid0(VALU_DEP_1) | instskip(SKIP_1) | instid1(VALU_DEP_1)
	v_cmp_eq_u64_e32 vcc_lo, 0, v[2:3]
	v_dual_cndmask_b32 v3, v3, v12 :: v_dual_cndmask_b32 v2, v2, v11
	v_and_b32_e32 v5, v3, v5
	s_delay_alu instid0(VALU_DEP_2) | instskip(NEXT) | instid1(VALU_DEP_2)
	v_and_b32_e32 v4, v2, v4
	v_mul_lo_u32 v5, v5, 24
	s_delay_alu instid0(VALU_DEP_2) | instskip(SKIP_1) | instid1(VALU_DEP_2)
	v_mul_hi_u32 v11, v4, 24
	v_mul_lo_u32 v4, v4, 24
	v_add_nc_u32_e32 v5, v11, v5
	s_waitcnt vmcnt(0)
	s_delay_alu instid0(VALU_DEP_2) | instskip(SKIP_1) | instid1(VALU_DEP_3)
	v_add_co_u32 v6, vcc_lo, v6, v4
	v_mov_b32_e32 v4, v9
	v_add_co_ci_u32_e32 v7, vcc_lo, v7, v5, vcc_lo
	v_mov_b32_e32 v5, v10
	global_store_b64 v[6:7], v[9:10], off
	s_waitcnt_vscnt null, 0x0
	global_atomic_cmpswap_b64 v[4:5], v8, v[2:5], s[2:3] offset:24 glc
	s_waitcnt vmcnt(0)
	v_cmp_ne_u64_e32 vcc_lo, v[4:5], v[9:10]
	s_and_b32 exec_lo, exec_lo, vcc_lo
	s_cbranch_execz .LBB73_132
; %bb.130:
	s_mov_b32 s0, 0
.LBB73_131:                             ; =>This Inner Loop Header: Depth=1
	s_sleep 1
	global_store_b64 v[6:7], v[4:5], off
	s_waitcnt_vscnt null, 0x0
	global_atomic_cmpswap_b64 v[9:10], v8, v[2:5], s[2:3] offset:24 glc
	s_waitcnt vmcnt(0)
	v_cmp_eq_u64_e32 vcc_lo, v[9:10], v[4:5]
	v_dual_mov_b32 v4, v9 :: v_dual_mov_b32 v5, v10
	s_or_b32 s0, vcc_lo, s0
	s_delay_alu instid0(SALU_CYCLE_1)
	s_and_not1_b32 exec_lo, exec_lo, s0
	s_cbranch_execnz .LBB73_131
.LBB73_132:
	s_or_b32 exec_lo, exec_lo, s1
.LBB73_133:
	s_getpc_b64 s[0:1]
	s_add_u32 s0, s0, .str.1@rel32@lo+4
	s_addc_u32 s1, s1, .str.1@rel32@hi+12
	s_mov_b64 s[4:5], 0
	s_cmp_lg_u64 s[0:1], 0
	s_cselect_b32 s6, -1, 0
	s_cmp_eq_u64 s[0:1], 0
	s_cbranch_scc1 .LBB73_137
; %bb.134:
	s_waitcnt vmcnt(0)
	v_mov_b32_e32 v2, 0
	s_getpc_b64 s[0:1]
	s_add_u32 s0, s0, .str.1@rel32@lo+3
	s_addc_u32 s1, s1, .str.1@rel32@hi+11
.LBB73_135:                             ; =>This Inner Loop Header: Depth=1
	global_load_u8 v3, v2, s[0:1] offset:1
	s_add_u32 s4, s0, 1
	s_addc_u32 s5, s1, 0
	s_delay_alu instid0(SALU_CYCLE_1)
	s_mov_b64 s[0:1], s[4:5]
	s_waitcnt vmcnt(0)
	v_cmp_ne_u16_e32 vcc_lo, 0, v3
	s_cbranch_vccnz .LBB73_135
; %bb.136:
	s_getpc_b64 s[0:1]
	s_add_u32 s0, s0, .str.1@rel32@lo+4
	s_addc_u32 s1, s1, .str.1@rel32@hi+12
	s_sub_u32 s0, s4, s0
	s_subb_u32 s1, s5, s1
	s_add_u32 s4, s0, 1
	s_addc_u32 s5, s1, 0
.LBB73_137:
	s_and_b32 vcc_lo, exec_lo, s6
	s_cbranch_vccz .LBB73_215
; %bb.138:
	s_waitcnt vmcnt(0)
	v_dual_mov_b32 v6, 0 :: v_dual_and_b32 v33, 2, v0
	v_dual_mov_b32 v3, v1 :: v_dual_and_b32 v2, -3, v0
	v_dual_mov_b32 v7, 2 :: v_dual_mov_b32 v8, 1
	s_getpc_b64 s[6:7]
	s_add_u32 s6, s6, .str.1@rel32@lo+4
	s_addc_u32 s7, s7, .str.1@rel32@hi+12
	s_branch .LBB73_140
.LBB73_139:                             ;   in Loop: Header=BB73_140 Depth=1
	s_or_b32 exec_lo, exec_lo, s1
	s_sub_u32 s4, s4, s10
	s_subb_u32 s5, s5, s11
	s_add_u32 s6, s6, s10
	s_addc_u32 s7, s7, s11
	s_cmp_lg_u64 s[4:5], 0
	s_cbranch_scc0 .LBB73_216
.LBB73_140:                             ; =>This Loop Header: Depth=1
                                        ;     Child Loop BB73_149 Depth 2
                                        ;     Child Loop BB73_145 Depth 2
	;; [unrolled: 1-line block ×11, first 2 shown]
	v_cmp_lt_u64_e64 s0, s[4:5], 56
	v_cmp_gt_u64_e64 s1, s[4:5], 7
                                        ; implicit-def: $vgpr11_vgpr12
                                        ; implicit-def: $sgpr16
	s_delay_alu instid0(VALU_DEP_2) | instskip(SKIP_2) | instid1(VALU_DEP_1)
	s_and_b32 s0, s0, exec_lo
	s_cselect_b32 s11, s5, 0
	s_cselect_b32 s10, s4, 56
	s_and_b32 vcc_lo, exec_lo, s1
	s_mov_b32 s0, -1
	s_cbranch_vccz .LBB73_147
; %bb.141:                              ;   in Loop: Header=BB73_140 Depth=1
	s_and_not1_b32 vcc_lo, exec_lo, s0
	s_mov_b64 s[0:1], s[6:7]
	s_cbranch_vccz .LBB73_151
.LBB73_142:                             ;   in Loop: Header=BB73_140 Depth=1
	s_cmp_gt_u32 s16, 7
	s_cbranch_scc1 .LBB73_152
.LBB73_143:                             ;   in Loop: Header=BB73_140 Depth=1
	v_mov_b32_e32 v13, 0
	v_mov_b32_e32 v14, 0
	s_cmp_eq_u32 s16, 0
	s_cbranch_scc1 .LBB73_146
; %bb.144:                              ;   in Loop: Header=BB73_140 Depth=1
	s_mov_b64 s[12:13], 0
	s_mov_b64 s[14:15], 0
.LBB73_145:                             ;   Parent Loop BB73_140 Depth=1
                                        ; =>  This Inner Loop Header: Depth=2
	s_delay_alu instid0(SALU_CYCLE_1)
	s_add_u32 s18, s0, s14
	s_addc_u32 s19, s1, s15
	s_add_u32 s14, s14, 1
	global_load_u8 v4, v6, s[18:19]
	s_addc_u32 s15, s15, 0
	s_waitcnt vmcnt(0)
	v_and_b32_e32 v5, 0xffff, v4
	s_delay_alu instid0(VALU_DEP_1) | instskip(SKIP_3) | instid1(VALU_DEP_1)
	v_lshlrev_b64 v[4:5], s12, v[5:6]
	s_add_u32 s12, s12, 8
	s_addc_u32 s13, s13, 0
	s_cmp_lg_u32 s16, s14
	v_or_b32_e32 v13, v4, v13
	s_delay_alu instid0(VALU_DEP_2)
	v_or_b32_e32 v14, v5, v14
	s_cbranch_scc1 .LBB73_145
.LBB73_146:                             ;   in Loop: Header=BB73_140 Depth=1
	s_mov_b32 s17, 0
	s_cbranch_execz .LBB73_153
	s_branch .LBB73_154
.LBB73_147:                             ;   in Loop: Header=BB73_140 Depth=1
	v_mov_b32_e32 v11, 0
	v_mov_b32_e32 v12, 0
	s_cmp_eq_u64 s[4:5], 0
	s_mov_b64 s[0:1], 0
	s_cbranch_scc1 .LBB73_150
; %bb.148:                              ;   in Loop: Header=BB73_140 Depth=1
	v_mov_b32_e32 v11, 0
	v_mov_b32_e32 v12, 0
	s_lshl_b64 s[12:13], s[10:11], 3
	s_mov_b64 s[14:15], s[6:7]
.LBB73_149:                             ;   Parent Loop BB73_140 Depth=1
                                        ; =>  This Inner Loop Header: Depth=2
	global_load_u8 v4, v6, s[14:15]
	s_waitcnt vmcnt(0)
	v_and_b32_e32 v5, 0xffff, v4
	s_delay_alu instid0(VALU_DEP_1)
	v_lshlrev_b64 v[4:5], s0, v[5:6]
	s_add_u32 s0, s0, 8
	s_addc_u32 s1, s1, 0
	s_add_u32 s14, s14, 1
	s_addc_u32 s15, s15, 0
	s_cmp_lg_u32 s12, s0
	v_or_b32_e32 v11, v4, v11
	v_or_b32_e32 v12, v5, v12
	s_cbranch_scc1 .LBB73_149
.LBB73_150:                             ;   in Loop: Header=BB73_140 Depth=1
	s_mov_b32 s16, 0
	s_mov_b64 s[0:1], s[6:7]
	s_cbranch_execnz .LBB73_142
.LBB73_151:                             ;   in Loop: Header=BB73_140 Depth=1
	global_load_b64 v[11:12], v6, s[6:7]
	s_add_i32 s16, s10, -8
	s_add_u32 s0, s6, 8
	s_addc_u32 s1, s7, 0
	s_cmp_gt_u32 s16, 7
	s_cbranch_scc0 .LBB73_143
.LBB73_152:                             ;   in Loop: Header=BB73_140 Depth=1
                                        ; implicit-def: $vgpr13_vgpr14
                                        ; implicit-def: $sgpr17
.LBB73_153:                             ;   in Loop: Header=BB73_140 Depth=1
	global_load_b64 v[13:14], v6, s[0:1]
	s_add_i32 s17, s16, -8
	s_add_u32 s0, s0, 8
	s_addc_u32 s1, s1, 0
.LBB73_154:                             ;   in Loop: Header=BB73_140 Depth=1
	s_cmp_gt_u32 s17, 7
	s_cbranch_scc1 .LBB73_159
; %bb.155:                              ;   in Loop: Header=BB73_140 Depth=1
	v_mov_b32_e32 v15, 0
	v_mov_b32_e32 v16, 0
	s_cmp_eq_u32 s17, 0
	s_cbranch_scc1 .LBB73_158
; %bb.156:                              ;   in Loop: Header=BB73_140 Depth=1
	s_mov_b64 s[12:13], 0
	s_mov_b64 s[14:15], 0
.LBB73_157:                             ;   Parent Loop BB73_140 Depth=1
                                        ; =>  This Inner Loop Header: Depth=2
	s_delay_alu instid0(SALU_CYCLE_1)
	s_add_u32 s18, s0, s14
	s_addc_u32 s19, s1, s15
	s_add_u32 s14, s14, 1
	global_load_u8 v4, v6, s[18:19]
	s_addc_u32 s15, s15, 0
	s_waitcnt vmcnt(0)
	v_and_b32_e32 v5, 0xffff, v4
	s_delay_alu instid0(VALU_DEP_1) | instskip(SKIP_3) | instid1(VALU_DEP_1)
	v_lshlrev_b64 v[4:5], s12, v[5:6]
	s_add_u32 s12, s12, 8
	s_addc_u32 s13, s13, 0
	s_cmp_lg_u32 s17, s14
	v_or_b32_e32 v15, v4, v15
	s_delay_alu instid0(VALU_DEP_2)
	v_or_b32_e32 v16, v5, v16
	s_cbranch_scc1 .LBB73_157
.LBB73_158:                             ;   in Loop: Header=BB73_140 Depth=1
	s_mov_b32 s16, 0
	s_cbranch_execz .LBB73_160
	s_branch .LBB73_161
.LBB73_159:                             ;   in Loop: Header=BB73_140 Depth=1
                                        ; implicit-def: $sgpr16
.LBB73_160:                             ;   in Loop: Header=BB73_140 Depth=1
	global_load_b64 v[15:16], v6, s[0:1]
	s_add_i32 s16, s17, -8
	s_add_u32 s0, s0, 8
	s_addc_u32 s1, s1, 0
.LBB73_161:                             ;   in Loop: Header=BB73_140 Depth=1
	s_cmp_gt_u32 s16, 7
	s_cbranch_scc1 .LBB73_166
; %bb.162:                              ;   in Loop: Header=BB73_140 Depth=1
	v_mov_b32_e32 v17, 0
	v_mov_b32_e32 v18, 0
	s_cmp_eq_u32 s16, 0
	s_cbranch_scc1 .LBB73_165
; %bb.163:                              ;   in Loop: Header=BB73_140 Depth=1
	s_mov_b64 s[12:13], 0
	s_mov_b64 s[14:15], 0
.LBB73_164:                             ;   Parent Loop BB73_140 Depth=1
                                        ; =>  This Inner Loop Header: Depth=2
	s_delay_alu instid0(SALU_CYCLE_1)
	s_add_u32 s18, s0, s14
	s_addc_u32 s19, s1, s15
	s_add_u32 s14, s14, 1
	global_load_u8 v4, v6, s[18:19]
	s_addc_u32 s15, s15, 0
	s_waitcnt vmcnt(0)
	v_and_b32_e32 v5, 0xffff, v4
	s_delay_alu instid0(VALU_DEP_1) | instskip(SKIP_3) | instid1(VALU_DEP_1)
	v_lshlrev_b64 v[4:5], s12, v[5:6]
	s_add_u32 s12, s12, 8
	s_addc_u32 s13, s13, 0
	s_cmp_lg_u32 s16, s14
	v_or_b32_e32 v17, v4, v17
	s_delay_alu instid0(VALU_DEP_2)
	v_or_b32_e32 v18, v5, v18
	s_cbranch_scc1 .LBB73_164
.LBB73_165:                             ;   in Loop: Header=BB73_140 Depth=1
	s_mov_b32 s17, 0
	s_cbranch_execz .LBB73_167
	s_branch .LBB73_168
.LBB73_166:                             ;   in Loop: Header=BB73_140 Depth=1
                                        ; implicit-def: $vgpr17_vgpr18
                                        ; implicit-def: $sgpr17
.LBB73_167:                             ;   in Loop: Header=BB73_140 Depth=1
	global_load_b64 v[17:18], v6, s[0:1]
	s_add_i32 s17, s16, -8
	s_add_u32 s0, s0, 8
	s_addc_u32 s1, s1, 0
.LBB73_168:                             ;   in Loop: Header=BB73_140 Depth=1
	s_cmp_gt_u32 s17, 7
	s_cbranch_scc1 .LBB73_173
; %bb.169:                              ;   in Loop: Header=BB73_140 Depth=1
	v_mov_b32_e32 v19, 0
	v_mov_b32_e32 v20, 0
	s_cmp_eq_u32 s17, 0
	s_cbranch_scc1 .LBB73_172
; %bb.170:                              ;   in Loop: Header=BB73_140 Depth=1
	s_mov_b64 s[12:13], 0
	s_mov_b64 s[14:15], 0
.LBB73_171:                             ;   Parent Loop BB73_140 Depth=1
                                        ; =>  This Inner Loop Header: Depth=2
	s_delay_alu instid0(SALU_CYCLE_1)
	s_add_u32 s18, s0, s14
	s_addc_u32 s19, s1, s15
	s_add_u32 s14, s14, 1
	global_load_u8 v4, v6, s[18:19]
	s_addc_u32 s15, s15, 0
	s_waitcnt vmcnt(0)
	v_and_b32_e32 v5, 0xffff, v4
	s_delay_alu instid0(VALU_DEP_1) | instskip(SKIP_3) | instid1(VALU_DEP_1)
	v_lshlrev_b64 v[4:5], s12, v[5:6]
	s_add_u32 s12, s12, 8
	s_addc_u32 s13, s13, 0
	s_cmp_lg_u32 s17, s14
	v_or_b32_e32 v19, v4, v19
	s_delay_alu instid0(VALU_DEP_2)
	v_or_b32_e32 v20, v5, v20
	s_cbranch_scc1 .LBB73_171
.LBB73_172:                             ;   in Loop: Header=BB73_140 Depth=1
	s_mov_b32 s16, 0
	s_cbranch_execz .LBB73_174
	s_branch .LBB73_175
.LBB73_173:                             ;   in Loop: Header=BB73_140 Depth=1
                                        ; implicit-def: $sgpr16
.LBB73_174:                             ;   in Loop: Header=BB73_140 Depth=1
	global_load_b64 v[19:20], v6, s[0:1]
	s_add_i32 s16, s17, -8
	s_add_u32 s0, s0, 8
	s_addc_u32 s1, s1, 0
.LBB73_175:                             ;   in Loop: Header=BB73_140 Depth=1
	s_cmp_gt_u32 s16, 7
	s_cbranch_scc1 .LBB73_180
; %bb.176:                              ;   in Loop: Header=BB73_140 Depth=1
	v_mov_b32_e32 v21, 0
	v_mov_b32_e32 v22, 0
	s_cmp_eq_u32 s16, 0
	s_cbranch_scc1 .LBB73_179
; %bb.177:                              ;   in Loop: Header=BB73_140 Depth=1
	s_mov_b64 s[12:13], 0
	s_mov_b64 s[14:15], 0
.LBB73_178:                             ;   Parent Loop BB73_140 Depth=1
                                        ; =>  This Inner Loop Header: Depth=2
	s_delay_alu instid0(SALU_CYCLE_1)
	s_add_u32 s18, s0, s14
	s_addc_u32 s19, s1, s15
	s_add_u32 s14, s14, 1
	global_load_u8 v4, v6, s[18:19]
	s_addc_u32 s15, s15, 0
	s_waitcnt vmcnt(0)
	v_and_b32_e32 v5, 0xffff, v4
	s_delay_alu instid0(VALU_DEP_1) | instskip(SKIP_3) | instid1(VALU_DEP_1)
	v_lshlrev_b64 v[4:5], s12, v[5:6]
	s_add_u32 s12, s12, 8
	s_addc_u32 s13, s13, 0
	s_cmp_lg_u32 s16, s14
	v_or_b32_e32 v21, v4, v21
	s_delay_alu instid0(VALU_DEP_2)
	v_or_b32_e32 v22, v5, v22
	s_cbranch_scc1 .LBB73_178
.LBB73_179:                             ;   in Loop: Header=BB73_140 Depth=1
	s_mov_b32 s17, 0
	s_cbranch_execz .LBB73_181
	s_branch .LBB73_182
.LBB73_180:                             ;   in Loop: Header=BB73_140 Depth=1
                                        ; implicit-def: $vgpr21_vgpr22
                                        ; implicit-def: $sgpr17
.LBB73_181:                             ;   in Loop: Header=BB73_140 Depth=1
	global_load_b64 v[21:22], v6, s[0:1]
	s_add_i32 s17, s16, -8
	s_add_u32 s0, s0, 8
	s_addc_u32 s1, s1, 0
.LBB73_182:                             ;   in Loop: Header=BB73_140 Depth=1
	s_cmp_gt_u32 s17, 7
	s_cbranch_scc1 .LBB73_187
; %bb.183:                              ;   in Loop: Header=BB73_140 Depth=1
	v_mov_b32_e32 v23, 0
	v_mov_b32_e32 v24, 0
	s_cmp_eq_u32 s17, 0
	s_cbranch_scc1 .LBB73_186
; %bb.184:                              ;   in Loop: Header=BB73_140 Depth=1
	s_mov_b64 s[12:13], 0
	s_mov_b64 s[14:15], s[0:1]
.LBB73_185:                             ;   Parent Loop BB73_140 Depth=1
                                        ; =>  This Inner Loop Header: Depth=2
	global_load_u8 v4, v6, s[14:15]
	s_add_i32 s17, s17, -1
	s_waitcnt vmcnt(0)
	v_and_b32_e32 v5, 0xffff, v4
	s_delay_alu instid0(VALU_DEP_1)
	v_lshlrev_b64 v[4:5], s12, v[5:6]
	s_add_u32 s12, s12, 8
	s_addc_u32 s13, s13, 0
	s_add_u32 s14, s14, 1
	s_addc_u32 s15, s15, 0
	s_cmp_lg_u32 s17, 0
	v_or_b32_e32 v23, v4, v23
	v_or_b32_e32 v24, v5, v24
	s_cbranch_scc1 .LBB73_185
.LBB73_186:                             ;   in Loop: Header=BB73_140 Depth=1
	s_cbranch_execz .LBB73_188
	s_branch .LBB73_189
.LBB73_187:                             ;   in Loop: Header=BB73_140 Depth=1
.LBB73_188:                             ;   in Loop: Header=BB73_140 Depth=1
	global_load_b64 v[23:24], v6, s[0:1]
.LBB73_189:                             ;   in Loop: Header=BB73_140 Depth=1
	v_readfirstlane_b32 s0, v32
	s_waitcnt vmcnt(0)
	v_mov_b32_e32 v4, 0
	v_mov_b32_e32 v5, 0
	s_delay_alu instid0(VALU_DEP_3) | instskip(NEXT) | instid1(VALU_DEP_1)
	v_cmp_eq_u32_e64 s0, s0, v32
	s_and_saveexec_b32 s1, s0
	s_cbranch_execz .LBB73_195
; %bb.190:                              ;   in Loop: Header=BB73_140 Depth=1
	global_load_b64 v[27:28], v6, s[2:3] offset:24 glc
	s_waitcnt vmcnt(0)
	buffer_gl1_inv
	buffer_gl0_inv
	s_clause 0x1
	global_load_b64 v[4:5], v6, s[2:3] offset:40
	global_load_b64 v[9:10], v6, s[2:3]
	s_mov_b32 s12, exec_lo
	s_waitcnt vmcnt(1)
	v_and_b32_e32 v5, v5, v28
	v_and_b32_e32 v4, v4, v27
	s_delay_alu instid0(VALU_DEP_2) | instskip(NEXT) | instid1(VALU_DEP_2)
	v_mul_lo_u32 v5, v5, 24
	v_mul_hi_u32 v25, v4, 24
	v_mul_lo_u32 v4, v4, 24
	s_delay_alu instid0(VALU_DEP_2) | instskip(SKIP_1) | instid1(VALU_DEP_2)
	v_add_nc_u32_e32 v5, v25, v5
	s_waitcnt vmcnt(0)
	v_add_co_u32 v4, vcc_lo, v9, v4
	s_delay_alu instid0(VALU_DEP_2)
	v_add_co_ci_u32_e32 v5, vcc_lo, v10, v5, vcc_lo
	global_load_b64 v[25:26], v[4:5], off glc
	s_waitcnt vmcnt(0)
	global_atomic_cmpswap_b64 v[4:5], v6, v[25:28], s[2:3] offset:24 glc
	s_waitcnt vmcnt(0)
	buffer_gl1_inv
	buffer_gl0_inv
	v_cmpx_ne_u64_e64 v[4:5], v[27:28]
	s_cbranch_execz .LBB73_194
; %bb.191:                              ;   in Loop: Header=BB73_140 Depth=1
	s_mov_b32 s13, 0
	.p2align	6
.LBB73_192:                             ;   Parent Loop BB73_140 Depth=1
                                        ; =>  This Inner Loop Header: Depth=2
	s_sleep 1
	s_clause 0x1
	global_load_b64 v[9:10], v6, s[2:3] offset:40
	global_load_b64 v[25:26], v6, s[2:3]
	v_dual_mov_b32 v28, v5 :: v_dual_mov_b32 v27, v4
	s_waitcnt vmcnt(1)
	s_delay_alu instid0(VALU_DEP_1) | instskip(SKIP_1) | instid1(VALU_DEP_1)
	v_and_b32_e32 v9, v9, v27
	s_waitcnt vmcnt(0)
	v_mad_u64_u32 v[4:5], null, v9, 24, v[25:26]
	v_and_b32_e32 v25, v10, v28
	s_delay_alu instid0(VALU_DEP_1) | instskip(NEXT) | instid1(VALU_DEP_1)
	v_mad_u64_u32 v[9:10], null, v25, 24, v[5:6]
	v_mov_b32_e32 v5, v9
	global_load_b64 v[25:26], v[4:5], off glc
	s_waitcnt vmcnt(0)
	global_atomic_cmpswap_b64 v[4:5], v6, v[25:28], s[2:3] offset:24 glc
	s_waitcnt vmcnt(0)
	buffer_gl1_inv
	buffer_gl0_inv
	v_cmp_eq_u64_e32 vcc_lo, v[4:5], v[27:28]
	s_or_b32 s13, vcc_lo, s13
	s_delay_alu instid0(SALU_CYCLE_1)
	s_and_not1_b32 exec_lo, exec_lo, s13
	s_cbranch_execnz .LBB73_192
; %bb.193:                              ;   in Loop: Header=BB73_140 Depth=1
	s_or_b32 exec_lo, exec_lo, s13
.LBB73_194:                             ;   in Loop: Header=BB73_140 Depth=1
	s_delay_alu instid0(SALU_CYCLE_1)
	s_or_b32 exec_lo, exec_lo, s12
.LBB73_195:                             ;   in Loop: Header=BB73_140 Depth=1
	s_delay_alu instid0(SALU_CYCLE_1)
	s_or_b32 exec_lo, exec_lo, s1
	s_clause 0x1
	global_load_b64 v[9:10], v6, s[2:3] offset:40
	global_load_b128 v[25:28], v6, s[2:3]
	v_readfirstlane_b32 s12, v4
	v_readfirstlane_b32 s13, v5
	s_mov_b32 s1, exec_lo
	s_waitcnt vmcnt(1)
	v_readfirstlane_b32 s14, v9
	v_readfirstlane_b32 s15, v10
	s_delay_alu instid0(VALU_DEP_1) | instskip(NEXT) | instid1(SALU_CYCLE_1)
	s_and_b64 s[14:15], s[12:13], s[14:15]
	s_mul_i32 s16, s15, 24
	s_mul_hi_u32 s17, s14, 24
	s_mul_i32 s18, s14, 24
	s_add_i32 s17, s17, s16
	s_waitcnt vmcnt(0)
	v_add_co_u32 v29, vcc_lo, v25, s18
	v_add_co_ci_u32_e32 v30, vcc_lo, s17, v26, vcc_lo
	s_and_saveexec_b32 s16, s0
	s_cbranch_execz .LBB73_197
; %bb.196:                              ;   in Loop: Header=BB73_140 Depth=1
	v_mov_b32_e32 v5, s1
	global_store_b128 v[29:30], v[5:8], off offset:8
.LBB73_197:                             ;   in Loop: Header=BB73_140 Depth=1
	s_or_b32 exec_lo, exec_lo, s16
	s_lshl_b64 s[14:15], s[14:15], 12
	v_cmp_gt_u64_e64 vcc_lo, s[4:5], 56
	v_or_b32_e32 v5, v2, v33
	v_add_co_u32 v27, s1, v27, s14
	s_delay_alu instid0(VALU_DEP_1)
	v_add_co_ci_u32_e64 v28, s1, s15, v28, s1
	s_lshl_b32 s1, s10, 2
	v_or_b32_e32 v4, 0, v3
	v_cndmask_b32_e32 v2, v5, v2, vcc_lo
	s_add_i32 s1, s1, 28
	v_readfirstlane_b32 s14, v27
	s_and_b32 s1, s1, 0x1e0
	v_cndmask_b32_e32 v10, v4, v3, vcc_lo
	v_readfirstlane_b32 s15, v28
	v_and_or_b32 v9, 0xffffff1f, v2, s1
	s_clause 0x3
	global_store_b128 v31, v[9:12], s[14:15]
	global_store_b128 v31, v[13:16], s[14:15] offset:16
	global_store_b128 v31, v[17:20], s[14:15] offset:32
	;; [unrolled: 1-line block ×3, first 2 shown]
	s_and_saveexec_b32 s1, s0
	s_cbranch_execz .LBB73_205
; %bb.198:                              ;   in Loop: Header=BB73_140 Depth=1
	s_clause 0x1
	global_load_b64 v[13:14], v6, s[2:3] offset:32 glc
	global_load_b64 v[2:3], v6, s[2:3] offset:40
	v_dual_mov_b32 v11, s12 :: v_dual_mov_b32 v12, s13
	s_waitcnt vmcnt(0)
	v_readfirstlane_b32 s14, v2
	v_readfirstlane_b32 s15, v3
	s_delay_alu instid0(VALU_DEP_1) | instskip(NEXT) | instid1(SALU_CYCLE_1)
	s_and_b64 s[14:15], s[14:15], s[12:13]
	s_mul_i32 s15, s15, 24
	s_mul_hi_u32 s16, s14, 24
	s_mul_i32 s14, s14, 24
	s_add_i32 s16, s16, s15
	v_add_co_u32 v9, vcc_lo, v25, s14
	v_add_co_ci_u32_e32 v10, vcc_lo, s16, v26, vcc_lo
	s_mov_b32 s14, exec_lo
	global_store_b64 v[9:10], v[13:14], off
	s_waitcnt_vscnt null, 0x0
	global_atomic_cmpswap_b64 v[4:5], v6, v[11:14], s[2:3] offset:32 glc
	s_waitcnt vmcnt(0)
	v_cmpx_ne_u64_e64 v[4:5], v[13:14]
	s_cbranch_execz .LBB73_201
; %bb.199:                              ;   in Loop: Header=BB73_140 Depth=1
	s_mov_b32 s15, 0
.LBB73_200:                             ;   Parent Loop BB73_140 Depth=1
                                        ; =>  This Inner Loop Header: Depth=2
	v_dual_mov_b32 v2, s12 :: v_dual_mov_b32 v3, s13
	s_sleep 1
	global_store_b64 v[9:10], v[4:5], off
	s_waitcnt_vscnt null, 0x0
	global_atomic_cmpswap_b64 v[2:3], v6, v[2:5], s[2:3] offset:32 glc
	s_waitcnt vmcnt(0)
	v_cmp_eq_u64_e32 vcc_lo, v[2:3], v[4:5]
	v_dual_mov_b32 v5, v3 :: v_dual_mov_b32 v4, v2
	s_or_b32 s15, vcc_lo, s15
	s_delay_alu instid0(SALU_CYCLE_1)
	s_and_not1_b32 exec_lo, exec_lo, s15
	s_cbranch_execnz .LBB73_200
.LBB73_201:                             ;   in Loop: Header=BB73_140 Depth=1
	s_or_b32 exec_lo, exec_lo, s14
	global_load_b64 v[2:3], v6, s[2:3] offset:16
	s_mov_b32 s15, exec_lo
	s_mov_b32 s14, exec_lo
	v_mbcnt_lo_u32_b32 v4, s15, 0
	s_delay_alu instid0(VALU_DEP_1)
	v_cmpx_eq_u32_e32 0, v4
	s_cbranch_execz .LBB73_203
; %bb.202:                              ;   in Loop: Header=BB73_140 Depth=1
	s_bcnt1_i32_b32 s15, s15
	s_delay_alu instid0(SALU_CYCLE_1)
	v_mov_b32_e32 v5, s15
	s_waitcnt vmcnt(0)
	global_atomic_add_u64 v[2:3], v[5:6], off offset:8
.LBB73_203:                             ;   in Loop: Header=BB73_140 Depth=1
	s_or_b32 exec_lo, exec_lo, s14
	s_waitcnt vmcnt(0)
	global_load_b64 v[9:10], v[2:3], off offset:16
	s_waitcnt vmcnt(0)
	v_cmp_eq_u64_e32 vcc_lo, 0, v[9:10]
	s_cbranch_vccnz .LBB73_205
; %bb.204:                              ;   in Loop: Header=BB73_140 Depth=1
	global_load_b32 v5, v[2:3], off offset:24
	s_waitcnt vmcnt(0)
	v_and_b32_e32 v2, 0xffffff, v5
	s_waitcnt_vscnt null, 0x0
	global_store_b64 v[9:10], v[5:6], off
	v_readfirstlane_b32 m0, v2
	s_sendmsg sendmsg(MSG_INTERRUPT)
.LBB73_205:                             ;   in Loop: Header=BB73_140 Depth=1
	s_or_b32 exec_lo, exec_lo, s1
	v_add_co_u32 v2, vcc_lo, v27, v31
	v_add_co_ci_u32_e32 v3, vcc_lo, 0, v28, vcc_lo
	s_branch .LBB73_209
	.p2align	6
.LBB73_206:                             ;   in Loop: Header=BB73_209 Depth=2
	s_or_b32 exec_lo, exec_lo, s1
	s_delay_alu instid0(VALU_DEP_1) | instskip(NEXT) | instid1(VALU_DEP_1)
	v_readfirstlane_b32 s1, v4
	s_cmp_eq_u32 s1, 0
	s_cbranch_scc1 .LBB73_208
; %bb.207:                              ;   in Loop: Header=BB73_209 Depth=2
	s_sleep 1
	s_cbranch_execnz .LBB73_209
	s_branch .LBB73_211
	.p2align	6
.LBB73_208:                             ;   in Loop: Header=BB73_140 Depth=1
	s_branch .LBB73_211
.LBB73_209:                             ;   Parent Loop BB73_140 Depth=1
                                        ; =>  This Inner Loop Header: Depth=2
	v_mov_b32_e32 v4, 1
	s_and_saveexec_b32 s1, s0
	s_cbranch_execz .LBB73_206
; %bb.210:                              ;   in Loop: Header=BB73_209 Depth=2
	global_load_b32 v4, v[29:30], off offset:20 glc
	s_waitcnt vmcnt(0)
	buffer_gl1_inv
	buffer_gl0_inv
	v_and_b32_e32 v4, 1, v4
	s_branch .LBB73_206
.LBB73_211:                             ;   in Loop: Header=BB73_140 Depth=1
	global_load_b128 v[2:5], v[2:3], off
	s_and_saveexec_b32 s1, s0
	s_cbranch_execz .LBB73_139
; %bb.212:                              ;   in Loop: Header=BB73_140 Depth=1
	s_clause 0x2
	global_load_b64 v[4:5], v6, s[2:3] offset:40
	global_load_b64 v[13:14], v6, s[2:3] offset:24 glc
	global_load_b64 v[11:12], v6, s[2:3]
	s_waitcnt vmcnt(2)
	v_add_co_u32 v15, vcc_lo, v4, 1
	v_add_co_ci_u32_e32 v16, vcc_lo, 0, v5, vcc_lo
	s_delay_alu instid0(VALU_DEP_2) | instskip(NEXT) | instid1(VALU_DEP_2)
	v_add_co_u32 v9, vcc_lo, v15, s12
	v_add_co_ci_u32_e32 v10, vcc_lo, s13, v16, vcc_lo
	s_delay_alu instid0(VALU_DEP_1) | instskip(SKIP_1) | instid1(VALU_DEP_1)
	v_cmp_eq_u64_e32 vcc_lo, 0, v[9:10]
	v_dual_cndmask_b32 v10, v10, v16 :: v_dual_cndmask_b32 v9, v9, v15
	v_and_b32_e32 v5, v10, v5
	s_delay_alu instid0(VALU_DEP_2) | instskip(NEXT) | instid1(VALU_DEP_2)
	v_and_b32_e32 v4, v9, v4
	v_mul_lo_u32 v5, v5, 24
	s_delay_alu instid0(VALU_DEP_2) | instskip(SKIP_1) | instid1(VALU_DEP_2)
	v_mul_hi_u32 v15, v4, 24
	v_mul_lo_u32 v4, v4, 24
	v_add_nc_u32_e32 v5, v15, v5
	s_waitcnt vmcnt(0)
	s_delay_alu instid0(VALU_DEP_2) | instskip(SKIP_1) | instid1(VALU_DEP_3)
	v_add_co_u32 v4, vcc_lo, v11, v4
	v_mov_b32_e32 v11, v13
	v_add_co_ci_u32_e32 v5, vcc_lo, v12, v5, vcc_lo
	v_mov_b32_e32 v12, v14
	global_store_b64 v[4:5], v[13:14], off
	s_waitcnt_vscnt null, 0x0
	global_atomic_cmpswap_b64 v[11:12], v6, v[9:12], s[2:3] offset:24 glc
	s_waitcnt vmcnt(0)
	v_cmp_ne_u64_e32 vcc_lo, v[11:12], v[13:14]
	s_and_b32 exec_lo, exec_lo, vcc_lo
	s_cbranch_execz .LBB73_139
; %bb.213:                              ;   in Loop: Header=BB73_140 Depth=1
	s_mov_b32 s0, 0
.LBB73_214:                             ;   Parent Loop BB73_140 Depth=1
                                        ; =>  This Inner Loop Header: Depth=2
	s_sleep 1
	global_store_b64 v[4:5], v[11:12], off
	s_waitcnt_vscnt null, 0x0
	global_atomic_cmpswap_b64 v[13:14], v6, v[9:12], s[2:3] offset:24 glc
	s_waitcnt vmcnt(0)
	v_cmp_eq_u64_e32 vcc_lo, v[13:14], v[11:12]
	v_dual_mov_b32 v11, v13 :: v_dual_mov_b32 v12, v14
	s_or_b32 s0, vcc_lo, s0
	s_delay_alu instid0(SALU_CYCLE_1)
	s_and_not1_b32 exec_lo, exec_lo, s0
	s_cbranch_execnz .LBB73_214
	s_branch .LBB73_139
.LBB73_215:
                                        ; implicit-def: $vgpr2_vgpr3
	s_cbranch_execnz .LBB73_217
	s_branch .LBB73_244
.LBB73_216:
	s_branch .LBB73_244
.LBB73_217:
	v_readfirstlane_b32 s0, v32
	v_mov_b32_e32 v8, 0
	v_mov_b32_e32 v9, 0
	s_delay_alu instid0(VALU_DEP_3) | instskip(NEXT) | instid1(VALU_DEP_1)
	v_cmp_eq_u32_e64 s0, s0, v32
	s_and_saveexec_b32 s1, s0
	s_cbranch_execz .LBB73_223
; %bb.218:
	s_waitcnt vmcnt(0)
	v_mov_b32_e32 v2, 0
	s_mov_b32 s4, exec_lo
	global_load_b64 v[5:6], v2, s[2:3] offset:24 glc
	s_waitcnt vmcnt(0)
	buffer_gl1_inv
	buffer_gl0_inv
	s_clause 0x1
	global_load_b64 v[3:4], v2, s[2:3] offset:40
	global_load_b64 v[7:8], v2, s[2:3]
	s_waitcnt vmcnt(1)
	v_and_b32_e32 v3, v3, v5
	v_and_b32_e32 v4, v4, v6
	s_delay_alu instid0(VALU_DEP_2) | instskip(NEXT) | instid1(VALU_DEP_2)
	v_mul_hi_u32 v9, v3, 24
	v_mul_lo_u32 v4, v4, 24
	v_mul_lo_u32 v3, v3, 24
	s_delay_alu instid0(VALU_DEP_2) | instskip(SKIP_1) | instid1(VALU_DEP_2)
	v_add_nc_u32_e32 v4, v9, v4
	s_waitcnt vmcnt(0)
	v_add_co_u32 v3, vcc_lo, v7, v3
	s_delay_alu instid0(VALU_DEP_2)
	v_add_co_ci_u32_e32 v4, vcc_lo, v8, v4, vcc_lo
	global_load_b64 v[3:4], v[3:4], off glc
	s_waitcnt vmcnt(0)
	global_atomic_cmpswap_b64 v[8:9], v2, v[3:6], s[2:3] offset:24 glc
	s_waitcnt vmcnt(0)
	buffer_gl1_inv
	buffer_gl0_inv
	v_cmpx_ne_u64_e64 v[8:9], v[5:6]
	s_cbranch_execz .LBB73_222
; %bb.219:
	s_mov_b32 s5, 0
	.p2align	6
.LBB73_220:                             ; =>This Inner Loop Header: Depth=1
	s_sleep 1
	s_clause 0x1
	global_load_b64 v[3:4], v2, s[2:3] offset:40
	global_load_b64 v[10:11], v2, s[2:3]
	v_dual_mov_b32 v5, v8 :: v_dual_mov_b32 v6, v9
	s_waitcnt vmcnt(1)
	s_delay_alu instid0(VALU_DEP_1) | instskip(NEXT) | instid1(VALU_DEP_2)
	v_and_b32_e32 v3, v3, v5
	v_and_b32_e32 v4, v4, v6
	s_waitcnt vmcnt(0)
	s_delay_alu instid0(VALU_DEP_2) | instskip(NEXT) | instid1(VALU_DEP_1)
	v_mad_u64_u32 v[7:8], null, v3, 24, v[10:11]
	v_mov_b32_e32 v3, v8
	s_delay_alu instid0(VALU_DEP_1)
	v_mad_u64_u32 v[8:9], null, v4, 24, v[3:4]
	global_load_b64 v[3:4], v[7:8], off glc
	s_waitcnt vmcnt(0)
	global_atomic_cmpswap_b64 v[8:9], v2, v[3:6], s[2:3] offset:24 glc
	s_waitcnt vmcnt(0)
	buffer_gl1_inv
	buffer_gl0_inv
	v_cmp_eq_u64_e32 vcc_lo, v[8:9], v[5:6]
	s_or_b32 s5, vcc_lo, s5
	s_delay_alu instid0(SALU_CYCLE_1)
	s_and_not1_b32 exec_lo, exec_lo, s5
	s_cbranch_execnz .LBB73_220
; %bb.221:
	s_or_b32 exec_lo, exec_lo, s5
.LBB73_222:
	s_delay_alu instid0(SALU_CYCLE_1)
	s_or_b32 exec_lo, exec_lo, s4
.LBB73_223:
	s_delay_alu instid0(SALU_CYCLE_1)
	s_or_b32 exec_lo, exec_lo, s1
	s_waitcnt vmcnt(0)
	v_mov_b32_e32 v2, 0
	v_readfirstlane_b32 s4, v8
	v_readfirstlane_b32 s5, v9
	s_mov_b32 s1, exec_lo
	s_clause 0x1
	global_load_b64 v[10:11], v2, s[2:3] offset:40
	global_load_b128 v[4:7], v2, s[2:3]
	s_waitcnt vmcnt(1)
	v_readfirstlane_b32 s6, v10
	v_readfirstlane_b32 s7, v11
	s_delay_alu instid0(VALU_DEP_1) | instskip(NEXT) | instid1(SALU_CYCLE_1)
	s_and_b64 s[6:7], s[4:5], s[6:7]
	s_mul_i32 s10, s7, 24
	s_mul_hi_u32 s11, s6, 24
	s_mul_i32 s12, s6, 24
	s_add_i32 s11, s11, s10
	s_waitcnt vmcnt(0)
	v_add_co_u32 v8, vcc_lo, v4, s12
	v_add_co_ci_u32_e32 v9, vcc_lo, s11, v5, vcc_lo
	s_and_saveexec_b32 s10, s0
	s_cbranch_execz .LBB73_225
; %bb.224:
	v_dual_mov_b32 v10, s1 :: v_dual_mov_b32 v11, v2
	v_dual_mov_b32 v12, 2 :: v_dual_mov_b32 v13, 1
	global_store_b128 v[8:9], v[10:13], off offset:8
.LBB73_225:
	s_or_b32 exec_lo, exec_lo, s10
	s_lshl_b64 s[6:7], s[6:7], 12
	s_mov_b32 s12, 0
	v_add_co_u32 v6, vcc_lo, v6, s6
	v_add_co_ci_u32_e32 v7, vcc_lo, s7, v7, vcc_lo
	s_mov_b32 s13, s12
	s_delay_alu instid0(VALU_DEP_2)
	v_readfirstlane_b32 s6, v6
	v_add_co_u32 v6, vcc_lo, v6, v31
	s_mov_b32 s14, s12
	s_mov_b32 s15, s12
	v_and_or_b32 v0, 0xffffff1f, v0, 32
	v_dual_mov_b32 v3, v2 :: v_dual_mov_b32 v10, s12
	v_readfirstlane_b32 s7, v7
	v_add_co_ci_u32_e32 v7, vcc_lo, 0, v7, vcc_lo
	v_dual_mov_b32 v11, s13 :: v_dual_mov_b32 v12, s14
	v_mov_b32_e32 v13, s15
	s_clause 0x3
	global_store_b128 v31, v[0:3], s[6:7]
	global_store_b128 v31, v[10:13], s[6:7] offset:16
	global_store_b128 v31, v[10:13], s[6:7] offset:32
	;; [unrolled: 1-line block ×3, first 2 shown]
	s_and_saveexec_b32 s1, s0
	s_cbranch_execz .LBB73_233
; %bb.226:
	v_dual_mov_b32 v10, 0 :: v_dual_mov_b32 v11, s4
	v_mov_b32_e32 v12, s5
	s_clause 0x1
	global_load_b64 v[13:14], v10, s[2:3] offset:32 glc
	global_load_b64 v[0:1], v10, s[2:3] offset:40
	s_waitcnt vmcnt(0)
	v_readfirstlane_b32 s6, v0
	v_readfirstlane_b32 s7, v1
	s_delay_alu instid0(VALU_DEP_1) | instskip(NEXT) | instid1(SALU_CYCLE_1)
	s_and_b64 s[6:7], s[6:7], s[4:5]
	s_mul_i32 s7, s7, 24
	s_mul_hi_u32 s10, s6, 24
	s_mul_i32 s6, s6, 24
	s_add_i32 s10, s10, s7
	v_add_co_u32 v4, vcc_lo, v4, s6
	v_add_co_ci_u32_e32 v5, vcc_lo, s10, v5, vcc_lo
	s_mov_b32 s6, exec_lo
	global_store_b64 v[4:5], v[13:14], off
	s_waitcnt_vscnt null, 0x0
	global_atomic_cmpswap_b64 v[2:3], v10, v[11:14], s[2:3] offset:32 glc
	s_waitcnt vmcnt(0)
	v_cmpx_ne_u64_e64 v[2:3], v[13:14]
	s_cbranch_execz .LBB73_229
; %bb.227:
	s_mov_b32 s7, 0
.LBB73_228:                             ; =>This Inner Loop Header: Depth=1
	v_dual_mov_b32 v0, s4 :: v_dual_mov_b32 v1, s5
	s_sleep 1
	global_store_b64 v[4:5], v[2:3], off
	s_waitcnt_vscnt null, 0x0
	global_atomic_cmpswap_b64 v[0:1], v10, v[0:3], s[2:3] offset:32 glc
	s_waitcnt vmcnt(0)
	v_cmp_eq_u64_e32 vcc_lo, v[0:1], v[2:3]
	v_dual_mov_b32 v3, v1 :: v_dual_mov_b32 v2, v0
	s_or_b32 s7, vcc_lo, s7
	s_delay_alu instid0(SALU_CYCLE_1)
	s_and_not1_b32 exec_lo, exec_lo, s7
	s_cbranch_execnz .LBB73_228
.LBB73_229:
	s_or_b32 exec_lo, exec_lo, s6
	v_mov_b32_e32 v3, 0
	s_mov_b32 s7, exec_lo
	s_mov_b32 s6, exec_lo
	v_mbcnt_lo_u32_b32 v2, s7, 0
	global_load_b64 v[0:1], v3, s[2:3] offset:16
	v_cmpx_eq_u32_e32 0, v2
	s_cbranch_execz .LBB73_231
; %bb.230:
	s_bcnt1_i32_b32 s7, s7
	s_delay_alu instid0(SALU_CYCLE_1)
	v_mov_b32_e32 v2, s7
	s_waitcnt vmcnt(0)
	global_atomic_add_u64 v[0:1], v[2:3], off offset:8
.LBB73_231:
	s_or_b32 exec_lo, exec_lo, s6
	s_waitcnt vmcnt(0)
	global_load_b64 v[2:3], v[0:1], off offset:16
	s_waitcnt vmcnt(0)
	v_cmp_eq_u64_e32 vcc_lo, 0, v[2:3]
	s_cbranch_vccnz .LBB73_233
; %bb.232:
	global_load_b32 v0, v[0:1], off offset:24
	s_waitcnt vmcnt(0)
	v_dual_mov_b32 v1, 0 :: v_dual_and_b32 v4, 0xffffff, v0
	s_waitcnt_vscnt null, 0x0
	global_store_b64 v[2:3], v[0:1], off
	v_readfirstlane_b32 m0, v4
	s_sendmsg sendmsg(MSG_INTERRUPT)
.LBB73_233:
	s_or_b32 exec_lo, exec_lo, s1
	s_branch .LBB73_237
	.p2align	6
.LBB73_234:                             ;   in Loop: Header=BB73_237 Depth=1
	s_or_b32 exec_lo, exec_lo, s1
	s_delay_alu instid0(VALU_DEP_1) | instskip(NEXT) | instid1(VALU_DEP_1)
	v_readfirstlane_b32 s1, v0
	s_cmp_eq_u32 s1, 0
	s_cbranch_scc1 .LBB73_236
; %bb.235:                              ;   in Loop: Header=BB73_237 Depth=1
	s_sleep 1
	s_cbranch_execnz .LBB73_237
	s_branch .LBB73_239
	.p2align	6
.LBB73_236:
	s_branch .LBB73_239
.LBB73_237:                             ; =>This Inner Loop Header: Depth=1
	v_mov_b32_e32 v0, 1
	s_and_saveexec_b32 s1, s0
	s_cbranch_execz .LBB73_234
; %bb.238:                              ;   in Loop: Header=BB73_237 Depth=1
	global_load_b32 v0, v[8:9], off offset:20 glc
	s_waitcnt vmcnt(0)
	buffer_gl1_inv
	buffer_gl0_inv
	v_and_b32_e32 v0, 1, v0
	s_branch .LBB73_234
.LBB73_239:
	global_load_b64 v[2:3], v[6:7], off
	s_and_saveexec_b32 s1, s0
	s_cbranch_execz .LBB73_243
; %bb.240:
	v_mov_b32_e32 v8, 0
	s_clause 0x2
	global_load_b64 v[0:1], v8, s[2:3] offset:40
	global_load_b64 v[9:10], v8, s[2:3] offset:24 glc
	global_load_b64 v[6:7], v8, s[2:3]
	s_waitcnt vmcnt(2)
	v_add_co_u32 v11, vcc_lo, v0, 1
	v_add_co_ci_u32_e32 v12, vcc_lo, 0, v1, vcc_lo
	s_delay_alu instid0(VALU_DEP_2) | instskip(NEXT) | instid1(VALU_DEP_2)
	v_add_co_u32 v4, vcc_lo, v11, s4
	v_add_co_ci_u32_e32 v5, vcc_lo, s5, v12, vcc_lo
	s_delay_alu instid0(VALU_DEP_1) | instskip(SKIP_1) | instid1(VALU_DEP_1)
	v_cmp_eq_u64_e32 vcc_lo, 0, v[4:5]
	v_dual_cndmask_b32 v5, v5, v12 :: v_dual_cndmask_b32 v4, v4, v11
	v_and_b32_e32 v1, v5, v1
	s_delay_alu instid0(VALU_DEP_2) | instskip(NEXT) | instid1(VALU_DEP_2)
	v_and_b32_e32 v0, v4, v0
	v_mul_lo_u32 v1, v1, 24
	s_delay_alu instid0(VALU_DEP_2) | instskip(SKIP_1) | instid1(VALU_DEP_2)
	v_mul_hi_u32 v11, v0, 24
	v_mul_lo_u32 v0, v0, 24
	v_add_nc_u32_e32 v1, v11, v1
	s_waitcnt vmcnt(0)
	s_delay_alu instid0(VALU_DEP_2) | instskip(SKIP_1) | instid1(VALU_DEP_3)
	v_add_co_u32 v0, vcc_lo, v6, v0
	v_mov_b32_e32 v6, v9
	v_add_co_ci_u32_e32 v1, vcc_lo, v7, v1, vcc_lo
	v_mov_b32_e32 v7, v10
	global_store_b64 v[0:1], v[9:10], off
	s_waitcnt_vscnt null, 0x0
	global_atomic_cmpswap_b64 v[6:7], v8, v[4:7], s[2:3] offset:24 glc
	s_waitcnt vmcnt(0)
	v_cmp_ne_u64_e32 vcc_lo, v[6:7], v[9:10]
	s_and_b32 exec_lo, exec_lo, vcc_lo
	s_cbranch_execz .LBB73_243
; %bb.241:
	s_mov_b32 s0, 0
.LBB73_242:                             ; =>This Inner Loop Header: Depth=1
	s_sleep 1
	global_store_b64 v[0:1], v[6:7], off
	s_waitcnt_vscnt null, 0x0
	global_atomic_cmpswap_b64 v[9:10], v8, v[4:7], s[2:3] offset:24 glc
	s_waitcnt vmcnt(0)
	v_cmp_eq_u64_e32 vcc_lo, v[9:10], v[6:7]
	v_dual_mov_b32 v6, v9 :: v_dual_mov_b32 v7, v10
	s_or_b32 s0, vcc_lo, s0
	s_delay_alu instid0(SALU_CYCLE_1)
	s_and_not1_b32 exec_lo, exec_lo, s0
	s_cbranch_execnz .LBB73_242
.LBB73_243:
	s_or_b32 exec_lo, exec_lo, s1
.LBB73_244:
	v_readfirstlane_b32 s0, v32
	s_waitcnt vmcnt(0)
	v_mov_b32_e32 v0, 0
	v_mov_b32_e32 v1, 0
	s_delay_alu instid0(VALU_DEP_3) | instskip(NEXT) | instid1(VALU_DEP_1)
	v_cmp_eq_u32_e64 s0, s0, v32
	s_and_saveexec_b32 s1, s0
	s_cbranch_execz .LBB73_250
; %bb.245:
	v_mov_b32_e32 v4, 0
	s_mov_b32 s4, exec_lo
	global_load_b64 v[7:8], v4, s[2:3] offset:24 glc
	s_waitcnt vmcnt(0)
	buffer_gl1_inv
	buffer_gl0_inv
	s_clause 0x1
	global_load_b64 v[0:1], v4, s[2:3] offset:40
	global_load_b64 v[5:6], v4, s[2:3]
	s_waitcnt vmcnt(1)
	v_and_b32_e32 v1, v1, v8
	v_and_b32_e32 v0, v0, v7
	s_delay_alu instid0(VALU_DEP_2) | instskip(NEXT) | instid1(VALU_DEP_2)
	v_mul_lo_u32 v1, v1, 24
	v_mul_hi_u32 v9, v0, 24
	v_mul_lo_u32 v0, v0, 24
	s_delay_alu instid0(VALU_DEP_2) | instskip(SKIP_1) | instid1(VALU_DEP_2)
	v_add_nc_u32_e32 v1, v9, v1
	s_waitcnt vmcnt(0)
	v_add_co_u32 v0, vcc_lo, v5, v0
	s_delay_alu instid0(VALU_DEP_2)
	v_add_co_ci_u32_e32 v1, vcc_lo, v6, v1, vcc_lo
	global_load_b64 v[5:6], v[0:1], off glc
	s_waitcnt vmcnt(0)
	global_atomic_cmpswap_b64 v[0:1], v4, v[5:8], s[2:3] offset:24 glc
	s_waitcnt vmcnt(0)
	buffer_gl1_inv
	buffer_gl0_inv
	v_cmpx_ne_u64_e64 v[0:1], v[7:8]
	s_cbranch_execz .LBB73_249
; %bb.246:
	s_mov_b32 s5, 0
	.p2align	6
.LBB73_247:                             ; =>This Inner Loop Header: Depth=1
	s_sleep 1
	s_clause 0x1
	global_load_b64 v[5:6], v4, s[2:3] offset:40
	global_load_b64 v[9:10], v4, s[2:3]
	v_dual_mov_b32 v8, v1 :: v_dual_mov_b32 v7, v0
	s_waitcnt vmcnt(1)
	s_delay_alu instid0(VALU_DEP_1) | instskip(SKIP_1) | instid1(VALU_DEP_1)
	v_and_b32_e32 v5, v5, v7
	s_waitcnt vmcnt(0)
	v_mad_u64_u32 v[0:1], null, v5, 24, v[9:10]
	v_and_b32_e32 v9, v6, v8
	s_delay_alu instid0(VALU_DEP_1) | instskip(NEXT) | instid1(VALU_DEP_1)
	v_mad_u64_u32 v[5:6], null, v9, 24, v[1:2]
	v_mov_b32_e32 v1, v5
	global_load_b64 v[5:6], v[0:1], off glc
	s_waitcnt vmcnt(0)
	global_atomic_cmpswap_b64 v[0:1], v4, v[5:8], s[2:3] offset:24 glc
	s_waitcnt vmcnt(0)
	buffer_gl1_inv
	buffer_gl0_inv
	v_cmp_eq_u64_e32 vcc_lo, v[0:1], v[7:8]
	s_or_b32 s5, vcc_lo, s5
	s_delay_alu instid0(SALU_CYCLE_1)
	s_and_not1_b32 exec_lo, exec_lo, s5
	s_cbranch_execnz .LBB73_247
; %bb.248:
	s_or_b32 exec_lo, exec_lo, s5
.LBB73_249:
	s_delay_alu instid0(SALU_CYCLE_1)
	s_or_b32 exec_lo, exec_lo, s4
.LBB73_250:
	s_delay_alu instid0(SALU_CYCLE_1)
	s_or_b32 exec_lo, exec_lo, s1
	v_mov_b32_e32 v5, 0
	v_readfirstlane_b32 s4, v0
	v_readfirstlane_b32 s5, v1
	s_mov_b32 s1, exec_lo
	s_clause 0x1
	global_load_b64 v[10:11], v5, s[2:3] offset:40
	global_load_b128 v[6:9], v5, s[2:3]
	s_waitcnt vmcnt(1)
	v_readfirstlane_b32 s6, v10
	v_readfirstlane_b32 s7, v11
	s_delay_alu instid0(VALU_DEP_1) | instskip(NEXT) | instid1(SALU_CYCLE_1)
	s_and_b64 s[6:7], s[4:5], s[6:7]
	s_mul_i32 s10, s7, 24
	s_mul_hi_u32 s11, s6, 24
	s_mul_i32 s12, s6, 24
	s_add_i32 s11, s11, s10
	s_waitcnt vmcnt(0)
	v_add_co_u32 v10, vcc_lo, v6, s12
	v_add_co_ci_u32_e32 v11, vcc_lo, s11, v7, vcc_lo
	s_and_saveexec_b32 s10, s0
	s_cbranch_execz .LBB73_252
; %bb.251:
	v_dual_mov_b32 v4, s1 :: v_dual_mov_b32 v15, 1
	v_dual_mov_b32 v14, 2 :: v_dual_mov_b32 v13, v5
	s_delay_alu instid0(VALU_DEP_2)
	v_mov_b32_e32 v12, v4
	global_store_b128 v[10:11], v[12:15], off offset:8
.LBB73_252:
	s_or_b32 exec_lo, exec_lo, s10
	s_lshl_b64 s[6:7], s[6:7], 12
	s_mov_b32 s12, 0
	v_add_co_u32 v0, vcc_lo, v8, s6
	v_add_co_ci_u32_e32 v1, vcc_lo, s7, v9, vcc_lo
	s_mov_b32 s13, s12
	s_delay_alu instid0(VALU_DEP_2)
	v_add_co_u32 v8, vcc_lo, v0, v31
	s_mov_b32 s14, s12
	s_mov_b32 s15, s12
	v_and_or_b32 v2, 0xffffff1f, v2, 32
	v_mov_b32_e32 v4, 0x347
	v_readfirstlane_b32 s6, v0
	v_readfirstlane_b32 s7, v1
	v_dual_mov_b32 v12, s12 :: v_dual_mov_b32 v15, s15
	v_add_co_ci_u32_e32 v9, vcc_lo, 0, v1, vcc_lo
	v_dual_mov_b32 v13, s13 :: v_dual_mov_b32 v14, s14
	s_clause 0x3
	global_store_b128 v31, v[2:5], s[6:7]
	global_store_b128 v31, v[12:15], s[6:7] offset:16
	global_store_b128 v31, v[12:15], s[6:7] offset:32
	;; [unrolled: 1-line block ×3, first 2 shown]
	s_and_saveexec_b32 s1, s0
	s_cbranch_execz .LBB73_260
; %bb.253:
	v_dual_mov_b32 v12, 0 :: v_dual_mov_b32 v13, s4
	v_mov_b32_e32 v14, s5
	s_clause 0x1
	global_load_b64 v[15:16], v12, s[2:3] offset:32 glc
	global_load_b64 v[0:1], v12, s[2:3] offset:40
	s_waitcnt vmcnt(0)
	v_readfirstlane_b32 s6, v0
	v_readfirstlane_b32 s7, v1
	s_delay_alu instid0(VALU_DEP_1) | instskip(NEXT) | instid1(SALU_CYCLE_1)
	s_and_b64 s[6:7], s[6:7], s[4:5]
	s_mul_i32 s7, s7, 24
	s_mul_hi_u32 s10, s6, 24
	s_mul_i32 s6, s6, 24
	s_add_i32 s10, s10, s7
	v_add_co_u32 v4, vcc_lo, v6, s6
	v_add_co_ci_u32_e32 v5, vcc_lo, s10, v7, vcc_lo
	s_mov_b32 s6, exec_lo
	global_store_b64 v[4:5], v[15:16], off
	s_waitcnt_vscnt null, 0x0
	global_atomic_cmpswap_b64 v[2:3], v12, v[13:16], s[2:3] offset:32 glc
	s_waitcnt vmcnt(0)
	v_cmpx_ne_u64_e64 v[2:3], v[15:16]
	s_cbranch_execz .LBB73_256
; %bb.254:
	s_mov_b32 s7, 0
.LBB73_255:                             ; =>This Inner Loop Header: Depth=1
	v_dual_mov_b32 v0, s4 :: v_dual_mov_b32 v1, s5
	s_sleep 1
	global_store_b64 v[4:5], v[2:3], off
	s_waitcnt_vscnt null, 0x0
	global_atomic_cmpswap_b64 v[0:1], v12, v[0:3], s[2:3] offset:32 glc
	s_waitcnt vmcnt(0)
	v_cmp_eq_u64_e32 vcc_lo, v[0:1], v[2:3]
	v_dual_mov_b32 v3, v1 :: v_dual_mov_b32 v2, v0
	s_or_b32 s7, vcc_lo, s7
	s_delay_alu instid0(SALU_CYCLE_1)
	s_and_not1_b32 exec_lo, exec_lo, s7
	s_cbranch_execnz .LBB73_255
.LBB73_256:
	s_or_b32 exec_lo, exec_lo, s6
	v_mov_b32_e32 v3, 0
	s_mov_b32 s7, exec_lo
	s_mov_b32 s6, exec_lo
	v_mbcnt_lo_u32_b32 v2, s7, 0
	global_load_b64 v[0:1], v3, s[2:3] offset:16
	v_cmpx_eq_u32_e32 0, v2
	s_cbranch_execz .LBB73_258
; %bb.257:
	s_bcnt1_i32_b32 s7, s7
	s_delay_alu instid0(SALU_CYCLE_1)
	v_mov_b32_e32 v2, s7
	s_waitcnt vmcnt(0)
	global_atomic_add_u64 v[0:1], v[2:3], off offset:8
.LBB73_258:
	s_or_b32 exec_lo, exec_lo, s6
	s_waitcnt vmcnt(0)
	global_load_b64 v[2:3], v[0:1], off offset:16
	s_waitcnt vmcnt(0)
	v_cmp_eq_u64_e32 vcc_lo, 0, v[2:3]
	s_cbranch_vccnz .LBB73_260
; %bb.259:
	global_load_b32 v0, v[0:1], off offset:24
	s_waitcnt vmcnt(0)
	v_dual_mov_b32 v1, 0 :: v_dual_and_b32 v4, 0xffffff, v0
	s_waitcnt_vscnt null, 0x0
	global_store_b64 v[2:3], v[0:1], off
	v_readfirstlane_b32 m0, v4
	s_sendmsg sendmsg(MSG_INTERRUPT)
.LBB73_260:
	s_or_b32 exec_lo, exec_lo, s1
	s_branch .LBB73_264
	.p2align	6
.LBB73_261:                             ;   in Loop: Header=BB73_264 Depth=1
	s_or_b32 exec_lo, exec_lo, s1
	s_delay_alu instid0(VALU_DEP_1) | instskip(NEXT) | instid1(VALU_DEP_1)
	v_readfirstlane_b32 s1, v0
	s_cmp_eq_u32 s1, 0
	s_cbranch_scc1 .LBB73_263
; %bb.262:                              ;   in Loop: Header=BB73_264 Depth=1
	s_sleep 1
	s_cbranch_execnz .LBB73_264
	s_branch .LBB73_266
	.p2align	6
.LBB73_263:
	s_branch .LBB73_266
.LBB73_264:                             ; =>This Inner Loop Header: Depth=1
	v_mov_b32_e32 v0, 1
	s_and_saveexec_b32 s1, s0
	s_cbranch_execz .LBB73_261
; %bb.265:                              ;   in Loop: Header=BB73_264 Depth=1
	global_load_b32 v0, v[10:11], off offset:20 glc
	s_waitcnt vmcnt(0)
	buffer_gl1_inv
	buffer_gl0_inv
	v_and_b32_e32 v0, 1, v0
	s_branch .LBB73_261
.LBB73_266:
	global_load_b64 v[0:1], v[8:9], off
	s_and_saveexec_b32 s1, s0
	s_cbranch_execz .LBB73_270
; %bb.267:
	v_mov_b32_e32 v8, 0
	s_clause 0x2
	global_load_b64 v[4:5], v8, s[2:3] offset:40
	global_load_b64 v[9:10], v8, s[2:3] offset:24 glc
	global_load_b64 v[6:7], v8, s[2:3]
	s_waitcnt vmcnt(2)
	v_add_co_u32 v11, vcc_lo, v4, 1
	v_add_co_ci_u32_e32 v12, vcc_lo, 0, v5, vcc_lo
	s_delay_alu instid0(VALU_DEP_2) | instskip(NEXT) | instid1(VALU_DEP_2)
	v_add_co_u32 v2, vcc_lo, v11, s4
	v_add_co_ci_u32_e32 v3, vcc_lo, s5, v12, vcc_lo
	s_delay_alu instid0(VALU_DEP_1) | instskip(SKIP_1) | instid1(VALU_DEP_1)
	v_cmp_eq_u64_e32 vcc_lo, 0, v[2:3]
	v_dual_cndmask_b32 v3, v3, v12 :: v_dual_cndmask_b32 v2, v2, v11
	v_and_b32_e32 v5, v3, v5
	s_delay_alu instid0(VALU_DEP_2) | instskip(NEXT) | instid1(VALU_DEP_2)
	v_and_b32_e32 v4, v2, v4
	v_mul_lo_u32 v5, v5, 24
	s_delay_alu instid0(VALU_DEP_2) | instskip(SKIP_1) | instid1(VALU_DEP_2)
	v_mul_hi_u32 v11, v4, 24
	v_mul_lo_u32 v4, v4, 24
	v_add_nc_u32_e32 v5, v11, v5
	s_waitcnt vmcnt(0)
	s_delay_alu instid0(VALU_DEP_2) | instskip(SKIP_1) | instid1(VALU_DEP_3)
	v_add_co_u32 v6, vcc_lo, v6, v4
	v_mov_b32_e32 v4, v9
	v_add_co_ci_u32_e32 v7, vcc_lo, v7, v5, vcc_lo
	v_mov_b32_e32 v5, v10
	global_store_b64 v[6:7], v[9:10], off
	s_waitcnt_vscnt null, 0x0
	global_atomic_cmpswap_b64 v[4:5], v8, v[2:5], s[2:3] offset:24 glc
	s_waitcnt vmcnt(0)
	v_cmp_ne_u64_e32 vcc_lo, v[4:5], v[9:10]
	s_and_b32 exec_lo, exec_lo, vcc_lo
	s_cbranch_execz .LBB73_270
; %bb.268:
	s_mov_b32 s0, 0
.LBB73_269:                             ; =>This Inner Loop Header: Depth=1
	s_sleep 1
	global_store_b64 v[6:7], v[4:5], off
	s_waitcnt_vscnt null, 0x0
	global_atomic_cmpswap_b64 v[9:10], v8, v[2:5], s[2:3] offset:24 glc
	s_waitcnt vmcnt(0)
	v_cmp_eq_u64_e32 vcc_lo, v[9:10], v[4:5]
	v_dual_mov_b32 v4, v9 :: v_dual_mov_b32 v5, v10
	s_or_b32 s0, vcc_lo, s0
	s_delay_alu instid0(SALU_CYCLE_1)
	s_and_not1_b32 exec_lo, exec_lo, s0
	s_cbranch_execnz .LBB73_269
.LBB73_270:
	s_or_b32 exec_lo, exec_lo, s1
	s_getpc_b64 s[0:1]
	s_add_u32 s0, s0, __FUNCTION__._ZL15flash_attn_tileILi80ELi80ELi8ELi8ELb1EEvPKcS1_S1_S1_S1_PKiPfP15HIP_vector_typeIfLj2EEffffjfiS5_IjLj3EEiiiiiiiiiiiliiliiiiil@rel32@lo+4
	s_addc_u32 s1, s1, __FUNCTION__._ZL15flash_attn_tileILi80ELi80ELi8ELi8ELb1EEvPKcS1_S1_S1_S1_PKiPfP15HIP_vector_typeIfLj2EEffffjfiS5_IjLj3EEiiiiiiiiiiiliiliiiiil@rel32@hi+12
	s_mov_b64 s[16:17], s[8:9]
	s_cmp_lg_u64 s[0:1], 0
	v_mov_b32_e32 v3, s1
	s_cselect_b32 s2, -1, 0
	v_mov_b32_e32 v5, 0
	v_cndmask_b32_e64 v2, 0, 1, s2
	s_getpc_b64 s[2:3]
	s_add_u32 s2, s2, __ockl_printf_append_string_n@rel32@lo+4
	s_addc_u32 s3, s3, __ockl_printf_append_string_n@rel32@hi+12
	s_delay_alu instid0(VALU_DEP_1)
	v_lshlrev_b32_e32 v4, 4, v2
	v_mov_b32_e32 v2, s0
	s_swappc_b64 s[30:31], s[2:3]
	v_dual_mov_b32 v2, 0x514 :: v_dual_mov_b32 v3, 0
	v_mov_b32_e32 v4, 1
	s_mov_b64 s[8:9], s[16:17]
	s_getpc_b64 s[0:1]
	s_add_u32 s0, s0, __ockl_printf_append_args@rel32@lo+4
	s_addc_u32 s1, s1, __ockl_printf_append_args@rel32@hi+12
	s_delay_alu instid0(SALU_CYCLE_1)
	s_swappc_b64 s[30:31], s[0:1]
	s_trap 2
	s_sendmsg_rtn_b32 s0, sendmsg(MSG_RTN_GET_DOORBELL)
	s_mov_b32 ttmp2, m0
	s_waitcnt lgkmcnt(0)
	s_and_b32 s0, s0, 0x3ff
	s_delay_alu instid0(SALU_CYCLE_1) | instskip(NEXT) | instid1(SALU_CYCLE_1)
	s_bitset1_b32 s0, 10
	s_mov_b32 m0, s0
	s_sendmsg sendmsg(MSG_INTERRUPT)
	s_mov_b32 m0, ttmp2
.LBB73_271:                             ; =>This Inner Loop Header: Depth=1
	s_sethalt 5
	s_branch .LBB73_271
.Lfunc_end73:
	.size	_ZL14no_device_codePKciS0_iS0_, .Lfunc_end73-_ZL14no_device_codePKciS0_iS0_
                                        ; -- End function
	.section	.AMDGPU.csdata,"",@progbits
; Function info:
; codeLenInByte = 10548
; NumSgprs: 36
; NumVgprs: 37
; ScratchSize: 16
; MemoryBound: 0
	.section	.text._ZL15flash_attn_tileILi80ELi80ELi8ELi8ELb1EEvPKcS1_S1_S1_S1_PKiPfP15HIP_vector_typeIfLj2EEffffjfiS5_IjLj3EEiiiiiiiiiiiliiliiiiil,"axG",@progbits,_ZL15flash_attn_tileILi80ELi80ELi8ELi8ELb1EEvPKcS1_S1_S1_S1_PKiPfP15HIP_vector_typeIfLj2EEffffjfiS5_IjLj3EEiiiiiiiiiiiliiliiiiil,comdat
	.globl	_ZL15flash_attn_tileILi80ELi80ELi8ELi8ELb1EEvPKcS1_S1_S1_S1_PKiPfP15HIP_vector_typeIfLj2EEffffjfiS5_IjLj3EEiiiiiiiiiiiliiliiiiil ; -- Begin function _ZL15flash_attn_tileILi80ELi80ELi8ELi8ELb1EEvPKcS1_S1_S1_S1_PKiPfP15HIP_vector_typeIfLj2EEffffjfiS5_IjLj3EEiiiiiiiiiiiliiliiiiil
	.p2align	8
	.type	_ZL15flash_attn_tileILi80ELi80ELi8ELi8ELb1EEvPKcS1_S1_S1_S1_PKiPfP15HIP_vector_typeIfLj2EEffffjfiS5_IjLj3EEiiiiiiiiiiiliiliiiiil,@function
_ZL15flash_attn_tileILi80ELi80ELi8ELi8ELb1EEvPKcS1_S1_S1_S1_PKiPfP15HIP_vector_typeIfLj2EEffffjfiS5_IjLj3EEiiiiiiiiiiiliiliiiiil: ; @_ZL15flash_attn_tileILi80ELi80ELi8ELi8ELb1EEvPKcS1_S1_S1_S1_PKiPfP15HIP_vector_typeIfLj2EEffffjfiS5_IjLj3EEiiiiiiiiiiiliiliiiiil
; %bb.0:
	s_add_u32 s8, s0, 0xd0
	s_addc_u32 s9, s1, 0
	s_mov_b32 s32, 0
	s_getpc_b64 s[0:1]
	s_add_u32 s0, s0, _ZL14no_device_codePKciS0_iS0_@rel32@lo+4
	s_addc_u32 s1, s1, _ZL14no_device_codePKciS0_iS0_@rel32@hi+12
	s_delay_alu instid0(SALU_CYCLE_1)
	s_swappc_b64 s[30:31], s[0:1]
	.section	.rodata,"a",@progbits
	.p2align	6, 0x0
	.amdhsa_kernel _ZL15flash_attn_tileILi80ELi80ELi8ELi8ELb1EEvPKcS1_S1_S1_S1_PKiPfP15HIP_vector_typeIfLj2EEffffjfiS5_IjLj3EEiiiiiiiiiiiliiliiiiil
		.amdhsa_group_segment_fixed_size 0
		.amdhsa_private_segment_fixed_size 16
		.amdhsa_kernarg_size 464
		.amdhsa_user_sgpr_count 15
		.amdhsa_user_sgpr_dispatch_ptr 0
		.amdhsa_user_sgpr_queue_ptr 0
		.amdhsa_user_sgpr_kernarg_segment_ptr 1
		.amdhsa_user_sgpr_dispatch_id 0
		.amdhsa_user_sgpr_private_segment_size 0
		.amdhsa_wavefront_size32 1
		.amdhsa_uses_dynamic_stack 0
		.amdhsa_enable_private_segment 1
		.amdhsa_system_sgpr_workgroup_id_x 1
		.amdhsa_system_sgpr_workgroup_id_y 0
		.amdhsa_system_sgpr_workgroup_id_z 0
		.amdhsa_system_sgpr_workgroup_info 0
		.amdhsa_system_vgpr_workitem_id 0
		.amdhsa_next_free_vgpr 37
		.amdhsa_next_free_sgpr 34
		.amdhsa_reserve_vcc 1
		.amdhsa_float_round_mode_32 0
		.amdhsa_float_round_mode_16_64 0
		.amdhsa_float_denorm_mode_32 3
		.amdhsa_float_denorm_mode_16_64 3
		.amdhsa_dx10_clamp 1
		.amdhsa_ieee_mode 1
		.amdhsa_fp16_overflow 0
		.amdhsa_workgroup_processor_mode 1
		.amdhsa_memory_ordered 1
		.amdhsa_forward_progress 0
		.amdhsa_shared_vgpr_count 0
		.amdhsa_exception_fp_ieee_invalid_op 0
		.amdhsa_exception_fp_denorm_src 0
		.amdhsa_exception_fp_ieee_div_zero 0
		.amdhsa_exception_fp_ieee_overflow 0
		.amdhsa_exception_fp_ieee_underflow 0
		.amdhsa_exception_fp_ieee_inexact 0
		.amdhsa_exception_int_div_zero 0
	.end_amdhsa_kernel
	.section	.text._ZL15flash_attn_tileILi80ELi80ELi8ELi8ELb1EEvPKcS1_S1_S1_S1_PKiPfP15HIP_vector_typeIfLj2EEffffjfiS5_IjLj3EEiiiiiiiiiiiliiliiiiil,"axG",@progbits,_ZL15flash_attn_tileILi80ELi80ELi8ELi8ELb1EEvPKcS1_S1_S1_S1_PKiPfP15HIP_vector_typeIfLj2EEffffjfiS5_IjLj3EEiiiiiiiiiiiliiliiiiil,comdat
.Lfunc_end74:
	.size	_ZL15flash_attn_tileILi80ELi80ELi8ELi8ELb1EEvPKcS1_S1_S1_S1_PKiPfP15HIP_vector_typeIfLj2EEffffjfiS5_IjLj3EEiiiiiiiiiiiliiliiiiil, .Lfunc_end74-_ZL15flash_attn_tileILi80ELi80ELi8ELi8ELb1EEvPKcS1_S1_S1_S1_PKiPfP15HIP_vector_typeIfLj2EEffffjfiS5_IjLj3EEiiiiiiiiiiiliiliiiiil
                                        ; -- End function
	.section	.AMDGPU.csdata,"",@progbits
; Kernel info:
; codeLenInByte = 44
; NumSgprs: 36
; NumVgprs: 37
; ScratchSize: 16
; MemoryBound: 0
; FloatMode: 240
; IeeeMode: 1
; LDSByteSize: 0 bytes/workgroup (compile time only)
; SGPRBlocks: 4
; VGPRBlocks: 4
; NumSGPRsForWavesPerEU: 36
; NumVGPRsForWavesPerEU: 37
; Occupancy: 16
; WaveLimiterHint : 1
; COMPUTE_PGM_RSRC2:SCRATCH_EN: 1
; COMPUTE_PGM_RSRC2:USER_SGPR: 15
; COMPUTE_PGM_RSRC2:TRAP_HANDLER: 0
; COMPUTE_PGM_RSRC2:TGID_X_EN: 1
; COMPUTE_PGM_RSRC2:TGID_Y_EN: 0
; COMPUTE_PGM_RSRC2:TGID_Z_EN: 0
; COMPUTE_PGM_RSRC2:TIDIG_COMP_CNT: 0
	.section	.text._ZL15flash_attn_tileILi80ELi80ELi4ELi8ELb1EEvPKcS1_S1_S1_S1_PKiPfP15HIP_vector_typeIfLj2EEffffjfiS5_IjLj3EEiiiiiiiiiiiliiliiiiil,"axG",@progbits,_ZL15flash_attn_tileILi80ELi80ELi4ELi8ELb1EEvPKcS1_S1_S1_S1_PKiPfP15HIP_vector_typeIfLj2EEffffjfiS5_IjLj3EEiiiiiiiiiiiliiliiiiil,comdat
	.globl	_ZL15flash_attn_tileILi80ELi80ELi4ELi8ELb1EEvPKcS1_S1_S1_S1_PKiPfP15HIP_vector_typeIfLj2EEffffjfiS5_IjLj3EEiiiiiiiiiiiliiliiiiil ; -- Begin function _ZL15flash_attn_tileILi80ELi80ELi4ELi8ELb1EEvPKcS1_S1_S1_S1_PKiPfP15HIP_vector_typeIfLj2EEffffjfiS5_IjLj3EEiiiiiiiiiiiliiliiiiil
	.p2align	8
	.type	_ZL15flash_attn_tileILi80ELi80ELi4ELi8ELb1EEvPKcS1_S1_S1_S1_PKiPfP15HIP_vector_typeIfLj2EEffffjfiS5_IjLj3EEiiiiiiiiiiiliiliiiiil,@function
_ZL15flash_attn_tileILi80ELi80ELi4ELi8ELb1EEvPKcS1_S1_S1_S1_PKiPfP15HIP_vector_typeIfLj2EEffffjfiS5_IjLj3EEiiiiiiiiiiiliiliiiiil: ; @_ZL15flash_attn_tileILi80ELi80ELi4ELi8ELb1EEvPKcS1_S1_S1_S1_PKiPfP15HIP_vector_typeIfLj2EEffffjfiS5_IjLj3EEiiiiiiiiiiiliiliiiiil
; %bb.0:
	s_add_u32 s8, s0, 0xd0
	s_addc_u32 s9, s1, 0
	s_mov_b32 s32, 0
	s_getpc_b64 s[0:1]
	s_add_u32 s0, s0, _ZL14no_device_codePKciS0_iS0_@rel32@lo+4
	s_addc_u32 s1, s1, _ZL14no_device_codePKciS0_iS0_@rel32@hi+12
	s_delay_alu instid0(SALU_CYCLE_1)
	s_swappc_b64 s[30:31], s[0:1]
	.section	.rodata,"a",@progbits
	.p2align	6, 0x0
	.amdhsa_kernel _ZL15flash_attn_tileILi80ELi80ELi4ELi8ELb1EEvPKcS1_S1_S1_S1_PKiPfP15HIP_vector_typeIfLj2EEffffjfiS5_IjLj3EEiiiiiiiiiiiliiliiiiil
		.amdhsa_group_segment_fixed_size 0
		.amdhsa_private_segment_fixed_size 16
		.amdhsa_kernarg_size 464
		.amdhsa_user_sgpr_count 15
		.amdhsa_user_sgpr_dispatch_ptr 0
		.amdhsa_user_sgpr_queue_ptr 0
		.amdhsa_user_sgpr_kernarg_segment_ptr 1
		.amdhsa_user_sgpr_dispatch_id 0
		.amdhsa_user_sgpr_private_segment_size 0
		.amdhsa_wavefront_size32 1
		.amdhsa_uses_dynamic_stack 0
		.amdhsa_enable_private_segment 1
		.amdhsa_system_sgpr_workgroup_id_x 1
		.amdhsa_system_sgpr_workgroup_id_y 0
		.amdhsa_system_sgpr_workgroup_id_z 0
		.amdhsa_system_sgpr_workgroup_info 0
		.amdhsa_system_vgpr_workitem_id 0
		.amdhsa_next_free_vgpr 37
		.amdhsa_next_free_sgpr 34
		.amdhsa_reserve_vcc 1
		.amdhsa_float_round_mode_32 0
		.amdhsa_float_round_mode_16_64 0
		.amdhsa_float_denorm_mode_32 3
		.amdhsa_float_denorm_mode_16_64 3
		.amdhsa_dx10_clamp 1
		.amdhsa_ieee_mode 1
		.amdhsa_fp16_overflow 0
		.amdhsa_workgroup_processor_mode 1
		.amdhsa_memory_ordered 1
		.amdhsa_forward_progress 0
		.amdhsa_shared_vgpr_count 0
		.amdhsa_exception_fp_ieee_invalid_op 0
		.amdhsa_exception_fp_denorm_src 0
		.amdhsa_exception_fp_ieee_div_zero 0
		.amdhsa_exception_fp_ieee_overflow 0
		.amdhsa_exception_fp_ieee_underflow 0
		.amdhsa_exception_fp_ieee_inexact 0
		.amdhsa_exception_int_div_zero 0
	.end_amdhsa_kernel
	.section	.text._ZL15flash_attn_tileILi80ELi80ELi4ELi8ELb1EEvPKcS1_S1_S1_S1_PKiPfP15HIP_vector_typeIfLj2EEffffjfiS5_IjLj3EEiiiiiiiiiiiliiliiiiil,"axG",@progbits,_ZL15flash_attn_tileILi80ELi80ELi4ELi8ELb1EEvPKcS1_S1_S1_S1_PKiPfP15HIP_vector_typeIfLj2EEffffjfiS5_IjLj3EEiiiiiiiiiiiliiliiiiil,comdat
.Lfunc_end75:
	.size	_ZL15flash_attn_tileILi80ELi80ELi4ELi8ELb1EEvPKcS1_S1_S1_S1_PKiPfP15HIP_vector_typeIfLj2EEffffjfiS5_IjLj3EEiiiiiiiiiiiliiliiiiil, .Lfunc_end75-_ZL15flash_attn_tileILi80ELi80ELi4ELi8ELb1EEvPKcS1_S1_S1_S1_PKiPfP15HIP_vector_typeIfLj2EEffffjfiS5_IjLj3EEiiiiiiiiiiiliiliiiiil
                                        ; -- End function
	.section	.AMDGPU.csdata,"",@progbits
; Kernel info:
; codeLenInByte = 44
; NumSgprs: 36
; NumVgprs: 37
; ScratchSize: 16
; MemoryBound: 0
; FloatMode: 240
; IeeeMode: 1
; LDSByteSize: 0 bytes/workgroup (compile time only)
; SGPRBlocks: 4
; VGPRBlocks: 4
; NumSGPRsForWavesPerEU: 36
; NumVGPRsForWavesPerEU: 37
; Occupancy: 16
; WaveLimiterHint : 1
; COMPUTE_PGM_RSRC2:SCRATCH_EN: 1
; COMPUTE_PGM_RSRC2:USER_SGPR: 15
; COMPUTE_PGM_RSRC2:TRAP_HANDLER: 0
; COMPUTE_PGM_RSRC2:TGID_X_EN: 1
; COMPUTE_PGM_RSRC2:TGID_Y_EN: 0
; COMPUTE_PGM_RSRC2:TGID_Z_EN: 0
; COMPUTE_PGM_RSRC2:TIDIG_COMP_CNT: 0
	.section	.text._ZL15flash_attn_tileILi80ELi80ELi2ELi8ELb1EEvPKcS1_S1_S1_S1_PKiPfP15HIP_vector_typeIfLj2EEffffjfiS5_IjLj3EEiiiiiiiiiiiliiliiiiil,"axG",@progbits,_ZL15flash_attn_tileILi80ELi80ELi2ELi8ELb1EEvPKcS1_S1_S1_S1_PKiPfP15HIP_vector_typeIfLj2EEffffjfiS5_IjLj3EEiiiiiiiiiiiliiliiiiil,comdat
	.globl	_ZL15flash_attn_tileILi80ELi80ELi2ELi8ELb1EEvPKcS1_S1_S1_S1_PKiPfP15HIP_vector_typeIfLj2EEffffjfiS5_IjLj3EEiiiiiiiiiiiliiliiiiil ; -- Begin function _ZL15flash_attn_tileILi80ELi80ELi2ELi8ELb1EEvPKcS1_S1_S1_S1_PKiPfP15HIP_vector_typeIfLj2EEffffjfiS5_IjLj3EEiiiiiiiiiiiliiliiiiil
	.p2align	8
	.type	_ZL15flash_attn_tileILi80ELi80ELi2ELi8ELb1EEvPKcS1_S1_S1_S1_PKiPfP15HIP_vector_typeIfLj2EEffffjfiS5_IjLj3EEiiiiiiiiiiiliiliiiiil,@function
_ZL15flash_attn_tileILi80ELi80ELi2ELi8ELb1EEvPKcS1_S1_S1_S1_PKiPfP15HIP_vector_typeIfLj2EEffffjfiS5_IjLj3EEiiiiiiiiiiiliiliiiiil: ; @_ZL15flash_attn_tileILi80ELi80ELi2ELi8ELb1EEvPKcS1_S1_S1_S1_PKiPfP15HIP_vector_typeIfLj2EEffffjfiS5_IjLj3EEiiiiiiiiiiiliiliiiiil
; %bb.0:
	s_add_u32 s8, s0, 0xd0
	s_addc_u32 s9, s1, 0
	s_mov_b32 s32, 0
	s_getpc_b64 s[0:1]
	s_add_u32 s0, s0, _ZL14no_device_codePKciS0_iS0_@rel32@lo+4
	s_addc_u32 s1, s1, _ZL14no_device_codePKciS0_iS0_@rel32@hi+12
	s_delay_alu instid0(SALU_CYCLE_1)
	s_swappc_b64 s[30:31], s[0:1]
	.section	.rodata,"a",@progbits
	.p2align	6, 0x0
	.amdhsa_kernel _ZL15flash_attn_tileILi80ELi80ELi2ELi8ELb1EEvPKcS1_S1_S1_S1_PKiPfP15HIP_vector_typeIfLj2EEffffjfiS5_IjLj3EEiiiiiiiiiiiliiliiiiil
		.amdhsa_group_segment_fixed_size 0
		.amdhsa_private_segment_fixed_size 16
		.amdhsa_kernarg_size 464
		.amdhsa_user_sgpr_count 15
		.amdhsa_user_sgpr_dispatch_ptr 0
		.amdhsa_user_sgpr_queue_ptr 0
		.amdhsa_user_sgpr_kernarg_segment_ptr 1
		.amdhsa_user_sgpr_dispatch_id 0
		.amdhsa_user_sgpr_private_segment_size 0
		.amdhsa_wavefront_size32 1
		.amdhsa_uses_dynamic_stack 0
		.amdhsa_enable_private_segment 1
		.amdhsa_system_sgpr_workgroup_id_x 1
		.amdhsa_system_sgpr_workgroup_id_y 0
		.amdhsa_system_sgpr_workgroup_id_z 0
		.amdhsa_system_sgpr_workgroup_info 0
		.amdhsa_system_vgpr_workitem_id 0
		.amdhsa_next_free_vgpr 37
		.amdhsa_next_free_sgpr 34
		.amdhsa_reserve_vcc 1
		.amdhsa_float_round_mode_32 0
		.amdhsa_float_round_mode_16_64 0
		.amdhsa_float_denorm_mode_32 3
		.amdhsa_float_denorm_mode_16_64 3
		.amdhsa_dx10_clamp 1
		.amdhsa_ieee_mode 1
		.amdhsa_fp16_overflow 0
		.amdhsa_workgroup_processor_mode 1
		.amdhsa_memory_ordered 1
		.amdhsa_forward_progress 0
		.amdhsa_shared_vgpr_count 0
		.amdhsa_exception_fp_ieee_invalid_op 0
		.amdhsa_exception_fp_denorm_src 0
		.amdhsa_exception_fp_ieee_div_zero 0
		.amdhsa_exception_fp_ieee_overflow 0
		.amdhsa_exception_fp_ieee_underflow 0
		.amdhsa_exception_fp_ieee_inexact 0
		.amdhsa_exception_int_div_zero 0
	.end_amdhsa_kernel
	.section	.text._ZL15flash_attn_tileILi80ELi80ELi2ELi8ELb1EEvPKcS1_S1_S1_S1_PKiPfP15HIP_vector_typeIfLj2EEffffjfiS5_IjLj3EEiiiiiiiiiiiliiliiiiil,"axG",@progbits,_ZL15flash_attn_tileILi80ELi80ELi2ELi8ELb1EEvPKcS1_S1_S1_S1_PKiPfP15HIP_vector_typeIfLj2EEffffjfiS5_IjLj3EEiiiiiiiiiiiliiliiiiil,comdat
.Lfunc_end76:
	.size	_ZL15flash_attn_tileILi80ELi80ELi2ELi8ELb1EEvPKcS1_S1_S1_S1_PKiPfP15HIP_vector_typeIfLj2EEffffjfiS5_IjLj3EEiiiiiiiiiiiliiliiiiil, .Lfunc_end76-_ZL15flash_attn_tileILi80ELi80ELi2ELi8ELb1EEvPKcS1_S1_S1_S1_PKiPfP15HIP_vector_typeIfLj2EEffffjfiS5_IjLj3EEiiiiiiiiiiiliiliiiiil
                                        ; -- End function
	.section	.AMDGPU.csdata,"",@progbits
; Kernel info:
; codeLenInByte = 44
; NumSgprs: 36
; NumVgprs: 37
; ScratchSize: 16
; MemoryBound: 0
; FloatMode: 240
; IeeeMode: 1
; LDSByteSize: 0 bytes/workgroup (compile time only)
; SGPRBlocks: 4
; VGPRBlocks: 4
; NumSGPRsForWavesPerEU: 36
; NumVGPRsForWavesPerEU: 37
; Occupancy: 16
; WaveLimiterHint : 1
; COMPUTE_PGM_RSRC2:SCRATCH_EN: 1
; COMPUTE_PGM_RSRC2:USER_SGPR: 15
; COMPUTE_PGM_RSRC2:TRAP_HANDLER: 0
; COMPUTE_PGM_RSRC2:TGID_X_EN: 1
; COMPUTE_PGM_RSRC2:TGID_Y_EN: 0
; COMPUTE_PGM_RSRC2:TGID_Z_EN: 0
; COMPUTE_PGM_RSRC2:TIDIG_COMP_CNT: 0
	.section	.text._ZL15flash_attn_tileILi80ELi80ELi1ELi8ELb1EEvPKcS1_S1_S1_S1_PKiPfP15HIP_vector_typeIfLj2EEffffjfiS5_IjLj3EEiiiiiiiiiiiliiliiiiil,"axG",@progbits,_ZL15flash_attn_tileILi80ELi80ELi1ELi8ELb1EEvPKcS1_S1_S1_S1_PKiPfP15HIP_vector_typeIfLj2EEffffjfiS5_IjLj3EEiiiiiiiiiiiliiliiiiil,comdat
	.globl	_ZL15flash_attn_tileILi80ELi80ELi1ELi8ELb1EEvPKcS1_S1_S1_S1_PKiPfP15HIP_vector_typeIfLj2EEffffjfiS5_IjLj3EEiiiiiiiiiiiliiliiiiil ; -- Begin function _ZL15flash_attn_tileILi80ELi80ELi1ELi8ELb1EEvPKcS1_S1_S1_S1_PKiPfP15HIP_vector_typeIfLj2EEffffjfiS5_IjLj3EEiiiiiiiiiiiliiliiiiil
	.p2align	8
	.type	_ZL15flash_attn_tileILi80ELi80ELi1ELi8ELb1EEvPKcS1_S1_S1_S1_PKiPfP15HIP_vector_typeIfLj2EEffffjfiS5_IjLj3EEiiiiiiiiiiiliiliiiiil,@function
_ZL15flash_attn_tileILi80ELi80ELi1ELi8ELb1EEvPKcS1_S1_S1_S1_PKiPfP15HIP_vector_typeIfLj2EEffffjfiS5_IjLj3EEiiiiiiiiiiiliiliiiiil: ; @_ZL15flash_attn_tileILi80ELi80ELi1ELi8ELb1EEvPKcS1_S1_S1_S1_PKiPfP15HIP_vector_typeIfLj2EEffffjfiS5_IjLj3EEiiiiiiiiiiiliiliiiiil
; %bb.0:
	s_add_u32 s8, s0, 0xd0
	s_addc_u32 s9, s1, 0
	s_mov_b32 s32, 0
	s_getpc_b64 s[0:1]
	s_add_u32 s0, s0, _ZL14no_device_codePKciS0_iS0_@rel32@lo+4
	s_addc_u32 s1, s1, _ZL14no_device_codePKciS0_iS0_@rel32@hi+12
	s_delay_alu instid0(SALU_CYCLE_1)
	s_swappc_b64 s[30:31], s[0:1]
	.section	.rodata,"a",@progbits
	.p2align	6, 0x0
	.amdhsa_kernel _ZL15flash_attn_tileILi80ELi80ELi1ELi8ELb1EEvPKcS1_S1_S1_S1_PKiPfP15HIP_vector_typeIfLj2EEffffjfiS5_IjLj3EEiiiiiiiiiiiliiliiiiil
		.amdhsa_group_segment_fixed_size 0
		.amdhsa_private_segment_fixed_size 16
		.amdhsa_kernarg_size 464
		.amdhsa_user_sgpr_count 15
		.amdhsa_user_sgpr_dispatch_ptr 0
		.amdhsa_user_sgpr_queue_ptr 0
		.amdhsa_user_sgpr_kernarg_segment_ptr 1
		.amdhsa_user_sgpr_dispatch_id 0
		.amdhsa_user_sgpr_private_segment_size 0
		.amdhsa_wavefront_size32 1
		.amdhsa_uses_dynamic_stack 0
		.amdhsa_enable_private_segment 1
		.amdhsa_system_sgpr_workgroup_id_x 1
		.amdhsa_system_sgpr_workgroup_id_y 0
		.amdhsa_system_sgpr_workgroup_id_z 0
		.amdhsa_system_sgpr_workgroup_info 0
		.amdhsa_system_vgpr_workitem_id 0
		.amdhsa_next_free_vgpr 37
		.amdhsa_next_free_sgpr 34
		.amdhsa_reserve_vcc 1
		.amdhsa_float_round_mode_32 0
		.amdhsa_float_round_mode_16_64 0
		.amdhsa_float_denorm_mode_32 3
		.amdhsa_float_denorm_mode_16_64 3
		.amdhsa_dx10_clamp 1
		.amdhsa_ieee_mode 1
		.amdhsa_fp16_overflow 0
		.amdhsa_workgroup_processor_mode 1
		.amdhsa_memory_ordered 1
		.amdhsa_forward_progress 0
		.amdhsa_shared_vgpr_count 0
		.amdhsa_exception_fp_ieee_invalid_op 0
		.amdhsa_exception_fp_denorm_src 0
		.amdhsa_exception_fp_ieee_div_zero 0
		.amdhsa_exception_fp_ieee_overflow 0
		.amdhsa_exception_fp_ieee_underflow 0
		.amdhsa_exception_fp_ieee_inexact 0
		.amdhsa_exception_int_div_zero 0
	.end_amdhsa_kernel
	.section	.text._ZL15flash_attn_tileILi80ELi80ELi1ELi8ELb1EEvPKcS1_S1_S1_S1_PKiPfP15HIP_vector_typeIfLj2EEffffjfiS5_IjLj3EEiiiiiiiiiiiliiliiiiil,"axG",@progbits,_ZL15flash_attn_tileILi80ELi80ELi1ELi8ELb1EEvPKcS1_S1_S1_S1_PKiPfP15HIP_vector_typeIfLj2EEffffjfiS5_IjLj3EEiiiiiiiiiiiliiliiiiil,comdat
.Lfunc_end77:
	.size	_ZL15flash_attn_tileILi80ELi80ELi1ELi8ELb1EEvPKcS1_S1_S1_S1_PKiPfP15HIP_vector_typeIfLj2EEffffjfiS5_IjLj3EEiiiiiiiiiiiliiliiiiil, .Lfunc_end77-_ZL15flash_attn_tileILi80ELi80ELi1ELi8ELb1EEvPKcS1_S1_S1_S1_PKiPfP15HIP_vector_typeIfLj2EEffffjfiS5_IjLj3EEiiiiiiiiiiiliiliiiiil
                                        ; -- End function
	.section	.AMDGPU.csdata,"",@progbits
; Kernel info:
; codeLenInByte = 44
; NumSgprs: 36
; NumVgprs: 37
; ScratchSize: 16
; MemoryBound: 0
; FloatMode: 240
; IeeeMode: 1
; LDSByteSize: 0 bytes/workgroup (compile time only)
; SGPRBlocks: 4
; VGPRBlocks: 4
; NumSGPRsForWavesPerEU: 36
; NumVGPRsForWavesPerEU: 37
; Occupancy: 16
; WaveLimiterHint : 1
; COMPUTE_PGM_RSRC2:SCRATCH_EN: 1
; COMPUTE_PGM_RSRC2:USER_SGPR: 15
; COMPUTE_PGM_RSRC2:TRAP_HANDLER: 0
; COMPUTE_PGM_RSRC2:TGID_X_EN: 1
; COMPUTE_PGM_RSRC2:TGID_Y_EN: 0
; COMPUTE_PGM_RSRC2:TGID_Z_EN: 0
; COMPUTE_PGM_RSRC2:TIDIG_COMP_CNT: 0
	.section	.text._ZL15flash_attn_tileILi80ELi80ELi16ELi4ELb1EEvPKcS1_S1_S1_S1_PKiPfP15HIP_vector_typeIfLj2EEffffjfiS5_IjLj3EEiiiiiiiiiiiliiliiiiil,"axG",@progbits,_ZL15flash_attn_tileILi80ELi80ELi16ELi4ELb1EEvPKcS1_S1_S1_S1_PKiPfP15HIP_vector_typeIfLj2EEffffjfiS5_IjLj3EEiiiiiiiiiiiliiliiiiil,comdat
	.globl	_ZL15flash_attn_tileILi80ELi80ELi16ELi4ELb1EEvPKcS1_S1_S1_S1_PKiPfP15HIP_vector_typeIfLj2EEffffjfiS5_IjLj3EEiiiiiiiiiiiliiliiiiil ; -- Begin function _ZL15flash_attn_tileILi80ELi80ELi16ELi4ELb1EEvPKcS1_S1_S1_S1_PKiPfP15HIP_vector_typeIfLj2EEffffjfiS5_IjLj3EEiiiiiiiiiiiliiliiiiil
	.p2align	8
	.type	_ZL15flash_attn_tileILi80ELi80ELi16ELi4ELb1EEvPKcS1_S1_S1_S1_PKiPfP15HIP_vector_typeIfLj2EEffffjfiS5_IjLj3EEiiiiiiiiiiiliiliiiiil,@function
_ZL15flash_attn_tileILi80ELi80ELi16ELi4ELb1EEvPKcS1_S1_S1_S1_PKiPfP15HIP_vector_typeIfLj2EEffffjfiS5_IjLj3EEiiiiiiiiiiiliiliiiiil: ; @_ZL15flash_attn_tileILi80ELi80ELi16ELi4ELb1EEvPKcS1_S1_S1_S1_PKiPfP15HIP_vector_typeIfLj2EEffffjfiS5_IjLj3EEiiiiiiiiiiiliiliiiiil
; %bb.0:
	s_add_u32 s8, s0, 0xd0
	s_addc_u32 s9, s1, 0
	s_mov_b32 s32, 0
	s_getpc_b64 s[0:1]
	s_add_u32 s0, s0, _ZL14no_device_codePKciS0_iS0_@rel32@lo+4
	s_addc_u32 s1, s1, _ZL14no_device_codePKciS0_iS0_@rel32@hi+12
	s_delay_alu instid0(SALU_CYCLE_1)
	s_swappc_b64 s[30:31], s[0:1]
	.section	.rodata,"a",@progbits
	.p2align	6, 0x0
	.amdhsa_kernel _ZL15flash_attn_tileILi80ELi80ELi16ELi4ELb1EEvPKcS1_S1_S1_S1_PKiPfP15HIP_vector_typeIfLj2EEffffjfiS5_IjLj3EEiiiiiiiiiiiliiliiiiil
		.amdhsa_group_segment_fixed_size 0
		.amdhsa_private_segment_fixed_size 16
		.amdhsa_kernarg_size 464
		.amdhsa_user_sgpr_count 15
		.amdhsa_user_sgpr_dispatch_ptr 0
		.amdhsa_user_sgpr_queue_ptr 0
		.amdhsa_user_sgpr_kernarg_segment_ptr 1
		.amdhsa_user_sgpr_dispatch_id 0
		.amdhsa_user_sgpr_private_segment_size 0
		.amdhsa_wavefront_size32 1
		.amdhsa_uses_dynamic_stack 0
		.amdhsa_enable_private_segment 1
		.amdhsa_system_sgpr_workgroup_id_x 1
		.amdhsa_system_sgpr_workgroup_id_y 0
		.amdhsa_system_sgpr_workgroup_id_z 0
		.amdhsa_system_sgpr_workgroup_info 0
		.amdhsa_system_vgpr_workitem_id 0
		.amdhsa_next_free_vgpr 37
		.amdhsa_next_free_sgpr 34
		.amdhsa_reserve_vcc 1
		.amdhsa_float_round_mode_32 0
		.amdhsa_float_round_mode_16_64 0
		.amdhsa_float_denorm_mode_32 3
		.amdhsa_float_denorm_mode_16_64 3
		.amdhsa_dx10_clamp 1
		.amdhsa_ieee_mode 1
		.amdhsa_fp16_overflow 0
		.amdhsa_workgroup_processor_mode 1
		.amdhsa_memory_ordered 1
		.amdhsa_forward_progress 0
		.amdhsa_shared_vgpr_count 0
		.amdhsa_exception_fp_ieee_invalid_op 0
		.amdhsa_exception_fp_denorm_src 0
		.amdhsa_exception_fp_ieee_div_zero 0
		.amdhsa_exception_fp_ieee_overflow 0
		.amdhsa_exception_fp_ieee_underflow 0
		.amdhsa_exception_fp_ieee_inexact 0
		.amdhsa_exception_int_div_zero 0
	.end_amdhsa_kernel
	.section	.text._ZL15flash_attn_tileILi80ELi80ELi16ELi4ELb1EEvPKcS1_S1_S1_S1_PKiPfP15HIP_vector_typeIfLj2EEffffjfiS5_IjLj3EEiiiiiiiiiiiliiliiiiil,"axG",@progbits,_ZL15flash_attn_tileILi80ELi80ELi16ELi4ELb1EEvPKcS1_S1_S1_S1_PKiPfP15HIP_vector_typeIfLj2EEffffjfiS5_IjLj3EEiiiiiiiiiiiliiliiiiil,comdat
.Lfunc_end78:
	.size	_ZL15flash_attn_tileILi80ELi80ELi16ELi4ELb1EEvPKcS1_S1_S1_S1_PKiPfP15HIP_vector_typeIfLj2EEffffjfiS5_IjLj3EEiiiiiiiiiiiliiliiiiil, .Lfunc_end78-_ZL15flash_attn_tileILi80ELi80ELi16ELi4ELb1EEvPKcS1_S1_S1_S1_PKiPfP15HIP_vector_typeIfLj2EEffffjfiS5_IjLj3EEiiiiiiiiiiiliiliiiiil
                                        ; -- End function
	.section	.AMDGPU.csdata,"",@progbits
; Kernel info:
; codeLenInByte = 44
; NumSgprs: 36
; NumVgprs: 37
; ScratchSize: 16
; MemoryBound: 0
; FloatMode: 240
; IeeeMode: 1
; LDSByteSize: 0 bytes/workgroup (compile time only)
; SGPRBlocks: 4
; VGPRBlocks: 4
; NumSGPRsForWavesPerEU: 36
; NumVGPRsForWavesPerEU: 37
; Occupancy: 16
; WaveLimiterHint : 1
; COMPUTE_PGM_RSRC2:SCRATCH_EN: 1
; COMPUTE_PGM_RSRC2:USER_SGPR: 15
; COMPUTE_PGM_RSRC2:TRAP_HANDLER: 0
; COMPUTE_PGM_RSRC2:TGID_X_EN: 1
; COMPUTE_PGM_RSRC2:TGID_Y_EN: 0
; COMPUTE_PGM_RSRC2:TGID_Z_EN: 0
; COMPUTE_PGM_RSRC2:TIDIG_COMP_CNT: 0
	.section	.text._ZL15flash_attn_tileILi80ELi80ELi8ELi4ELb1EEvPKcS1_S1_S1_S1_PKiPfP15HIP_vector_typeIfLj2EEffffjfiS5_IjLj3EEiiiiiiiiiiiliiliiiiil,"axG",@progbits,_ZL15flash_attn_tileILi80ELi80ELi8ELi4ELb1EEvPKcS1_S1_S1_S1_PKiPfP15HIP_vector_typeIfLj2EEffffjfiS5_IjLj3EEiiiiiiiiiiiliiliiiiil,comdat
	.globl	_ZL15flash_attn_tileILi80ELi80ELi8ELi4ELb1EEvPKcS1_S1_S1_S1_PKiPfP15HIP_vector_typeIfLj2EEffffjfiS5_IjLj3EEiiiiiiiiiiiliiliiiiil ; -- Begin function _ZL15flash_attn_tileILi80ELi80ELi8ELi4ELb1EEvPKcS1_S1_S1_S1_PKiPfP15HIP_vector_typeIfLj2EEffffjfiS5_IjLj3EEiiiiiiiiiiiliiliiiiil
	.p2align	8
	.type	_ZL15flash_attn_tileILi80ELi80ELi8ELi4ELb1EEvPKcS1_S1_S1_S1_PKiPfP15HIP_vector_typeIfLj2EEffffjfiS5_IjLj3EEiiiiiiiiiiiliiliiiiil,@function
_ZL15flash_attn_tileILi80ELi80ELi8ELi4ELb1EEvPKcS1_S1_S1_S1_PKiPfP15HIP_vector_typeIfLj2EEffffjfiS5_IjLj3EEiiiiiiiiiiiliiliiiiil: ; @_ZL15flash_attn_tileILi80ELi80ELi8ELi4ELb1EEvPKcS1_S1_S1_S1_PKiPfP15HIP_vector_typeIfLj2EEffffjfiS5_IjLj3EEiiiiiiiiiiiliiliiiiil
; %bb.0:
	s_add_u32 s8, s0, 0xd0
	s_addc_u32 s9, s1, 0
	s_mov_b32 s32, 0
	s_getpc_b64 s[0:1]
	s_add_u32 s0, s0, _ZL14no_device_codePKciS0_iS0_@rel32@lo+4
	s_addc_u32 s1, s1, _ZL14no_device_codePKciS0_iS0_@rel32@hi+12
	s_delay_alu instid0(SALU_CYCLE_1)
	s_swappc_b64 s[30:31], s[0:1]
	.section	.rodata,"a",@progbits
	.p2align	6, 0x0
	.amdhsa_kernel _ZL15flash_attn_tileILi80ELi80ELi8ELi4ELb1EEvPKcS1_S1_S1_S1_PKiPfP15HIP_vector_typeIfLj2EEffffjfiS5_IjLj3EEiiiiiiiiiiiliiliiiiil
		.amdhsa_group_segment_fixed_size 0
		.amdhsa_private_segment_fixed_size 16
		.amdhsa_kernarg_size 464
		.amdhsa_user_sgpr_count 15
		.amdhsa_user_sgpr_dispatch_ptr 0
		.amdhsa_user_sgpr_queue_ptr 0
		.amdhsa_user_sgpr_kernarg_segment_ptr 1
		.amdhsa_user_sgpr_dispatch_id 0
		.amdhsa_user_sgpr_private_segment_size 0
		.amdhsa_wavefront_size32 1
		.amdhsa_uses_dynamic_stack 0
		.amdhsa_enable_private_segment 1
		.amdhsa_system_sgpr_workgroup_id_x 1
		.amdhsa_system_sgpr_workgroup_id_y 0
		.amdhsa_system_sgpr_workgroup_id_z 0
		.amdhsa_system_sgpr_workgroup_info 0
		.amdhsa_system_vgpr_workitem_id 0
		.amdhsa_next_free_vgpr 37
		.amdhsa_next_free_sgpr 34
		.amdhsa_reserve_vcc 1
		.amdhsa_float_round_mode_32 0
		.amdhsa_float_round_mode_16_64 0
		.amdhsa_float_denorm_mode_32 3
		.amdhsa_float_denorm_mode_16_64 3
		.amdhsa_dx10_clamp 1
		.amdhsa_ieee_mode 1
		.amdhsa_fp16_overflow 0
		.amdhsa_workgroup_processor_mode 1
		.amdhsa_memory_ordered 1
		.amdhsa_forward_progress 0
		.amdhsa_shared_vgpr_count 0
		.amdhsa_exception_fp_ieee_invalid_op 0
		.amdhsa_exception_fp_denorm_src 0
		.amdhsa_exception_fp_ieee_div_zero 0
		.amdhsa_exception_fp_ieee_overflow 0
		.amdhsa_exception_fp_ieee_underflow 0
		.amdhsa_exception_fp_ieee_inexact 0
		.amdhsa_exception_int_div_zero 0
	.end_amdhsa_kernel
	.section	.text._ZL15flash_attn_tileILi80ELi80ELi8ELi4ELb1EEvPKcS1_S1_S1_S1_PKiPfP15HIP_vector_typeIfLj2EEffffjfiS5_IjLj3EEiiiiiiiiiiiliiliiiiil,"axG",@progbits,_ZL15flash_attn_tileILi80ELi80ELi8ELi4ELb1EEvPKcS1_S1_S1_S1_PKiPfP15HIP_vector_typeIfLj2EEffffjfiS5_IjLj3EEiiiiiiiiiiiliiliiiiil,comdat
.Lfunc_end79:
	.size	_ZL15flash_attn_tileILi80ELi80ELi8ELi4ELb1EEvPKcS1_S1_S1_S1_PKiPfP15HIP_vector_typeIfLj2EEffffjfiS5_IjLj3EEiiiiiiiiiiiliiliiiiil, .Lfunc_end79-_ZL15flash_attn_tileILi80ELi80ELi8ELi4ELb1EEvPKcS1_S1_S1_S1_PKiPfP15HIP_vector_typeIfLj2EEffffjfiS5_IjLj3EEiiiiiiiiiiiliiliiiiil
                                        ; -- End function
	.section	.AMDGPU.csdata,"",@progbits
; Kernel info:
; codeLenInByte = 44
; NumSgprs: 36
; NumVgprs: 37
; ScratchSize: 16
; MemoryBound: 0
; FloatMode: 240
; IeeeMode: 1
; LDSByteSize: 0 bytes/workgroup (compile time only)
; SGPRBlocks: 4
; VGPRBlocks: 4
; NumSGPRsForWavesPerEU: 36
; NumVGPRsForWavesPerEU: 37
; Occupancy: 16
; WaveLimiterHint : 1
; COMPUTE_PGM_RSRC2:SCRATCH_EN: 1
; COMPUTE_PGM_RSRC2:USER_SGPR: 15
; COMPUTE_PGM_RSRC2:TRAP_HANDLER: 0
; COMPUTE_PGM_RSRC2:TGID_X_EN: 1
; COMPUTE_PGM_RSRC2:TGID_Y_EN: 0
; COMPUTE_PGM_RSRC2:TGID_Z_EN: 0
; COMPUTE_PGM_RSRC2:TIDIG_COMP_CNT: 0
	.section	.text._ZL15flash_attn_tileILi80ELi80ELi4ELi4ELb1EEvPKcS1_S1_S1_S1_PKiPfP15HIP_vector_typeIfLj2EEffffjfiS5_IjLj3EEiiiiiiiiiiiliiliiiiil,"axG",@progbits,_ZL15flash_attn_tileILi80ELi80ELi4ELi4ELb1EEvPKcS1_S1_S1_S1_PKiPfP15HIP_vector_typeIfLj2EEffffjfiS5_IjLj3EEiiiiiiiiiiiliiliiiiil,comdat
	.globl	_ZL15flash_attn_tileILi80ELi80ELi4ELi4ELb1EEvPKcS1_S1_S1_S1_PKiPfP15HIP_vector_typeIfLj2EEffffjfiS5_IjLj3EEiiiiiiiiiiiliiliiiiil ; -- Begin function _ZL15flash_attn_tileILi80ELi80ELi4ELi4ELb1EEvPKcS1_S1_S1_S1_PKiPfP15HIP_vector_typeIfLj2EEffffjfiS5_IjLj3EEiiiiiiiiiiiliiliiiiil
	.p2align	8
	.type	_ZL15flash_attn_tileILi80ELi80ELi4ELi4ELb1EEvPKcS1_S1_S1_S1_PKiPfP15HIP_vector_typeIfLj2EEffffjfiS5_IjLj3EEiiiiiiiiiiiliiliiiiil,@function
_ZL15flash_attn_tileILi80ELi80ELi4ELi4ELb1EEvPKcS1_S1_S1_S1_PKiPfP15HIP_vector_typeIfLj2EEffffjfiS5_IjLj3EEiiiiiiiiiiiliiliiiiil: ; @_ZL15flash_attn_tileILi80ELi80ELi4ELi4ELb1EEvPKcS1_S1_S1_S1_PKiPfP15HIP_vector_typeIfLj2EEffffjfiS5_IjLj3EEiiiiiiiiiiiliiliiiiil
; %bb.0:
	s_add_u32 s8, s0, 0xd0
	s_addc_u32 s9, s1, 0
	s_mov_b32 s32, 0
	s_getpc_b64 s[0:1]
	s_add_u32 s0, s0, _ZL14no_device_codePKciS0_iS0_@rel32@lo+4
	s_addc_u32 s1, s1, _ZL14no_device_codePKciS0_iS0_@rel32@hi+12
	s_delay_alu instid0(SALU_CYCLE_1)
	s_swappc_b64 s[30:31], s[0:1]
	.section	.rodata,"a",@progbits
	.p2align	6, 0x0
	.amdhsa_kernel _ZL15flash_attn_tileILi80ELi80ELi4ELi4ELb1EEvPKcS1_S1_S1_S1_PKiPfP15HIP_vector_typeIfLj2EEffffjfiS5_IjLj3EEiiiiiiiiiiiliiliiiiil
		.amdhsa_group_segment_fixed_size 0
		.amdhsa_private_segment_fixed_size 16
		.amdhsa_kernarg_size 464
		.amdhsa_user_sgpr_count 15
		.amdhsa_user_sgpr_dispatch_ptr 0
		.amdhsa_user_sgpr_queue_ptr 0
		.amdhsa_user_sgpr_kernarg_segment_ptr 1
		.amdhsa_user_sgpr_dispatch_id 0
		.amdhsa_user_sgpr_private_segment_size 0
		.amdhsa_wavefront_size32 1
		.amdhsa_uses_dynamic_stack 0
		.amdhsa_enable_private_segment 1
		.amdhsa_system_sgpr_workgroup_id_x 1
		.amdhsa_system_sgpr_workgroup_id_y 0
		.amdhsa_system_sgpr_workgroup_id_z 0
		.amdhsa_system_sgpr_workgroup_info 0
		.amdhsa_system_vgpr_workitem_id 0
		.amdhsa_next_free_vgpr 37
		.amdhsa_next_free_sgpr 34
		.amdhsa_reserve_vcc 1
		.amdhsa_float_round_mode_32 0
		.amdhsa_float_round_mode_16_64 0
		.amdhsa_float_denorm_mode_32 3
		.amdhsa_float_denorm_mode_16_64 3
		.amdhsa_dx10_clamp 1
		.amdhsa_ieee_mode 1
		.amdhsa_fp16_overflow 0
		.amdhsa_workgroup_processor_mode 1
		.amdhsa_memory_ordered 1
		.amdhsa_forward_progress 0
		.amdhsa_shared_vgpr_count 0
		.amdhsa_exception_fp_ieee_invalid_op 0
		.amdhsa_exception_fp_denorm_src 0
		.amdhsa_exception_fp_ieee_div_zero 0
		.amdhsa_exception_fp_ieee_overflow 0
		.amdhsa_exception_fp_ieee_underflow 0
		.amdhsa_exception_fp_ieee_inexact 0
		.amdhsa_exception_int_div_zero 0
	.end_amdhsa_kernel
	.section	.text._ZL15flash_attn_tileILi80ELi80ELi4ELi4ELb1EEvPKcS1_S1_S1_S1_PKiPfP15HIP_vector_typeIfLj2EEffffjfiS5_IjLj3EEiiiiiiiiiiiliiliiiiil,"axG",@progbits,_ZL15flash_attn_tileILi80ELi80ELi4ELi4ELb1EEvPKcS1_S1_S1_S1_PKiPfP15HIP_vector_typeIfLj2EEffffjfiS5_IjLj3EEiiiiiiiiiiiliiliiiiil,comdat
.Lfunc_end80:
	.size	_ZL15flash_attn_tileILi80ELi80ELi4ELi4ELb1EEvPKcS1_S1_S1_S1_PKiPfP15HIP_vector_typeIfLj2EEffffjfiS5_IjLj3EEiiiiiiiiiiiliiliiiiil, .Lfunc_end80-_ZL15flash_attn_tileILi80ELi80ELi4ELi4ELb1EEvPKcS1_S1_S1_S1_PKiPfP15HIP_vector_typeIfLj2EEffffjfiS5_IjLj3EEiiiiiiiiiiiliiliiiiil
                                        ; -- End function
	.section	.AMDGPU.csdata,"",@progbits
; Kernel info:
; codeLenInByte = 44
; NumSgprs: 36
; NumVgprs: 37
; ScratchSize: 16
; MemoryBound: 0
; FloatMode: 240
; IeeeMode: 1
; LDSByteSize: 0 bytes/workgroup (compile time only)
; SGPRBlocks: 4
; VGPRBlocks: 4
; NumSGPRsForWavesPerEU: 36
; NumVGPRsForWavesPerEU: 37
; Occupancy: 16
; WaveLimiterHint : 1
; COMPUTE_PGM_RSRC2:SCRATCH_EN: 1
; COMPUTE_PGM_RSRC2:USER_SGPR: 15
; COMPUTE_PGM_RSRC2:TRAP_HANDLER: 0
; COMPUTE_PGM_RSRC2:TGID_X_EN: 1
; COMPUTE_PGM_RSRC2:TGID_Y_EN: 0
; COMPUTE_PGM_RSRC2:TGID_Z_EN: 0
; COMPUTE_PGM_RSRC2:TIDIG_COMP_CNT: 0
	.section	.text._ZL15flash_attn_tileILi80ELi80ELi2ELi4ELb1EEvPKcS1_S1_S1_S1_PKiPfP15HIP_vector_typeIfLj2EEffffjfiS5_IjLj3EEiiiiiiiiiiiliiliiiiil,"axG",@progbits,_ZL15flash_attn_tileILi80ELi80ELi2ELi4ELb1EEvPKcS1_S1_S1_S1_PKiPfP15HIP_vector_typeIfLj2EEffffjfiS5_IjLj3EEiiiiiiiiiiiliiliiiiil,comdat
	.globl	_ZL15flash_attn_tileILi80ELi80ELi2ELi4ELb1EEvPKcS1_S1_S1_S1_PKiPfP15HIP_vector_typeIfLj2EEffffjfiS5_IjLj3EEiiiiiiiiiiiliiliiiiil ; -- Begin function _ZL15flash_attn_tileILi80ELi80ELi2ELi4ELb1EEvPKcS1_S1_S1_S1_PKiPfP15HIP_vector_typeIfLj2EEffffjfiS5_IjLj3EEiiiiiiiiiiiliiliiiiil
	.p2align	8
	.type	_ZL15flash_attn_tileILi80ELi80ELi2ELi4ELb1EEvPKcS1_S1_S1_S1_PKiPfP15HIP_vector_typeIfLj2EEffffjfiS5_IjLj3EEiiiiiiiiiiiliiliiiiil,@function
_ZL15flash_attn_tileILi80ELi80ELi2ELi4ELb1EEvPKcS1_S1_S1_S1_PKiPfP15HIP_vector_typeIfLj2EEffffjfiS5_IjLj3EEiiiiiiiiiiiliiliiiiil: ; @_ZL15flash_attn_tileILi80ELi80ELi2ELi4ELb1EEvPKcS1_S1_S1_S1_PKiPfP15HIP_vector_typeIfLj2EEffffjfiS5_IjLj3EEiiiiiiiiiiiliiliiiiil
; %bb.0:
	s_add_u32 s8, s0, 0xd0
	s_addc_u32 s9, s1, 0
	s_mov_b32 s32, 0
	s_getpc_b64 s[0:1]
	s_add_u32 s0, s0, _ZL14no_device_codePKciS0_iS0_@rel32@lo+4
	s_addc_u32 s1, s1, _ZL14no_device_codePKciS0_iS0_@rel32@hi+12
	s_delay_alu instid0(SALU_CYCLE_1)
	s_swappc_b64 s[30:31], s[0:1]
	.section	.rodata,"a",@progbits
	.p2align	6, 0x0
	.amdhsa_kernel _ZL15flash_attn_tileILi80ELi80ELi2ELi4ELb1EEvPKcS1_S1_S1_S1_PKiPfP15HIP_vector_typeIfLj2EEffffjfiS5_IjLj3EEiiiiiiiiiiiliiliiiiil
		.amdhsa_group_segment_fixed_size 0
		.amdhsa_private_segment_fixed_size 16
		.amdhsa_kernarg_size 464
		.amdhsa_user_sgpr_count 15
		.amdhsa_user_sgpr_dispatch_ptr 0
		.amdhsa_user_sgpr_queue_ptr 0
		.amdhsa_user_sgpr_kernarg_segment_ptr 1
		.amdhsa_user_sgpr_dispatch_id 0
		.amdhsa_user_sgpr_private_segment_size 0
		.amdhsa_wavefront_size32 1
		.amdhsa_uses_dynamic_stack 0
		.amdhsa_enable_private_segment 1
		.amdhsa_system_sgpr_workgroup_id_x 1
		.amdhsa_system_sgpr_workgroup_id_y 0
		.amdhsa_system_sgpr_workgroup_id_z 0
		.amdhsa_system_sgpr_workgroup_info 0
		.amdhsa_system_vgpr_workitem_id 0
		.amdhsa_next_free_vgpr 37
		.amdhsa_next_free_sgpr 34
		.amdhsa_reserve_vcc 1
		.amdhsa_float_round_mode_32 0
		.amdhsa_float_round_mode_16_64 0
		.amdhsa_float_denorm_mode_32 3
		.amdhsa_float_denorm_mode_16_64 3
		.amdhsa_dx10_clamp 1
		.amdhsa_ieee_mode 1
		.amdhsa_fp16_overflow 0
		.amdhsa_workgroup_processor_mode 1
		.amdhsa_memory_ordered 1
		.amdhsa_forward_progress 0
		.amdhsa_shared_vgpr_count 0
		.amdhsa_exception_fp_ieee_invalid_op 0
		.amdhsa_exception_fp_denorm_src 0
		.amdhsa_exception_fp_ieee_div_zero 0
		.amdhsa_exception_fp_ieee_overflow 0
		.amdhsa_exception_fp_ieee_underflow 0
		.amdhsa_exception_fp_ieee_inexact 0
		.amdhsa_exception_int_div_zero 0
	.end_amdhsa_kernel
	.section	.text._ZL15flash_attn_tileILi80ELi80ELi2ELi4ELb1EEvPKcS1_S1_S1_S1_PKiPfP15HIP_vector_typeIfLj2EEffffjfiS5_IjLj3EEiiiiiiiiiiiliiliiiiil,"axG",@progbits,_ZL15flash_attn_tileILi80ELi80ELi2ELi4ELb1EEvPKcS1_S1_S1_S1_PKiPfP15HIP_vector_typeIfLj2EEffffjfiS5_IjLj3EEiiiiiiiiiiiliiliiiiil,comdat
.Lfunc_end81:
	.size	_ZL15flash_attn_tileILi80ELi80ELi2ELi4ELb1EEvPKcS1_S1_S1_S1_PKiPfP15HIP_vector_typeIfLj2EEffffjfiS5_IjLj3EEiiiiiiiiiiiliiliiiiil, .Lfunc_end81-_ZL15flash_attn_tileILi80ELi80ELi2ELi4ELb1EEvPKcS1_S1_S1_S1_PKiPfP15HIP_vector_typeIfLj2EEffffjfiS5_IjLj3EEiiiiiiiiiiiliiliiiiil
                                        ; -- End function
	.section	.AMDGPU.csdata,"",@progbits
; Kernel info:
; codeLenInByte = 44
; NumSgprs: 36
; NumVgprs: 37
; ScratchSize: 16
; MemoryBound: 0
; FloatMode: 240
; IeeeMode: 1
; LDSByteSize: 0 bytes/workgroup (compile time only)
; SGPRBlocks: 4
; VGPRBlocks: 4
; NumSGPRsForWavesPerEU: 36
; NumVGPRsForWavesPerEU: 37
; Occupancy: 16
; WaveLimiterHint : 1
; COMPUTE_PGM_RSRC2:SCRATCH_EN: 1
; COMPUTE_PGM_RSRC2:USER_SGPR: 15
; COMPUTE_PGM_RSRC2:TRAP_HANDLER: 0
; COMPUTE_PGM_RSRC2:TGID_X_EN: 1
; COMPUTE_PGM_RSRC2:TGID_Y_EN: 0
; COMPUTE_PGM_RSRC2:TGID_Z_EN: 0
; COMPUTE_PGM_RSRC2:TIDIG_COMP_CNT: 0
	.section	.text._ZL15flash_attn_tileILi80ELi80ELi1ELi4ELb1EEvPKcS1_S1_S1_S1_PKiPfP15HIP_vector_typeIfLj2EEffffjfiS5_IjLj3EEiiiiiiiiiiiliiliiiiil,"axG",@progbits,_ZL15flash_attn_tileILi80ELi80ELi1ELi4ELb1EEvPKcS1_S1_S1_S1_PKiPfP15HIP_vector_typeIfLj2EEffffjfiS5_IjLj3EEiiiiiiiiiiiliiliiiiil,comdat
	.globl	_ZL15flash_attn_tileILi80ELi80ELi1ELi4ELb1EEvPKcS1_S1_S1_S1_PKiPfP15HIP_vector_typeIfLj2EEffffjfiS5_IjLj3EEiiiiiiiiiiiliiliiiiil ; -- Begin function _ZL15flash_attn_tileILi80ELi80ELi1ELi4ELb1EEvPKcS1_S1_S1_S1_PKiPfP15HIP_vector_typeIfLj2EEffffjfiS5_IjLj3EEiiiiiiiiiiiliiliiiiil
	.p2align	8
	.type	_ZL15flash_attn_tileILi80ELi80ELi1ELi4ELb1EEvPKcS1_S1_S1_S1_PKiPfP15HIP_vector_typeIfLj2EEffffjfiS5_IjLj3EEiiiiiiiiiiiliiliiiiil,@function
_ZL15flash_attn_tileILi80ELi80ELi1ELi4ELb1EEvPKcS1_S1_S1_S1_PKiPfP15HIP_vector_typeIfLj2EEffffjfiS5_IjLj3EEiiiiiiiiiiiliiliiiiil: ; @_ZL15flash_attn_tileILi80ELi80ELi1ELi4ELb1EEvPKcS1_S1_S1_S1_PKiPfP15HIP_vector_typeIfLj2EEffffjfiS5_IjLj3EEiiiiiiiiiiiliiliiiiil
; %bb.0:
	s_add_u32 s8, s0, 0xd0
	s_addc_u32 s9, s1, 0
	s_mov_b32 s32, 0
	s_getpc_b64 s[0:1]
	s_add_u32 s0, s0, _ZL14no_device_codePKciS0_iS0_@rel32@lo+4
	s_addc_u32 s1, s1, _ZL14no_device_codePKciS0_iS0_@rel32@hi+12
	s_delay_alu instid0(SALU_CYCLE_1)
	s_swappc_b64 s[30:31], s[0:1]
	.section	.rodata,"a",@progbits
	.p2align	6, 0x0
	.amdhsa_kernel _ZL15flash_attn_tileILi80ELi80ELi1ELi4ELb1EEvPKcS1_S1_S1_S1_PKiPfP15HIP_vector_typeIfLj2EEffffjfiS5_IjLj3EEiiiiiiiiiiiliiliiiiil
		.amdhsa_group_segment_fixed_size 0
		.amdhsa_private_segment_fixed_size 16
		.amdhsa_kernarg_size 464
		.amdhsa_user_sgpr_count 15
		.amdhsa_user_sgpr_dispatch_ptr 0
		.amdhsa_user_sgpr_queue_ptr 0
		.amdhsa_user_sgpr_kernarg_segment_ptr 1
		.amdhsa_user_sgpr_dispatch_id 0
		.amdhsa_user_sgpr_private_segment_size 0
		.amdhsa_wavefront_size32 1
		.amdhsa_uses_dynamic_stack 0
		.amdhsa_enable_private_segment 1
		.amdhsa_system_sgpr_workgroup_id_x 1
		.amdhsa_system_sgpr_workgroup_id_y 0
		.amdhsa_system_sgpr_workgroup_id_z 0
		.amdhsa_system_sgpr_workgroup_info 0
		.amdhsa_system_vgpr_workitem_id 0
		.amdhsa_next_free_vgpr 37
		.amdhsa_next_free_sgpr 34
		.amdhsa_reserve_vcc 1
		.amdhsa_float_round_mode_32 0
		.amdhsa_float_round_mode_16_64 0
		.amdhsa_float_denorm_mode_32 3
		.amdhsa_float_denorm_mode_16_64 3
		.amdhsa_dx10_clamp 1
		.amdhsa_ieee_mode 1
		.amdhsa_fp16_overflow 0
		.amdhsa_workgroup_processor_mode 1
		.amdhsa_memory_ordered 1
		.amdhsa_forward_progress 0
		.amdhsa_shared_vgpr_count 0
		.amdhsa_exception_fp_ieee_invalid_op 0
		.amdhsa_exception_fp_denorm_src 0
		.amdhsa_exception_fp_ieee_div_zero 0
		.amdhsa_exception_fp_ieee_overflow 0
		.amdhsa_exception_fp_ieee_underflow 0
		.amdhsa_exception_fp_ieee_inexact 0
		.amdhsa_exception_int_div_zero 0
	.end_amdhsa_kernel
	.section	.text._ZL15flash_attn_tileILi80ELi80ELi1ELi4ELb1EEvPKcS1_S1_S1_S1_PKiPfP15HIP_vector_typeIfLj2EEffffjfiS5_IjLj3EEiiiiiiiiiiiliiliiiiil,"axG",@progbits,_ZL15flash_attn_tileILi80ELi80ELi1ELi4ELb1EEvPKcS1_S1_S1_S1_PKiPfP15HIP_vector_typeIfLj2EEffffjfiS5_IjLj3EEiiiiiiiiiiiliiliiiiil,comdat
.Lfunc_end82:
	.size	_ZL15flash_attn_tileILi80ELi80ELi1ELi4ELb1EEvPKcS1_S1_S1_S1_PKiPfP15HIP_vector_typeIfLj2EEffffjfiS5_IjLj3EEiiiiiiiiiiiliiliiiiil, .Lfunc_end82-_ZL15flash_attn_tileILi80ELi80ELi1ELi4ELb1EEvPKcS1_S1_S1_S1_PKiPfP15HIP_vector_typeIfLj2EEffffjfiS5_IjLj3EEiiiiiiiiiiiliiliiiiil
                                        ; -- End function
	.section	.AMDGPU.csdata,"",@progbits
; Kernel info:
; codeLenInByte = 44
; NumSgprs: 36
; NumVgprs: 37
; ScratchSize: 16
; MemoryBound: 0
; FloatMode: 240
; IeeeMode: 1
; LDSByteSize: 0 bytes/workgroup (compile time only)
; SGPRBlocks: 4
; VGPRBlocks: 4
; NumSGPRsForWavesPerEU: 36
; NumVGPRsForWavesPerEU: 37
; Occupancy: 16
; WaveLimiterHint : 1
; COMPUTE_PGM_RSRC2:SCRATCH_EN: 1
; COMPUTE_PGM_RSRC2:USER_SGPR: 15
; COMPUTE_PGM_RSRC2:TRAP_HANDLER: 0
; COMPUTE_PGM_RSRC2:TGID_X_EN: 1
; COMPUTE_PGM_RSRC2:TGID_Y_EN: 0
; COMPUTE_PGM_RSRC2:TGID_Z_EN: 0
; COMPUTE_PGM_RSRC2:TIDIG_COMP_CNT: 0
	.section	.text._ZL15flash_attn_tileILi80ELi80ELi32ELi2ELb1EEvPKcS1_S1_S1_S1_PKiPfP15HIP_vector_typeIfLj2EEffffjfiS5_IjLj3EEiiiiiiiiiiiliiliiiiil,"axG",@progbits,_ZL15flash_attn_tileILi80ELi80ELi32ELi2ELb1EEvPKcS1_S1_S1_S1_PKiPfP15HIP_vector_typeIfLj2EEffffjfiS5_IjLj3EEiiiiiiiiiiiliiliiiiil,comdat
	.globl	_ZL15flash_attn_tileILi80ELi80ELi32ELi2ELb1EEvPKcS1_S1_S1_S1_PKiPfP15HIP_vector_typeIfLj2EEffffjfiS5_IjLj3EEiiiiiiiiiiiliiliiiiil ; -- Begin function _ZL15flash_attn_tileILi80ELi80ELi32ELi2ELb1EEvPKcS1_S1_S1_S1_PKiPfP15HIP_vector_typeIfLj2EEffffjfiS5_IjLj3EEiiiiiiiiiiiliiliiiiil
	.p2align	8
	.type	_ZL15flash_attn_tileILi80ELi80ELi32ELi2ELb1EEvPKcS1_S1_S1_S1_PKiPfP15HIP_vector_typeIfLj2EEffffjfiS5_IjLj3EEiiiiiiiiiiiliiliiiiil,@function
_ZL15flash_attn_tileILi80ELi80ELi32ELi2ELb1EEvPKcS1_S1_S1_S1_PKiPfP15HIP_vector_typeIfLj2EEffffjfiS5_IjLj3EEiiiiiiiiiiiliiliiiiil: ; @_ZL15flash_attn_tileILi80ELi80ELi32ELi2ELb1EEvPKcS1_S1_S1_S1_PKiPfP15HIP_vector_typeIfLj2EEffffjfiS5_IjLj3EEiiiiiiiiiiiliiliiiiil
; %bb.0:
	s_add_u32 s8, s0, 0xd0
	s_addc_u32 s9, s1, 0
	s_mov_b32 s32, 0
	s_getpc_b64 s[0:1]
	s_add_u32 s0, s0, _ZL14no_device_codePKciS0_iS0_@rel32@lo+4
	s_addc_u32 s1, s1, _ZL14no_device_codePKciS0_iS0_@rel32@hi+12
	s_delay_alu instid0(SALU_CYCLE_1)
	s_swappc_b64 s[30:31], s[0:1]
	.section	.rodata,"a",@progbits
	.p2align	6, 0x0
	.amdhsa_kernel _ZL15flash_attn_tileILi80ELi80ELi32ELi2ELb1EEvPKcS1_S1_S1_S1_PKiPfP15HIP_vector_typeIfLj2EEffffjfiS5_IjLj3EEiiiiiiiiiiiliiliiiiil
		.amdhsa_group_segment_fixed_size 0
		.amdhsa_private_segment_fixed_size 16
		.amdhsa_kernarg_size 464
		.amdhsa_user_sgpr_count 15
		.amdhsa_user_sgpr_dispatch_ptr 0
		.amdhsa_user_sgpr_queue_ptr 0
		.amdhsa_user_sgpr_kernarg_segment_ptr 1
		.amdhsa_user_sgpr_dispatch_id 0
		.amdhsa_user_sgpr_private_segment_size 0
		.amdhsa_wavefront_size32 1
		.amdhsa_uses_dynamic_stack 0
		.amdhsa_enable_private_segment 1
		.amdhsa_system_sgpr_workgroup_id_x 1
		.amdhsa_system_sgpr_workgroup_id_y 0
		.amdhsa_system_sgpr_workgroup_id_z 0
		.amdhsa_system_sgpr_workgroup_info 0
		.amdhsa_system_vgpr_workitem_id 0
		.amdhsa_next_free_vgpr 37
		.amdhsa_next_free_sgpr 34
		.amdhsa_reserve_vcc 1
		.amdhsa_float_round_mode_32 0
		.amdhsa_float_round_mode_16_64 0
		.amdhsa_float_denorm_mode_32 3
		.amdhsa_float_denorm_mode_16_64 3
		.amdhsa_dx10_clamp 1
		.amdhsa_ieee_mode 1
		.amdhsa_fp16_overflow 0
		.amdhsa_workgroup_processor_mode 1
		.amdhsa_memory_ordered 1
		.amdhsa_forward_progress 0
		.amdhsa_shared_vgpr_count 0
		.amdhsa_exception_fp_ieee_invalid_op 0
		.amdhsa_exception_fp_denorm_src 0
		.amdhsa_exception_fp_ieee_div_zero 0
		.amdhsa_exception_fp_ieee_overflow 0
		.amdhsa_exception_fp_ieee_underflow 0
		.amdhsa_exception_fp_ieee_inexact 0
		.amdhsa_exception_int_div_zero 0
	.end_amdhsa_kernel
	.section	.text._ZL15flash_attn_tileILi80ELi80ELi32ELi2ELb1EEvPKcS1_S1_S1_S1_PKiPfP15HIP_vector_typeIfLj2EEffffjfiS5_IjLj3EEiiiiiiiiiiiliiliiiiil,"axG",@progbits,_ZL15flash_attn_tileILi80ELi80ELi32ELi2ELb1EEvPKcS1_S1_S1_S1_PKiPfP15HIP_vector_typeIfLj2EEffffjfiS5_IjLj3EEiiiiiiiiiiiliiliiiiil,comdat
.Lfunc_end83:
	.size	_ZL15flash_attn_tileILi80ELi80ELi32ELi2ELb1EEvPKcS1_S1_S1_S1_PKiPfP15HIP_vector_typeIfLj2EEffffjfiS5_IjLj3EEiiiiiiiiiiiliiliiiiil, .Lfunc_end83-_ZL15flash_attn_tileILi80ELi80ELi32ELi2ELb1EEvPKcS1_S1_S1_S1_PKiPfP15HIP_vector_typeIfLj2EEffffjfiS5_IjLj3EEiiiiiiiiiiiliiliiiiil
                                        ; -- End function
	.section	.AMDGPU.csdata,"",@progbits
; Kernel info:
; codeLenInByte = 44
; NumSgprs: 36
; NumVgprs: 37
; ScratchSize: 16
; MemoryBound: 0
; FloatMode: 240
; IeeeMode: 1
; LDSByteSize: 0 bytes/workgroup (compile time only)
; SGPRBlocks: 4
; VGPRBlocks: 4
; NumSGPRsForWavesPerEU: 36
; NumVGPRsForWavesPerEU: 37
; Occupancy: 16
; WaveLimiterHint : 1
; COMPUTE_PGM_RSRC2:SCRATCH_EN: 1
; COMPUTE_PGM_RSRC2:USER_SGPR: 15
; COMPUTE_PGM_RSRC2:TRAP_HANDLER: 0
; COMPUTE_PGM_RSRC2:TGID_X_EN: 1
; COMPUTE_PGM_RSRC2:TGID_Y_EN: 0
; COMPUTE_PGM_RSRC2:TGID_Z_EN: 0
; COMPUTE_PGM_RSRC2:TIDIG_COMP_CNT: 0
	.section	.text._ZL15flash_attn_tileILi80ELi80ELi16ELi2ELb1EEvPKcS1_S1_S1_S1_PKiPfP15HIP_vector_typeIfLj2EEffffjfiS5_IjLj3EEiiiiiiiiiiiliiliiiiil,"axG",@progbits,_ZL15flash_attn_tileILi80ELi80ELi16ELi2ELb1EEvPKcS1_S1_S1_S1_PKiPfP15HIP_vector_typeIfLj2EEffffjfiS5_IjLj3EEiiiiiiiiiiiliiliiiiil,comdat
	.globl	_ZL15flash_attn_tileILi80ELi80ELi16ELi2ELb1EEvPKcS1_S1_S1_S1_PKiPfP15HIP_vector_typeIfLj2EEffffjfiS5_IjLj3EEiiiiiiiiiiiliiliiiiil ; -- Begin function _ZL15flash_attn_tileILi80ELi80ELi16ELi2ELb1EEvPKcS1_S1_S1_S1_PKiPfP15HIP_vector_typeIfLj2EEffffjfiS5_IjLj3EEiiiiiiiiiiiliiliiiiil
	.p2align	8
	.type	_ZL15flash_attn_tileILi80ELi80ELi16ELi2ELb1EEvPKcS1_S1_S1_S1_PKiPfP15HIP_vector_typeIfLj2EEffffjfiS5_IjLj3EEiiiiiiiiiiiliiliiiiil,@function
_ZL15flash_attn_tileILi80ELi80ELi16ELi2ELb1EEvPKcS1_S1_S1_S1_PKiPfP15HIP_vector_typeIfLj2EEffffjfiS5_IjLj3EEiiiiiiiiiiiliiliiiiil: ; @_ZL15flash_attn_tileILi80ELi80ELi16ELi2ELb1EEvPKcS1_S1_S1_S1_PKiPfP15HIP_vector_typeIfLj2EEffffjfiS5_IjLj3EEiiiiiiiiiiiliiliiiiil
; %bb.0:
	s_add_u32 s8, s0, 0xd0
	s_addc_u32 s9, s1, 0
	s_mov_b32 s32, 0
	s_getpc_b64 s[0:1]
	s_add_u32 s0, s0, _ZL14no_device_codePKciS0_iS0_@rel32@lo+4
	s_addc_u32 s1, s1, _ZL14no_device_codePKciS0_iS0_@rel32@hi+12
	s_delay_alu instid0(SALU_CYCLE_1)
	s_swappc_b64 s[30:31], s[0:1]
	.section	.rodata,"a",@progbits
	.p2align	6, 0x0
	.amdhsa_kernel _ZL15flash_attn_tileILi80ELi80ELi16ELi2ELb1EEvPKcS1_S1_S1_S1_PKiPfP15HIP_vector_typeIfLj2EEffffjfiS5_IjLj3EEiiiiiiiiiiiliiliiiiil
		.amdhsa_group_segment_fixed_size 0
		.amdhsa_private_segment_fixed_size 16
		.amdhsa_kernarg_size 464
		.amdhsa_user_sgpr_count 15
		.amdhsa_user_sgpr_dispatch_ptr 0
		.amdhsa_user_sgpr_queue_ptr 0
		.amdhsa_user_sgpr_kernarg_segment_ptr 1
		.amdhsa_user_sgpr_dispatch_id 0
		.amdhsa_user_sgpr_private_segment_size 0
		.amdhsa_wavefront_size32 1
		.amdhsa_uses_dynamic_stack 0
		.amdhsa_enable_private_segment 1
		.amdhsa_system_sgpr_workgroup_id_x 1
		.amdhsa_system_sgpr_workgroup_id_y 0
		.amdhsa_system_sgpr_workgroup_id_z 0
		.amdhsa_system_sgpr_workgroup_info 0
		.amdhsa_system_vgpr_workitem_id 0
		.amdhsa_next_free_vgpr 37
		.amdhsa_next_free_sgpr 34
		.amdhsa_reserve_vcc 1
		.amdhsa_float_round_mode_32 0
		.amdhsa_float_round_mode_16_64 0
		.amdhsa_float_denorm_mode_32 3
		.amdhsa_float_denorm_mode_16_64 3
		.amdhsa_dx10_clamp 1
		.amdhsa_ieee_mode 1
		.amdhsa_fp16_overflow 0
		.amdhsa_workgroup_processor_mode 1
		.amdhsa_memory_ordered 1
		.amdhsa_forward_progress 0
		.amdhsa_shared_vgpr_count 0
		.amdhsa_exception_fp_ieee_invalid_op 0
		.amdhsa_exception_fp_denorm_src 0
		.amdhsa_exception_fp_ieee_div_zero 0
		.amdhsa_exception_fp_ieee_overflow 0
		.amdhsa_exception_fp_ieee_underflow 0
		.amdhsa_exception_fp_ieee_inexact 0
		.amdhsa_exception_int_div_zero 0
	.end_amdhsa_kernel
	.section	.text._ZL15flash_attn_tileILi80ELi80ELi16ELi2ELb1EEvPKcS1_S1_S1_S1_PKiPfP15HIP_vector_typeIfLj2EEffffjfiS5_IjLj3EEiiiiiiiiiiiliiliiiiil,"axG",@progbits,_ZL15flash_attn_tileILi80ELi80ELi16ELi2ELb1EEvPKcS1_S1_S1_S1_PKiPfP15HIP_vector_typeIfLj2EEffffjfiS5_IjLj3EEiiiiiiiiiiiliiliiiiil,comdat
.Lfunc_end84:
	.size	_ZL15flash_attn_tileILi80ELi80ELi16ELi2ELb1EEvPKcS1_S1_S1_S1_PKiPfP15HIP_vector_typeIfLj2EEffffjfiS5_IjLj3EEiiiiiiiiiiiliiliiiiil, .Lfunc_end84-_ZL15flash_attn_tileILi80ELi80ELi16ELi2ELb1EEvPKcS1_S1_S1_S1_PKiPfP15HIP_vector_typeIfLj2EEffffjfiS5_IjLj3EEiiiiiiiiiiiliiliiiiil
                                        ; -- End function
	.section	.AMDGPU.csdata,"",@progbits
; Kernel info:
; codeLenInByte = 44
; NumSgprs: 36
; NumVgprs: 37
; ScratchSize: 16
; MemoryBound: 0
; FloatMode: 240
; IeeeMode: 1
; LDSByteSize: 0 bytes/workgroup (compile time only)
; SGPRBlocks: 4
; VGPRBlocks: 4
; NumSGPRsForWavesPerEU: 36
; NumVGPRsForWavesPerEU: 37
; Occupancy: 16
; WaveLimiterHint : 1
; COMPUTE_PGM_RSRC2:SCRATCH_EN: 1
; COMPUTE_PGM_RSRC2:USER_SGPR: 15
; COMPUTE_PGM_RSRC2:TRAP_HANDLER: 0
; COMPUTE_PGM_RSRC2:TGID_X_EN: 1
; COMPUTE_PGM_RSRC2:TGID_Y_EN: 0
; COMPUTE_PGM_RSRC2:TGID_Z_EN: 0
; COMPUTE_PGM_RSRC2:TIDIG_COMP_CNT: 0
	.section	.text._ZL15flash_attn_tileILi80ELi80ELi8ELi2ELb1EEvPKcS1_S1_S1_S1_PKiPfP15HIP_vector_typeIfLj2EEffffjfiS5_IjLj3EEiiiiiiiiiiiliiliiiiil,"axG",@progbits,_ZL15flash_attn_tileILi80ELi80ELi8ELi2ELb1EEvPKcS1_S1_S1_S1_PKiPfP15HIP_vector_typeIfLj2EEffffjfiS5_IjLj3EEiiiiiiiiiiiliiliiiiil,comdat
	.globl	_ZL15flash_attn_tileILi80ELi80ELi8ELi2ELb1EEvPKcS1_S1_S1_S1_PKiPfP15HIP_vector_typeIfLj2EEffffjfiS5_IjLj3EEiiiiiiiiiiiliiliiiiil ; -- Begin function _ZL15flash_attn_tileILi80ELi80ELi8ELi2ELb1EEvPKcS1_S1_S1_S1_PKiPfP15HIP_vector_typeIfLj2EEffffjfiS5_IjLj3EEiiiiiiiiiiiliiliiiiil
	.p2align	8
	.type	_ZL15flash_attn_tileILi80ELi80ELi8ELi2ELb1EEvPKcS1_S1_S1_S1_PKiPfP15HIP_vector_typeIfLj2EEffffjfiS5_IjLj3EEiiiiiiiiiiiliiliiiiil,@function
_ZL15flash_attn_tileILi80ELi80ELi8ELi2ELb1EEvPKcS1_S1_S1_S1_PKiPfP15HIP_vector_typeIfLj2EEffffjfiS5_IjLj3EEiiiiiiiiiiiliiliiiiil: ; @_ZL15flash_attn_tileILi80ELi80ELi8ELi2ELb1EEvPKcS1_S1_S1_S1_PKiPfP15HIP_vector_typeIfLj2EEffffjfiS5_IjLj3EEiiiiiiiiiiiliiliiiiil
; %bb.0:
	s_add_u32 s8, s0, 0xd0
	s_addc_u32 s9, s1, 0
	s_mov_b32 s32, 0
	s_getpc_b64 s[0:1]
	s_add_u32 s0, s0, _ZL14no_device_codePKciS0_iS0_@rel32@lo+4
	s_addc_u32 s1, s1, _ZL14no_device_codePKciS0_iS0_@rel32@hi+12
	s_delay_alu instid0(SALU_CYCLE_1)
	s_swappc_b64 s[30:31], s[0:1]
	.section	.rodata,"a",@progbits
	.p2align	6, 0x0
	.amdhsa_kernel _ZL15flash_attn_tileILi80ELi80ELi8ELi2ELb1EEvPKcS1_S1_S1_S1_PKiPfP15HIP_vector_typeIfLj2EEffffjfiS5_IjLj3EEiiiiiiiiiiiliiliiiiil
		.amdhsa_group_segment_fixed_size 0
		.amdhsa_private_segment_fixed_size 16
		.amdhsa_kernarg_size 464
		.amdhsa_user_sgpr_count 15
		.amdhsa_user_sgpr_dispatch_ptr 0
		.amdhsa_user_sgpr_queue_ptr 0
		.amdhsa_user_sgpr_kernarg_segment_ptr 1
		.amdhsa_user_sgpr_dispatch_id 0
		.amdhsa_user_sgpr_private_segment_size 0
		.amdhsa_wavefront_size32 1
		.amdhsa_uses_dynamic_stack 0
		.amdhsa_enable_private_segment 1
		.amdhsa_system_sgpr_workgroup_id_x 1
		.amdhsa_system_sgpr_workgroup_id_y 0
		.amdhsa_system_sgpr_workgroup_id_z 0
		.amdhsa_system_sgpr_workgroup_info 0
		.amdhsa_system_vgpr_workitem_id 0
		.amdhsa_next_free_vgpr 37
		.amdhsa_next_free_sgpr 34
		.amdhsa_reserve_vcc 1
		.amdhsa_float_round_mode_32 0
		.amdhsa_float_round_mode_16_64 0
		.amdhsa_float_denorm_mode_32 3
		.amdhsa_float_denorm_mode_16_64 3
		.amdhsa_dx10_clamp 1
		.amdhsa_ieee_mode 1
		.amdhsa_fp16_overflow 0
		.amdhsa_workgroup_processor_mode 1
		.amdhsa_memory_ordered 1
		.amdhsa_forward_progress 0
		.amdhsa_shared_vgpr_count 0
		.amdhsa_exception_fp_ieee_invalid_op 0
		.amdhsa_exception_fp_denorm_src 0
		.amdhsa_exception_fp_ieee_div_zero 0
		.amdhsa_exception_fp_ieee_overflow 0
		.amdhsa_exception_fp_ieee_underflow 0
		.amdhsa_exception_fp_ieee_inexact 0
		.amdhsa_exception_int_div_zero 0
	.end_amdhsa_kernel
	.section	.text._ZL15flash_attn_tileILi80ELi80ELi8ELi2ELb1EEvPKcS1_S1_S1_S1_PKiPfP15HIP_vector_typeIfLj2EEffffjfiS5_IjLj3EEiiiiiiiiiiiliiliiiiil,"axG",@progbits,_ZL15flash_attn_tileILi80ELi80ELi8ELi2ELb1EEvPKcS1_S1_S1_S1_PKiPfP15HIP_vector_typeIfLj2EEffffjfiS5_IjLj3EEiiiiiiiiiiiliiliiiiil,comdat
.Lfunc_end85:
	.size	_ZL15flash_attn_tileILi80ELi80ELi8ELi2ELb1EEvPKcS1_S1_S1_S1_PKiPfP15HIP_vector_typeIfLj2EEffffjfiS5_IjLj3EEiiiiiiiiiiiliiliiiiil, .Lfunc_end85-_ZL15flash_attn_tileILi80ELi80ELi8ELi2ELb1EEvPKcS1_S1_S1_S1_PKiPfP15HIP_vector_typeIfLj2EEffffjfiS5_IjLj3EEiiiiiiiiiiiliiliiiiil
                                        ; -- End function
	.section	.AMDGPU.csdata,"",@progbits
; Kernel info:
; codeLenInByte = 44
; NumSgprs: 36
; NumVgprs: 37
; ScratchSize: 16
; MemoryBound: 0
; FloatMode: 240
; IeeeMode: 1
; LDSByteSize: 0 bytes/workgroup (compile time only)
; SGPRBlocks: 4
; VGPRBlocks: 4
; NumSGPRsForWavesPerEU: 36
; NumVGPRsForWavesPerEU: 37
; Occupancy: 16
; WaveLimiterHint : 1
; COMPUTE_PGM_RSRC2:SCRATCH_EN: 1
; COMPUTE_PGM_RSRC2:USER_SGPR: 15
; COMPUTE_PGM_RSRC2:TRAP_HANDLER: 0
; COMPUTE_PGM_RSRC2:TGID_X_EN: 1
; COMPUTE_PGM_RSRC2:TGID_Y_EN: 0
; COMPUTE_PGM_RSRC2:TGID_Z_EN: 0
; COMPUTE_PGM_RSRC2:TIDIG_COMP_CNT: 0
	.section	.text._ZL15flash_attn_tileILi80ELi80ELi4ELi2ELb1EEvPKcS1_S1_S1_S1_PKiPfP15HIP_vector_typeIfLj2EEffffjfiS5_IjLj3EEiiiiiiiiiiiliiliiiiil,"axG",@progbits,_ZL15flash_attn_tileILi80ELi80ELi4ELi2ELb1EEvPKcS1_S1_S1_S1_PKiPfP15HIP_vector_typeIfLj2EEffffjfiS5_IjLj3EEiiiiiiiiiiiliiliiiiil,comdat
	.globl	_ZL15flash_attn_tileILi80ELi80ELi4ELi2ELb1EEvPKcS1_S1_S1_S1_PKiPfP15HIP_vector_typeIfLj2EEffffjfiS5_IjLj3EEiiiiiiiiiiiliiliiiiil ; -- Begin function _ZL15flash_attn_tileILi80ELi80ELi4ELi2ELb1EEvPKcS1_S1_S1_S1_PKiPfP15HIP_vector_typeIfLj2EEffffjfiS5_IjLj3EEiiiiiiiiiiiliiliiiiil
	.p2align	8
	.type	_ZL15flash_attn_tileILi80ELi80ELi4ELi2ELb1EEvPKcS1_S1_S1_S1_PKiPfP15HIP_vector_typeIfLj2EEffffjfiS5_IjLj3EEiiiiiiiiiiiliiliiiiil,@function
_ZL15flash_attn_tileILi80ELi80ELi4ELi2ELb1EEvPKcS1_S1_S1_S1_PKiPfP15HIP_vector_typeIfLj2EEffffjfiS5_IjLj3EEiiiiiiiiiiiliiliiiiil: ; @_ZL15flash_attn_tileILi80ELi80ELi4ELi2ELb1EEvPKcS1_S1_S1_S1_PKiPfP15HIP_vector_typeIfLj2EEffffjfiS5_IjLj3EEiiiiiiiiiiiliiliiiiil
; %bb.0:
	s_add_u32 s8, s0, 0xd0
	s_addc_u32 s9, s1, 0
	s_mov_b32 s32, 0
	s_getpc_b64 s[0:1]
	s_add_u32 s0, s0, _ZL14no_device_codePKciS0_iS0_@rel32@lo+4
	s_addc_u32 s1, s1, _ZL14no_device_codePKciS0_iS0_@rel32@hi+12
	s_delay_alu instid0(SALU_CYCLE_1)
	s_swappc_b64 s[30:31], s[0:1]
	.section	.rodata,"a",@progbits
	.p2align	6, 0x0
	.amdhsa_kernel _ZL15flash_attn_tileILi80ELi80ELi4ELi2ELb1EEvPKcS1_S1_S1_S1_PKiPfP15HIP_vector_typeIfLj2EEffffjfiS5_IjLj3EEiiiiiiiiiiiliiliiiiil
		.amdhsa_group_segment_fixed_size 0
		.amdhsa_private_segment_fixed_size 16
		.amdhsa_kernarg_size 464
		.amdhsa_user_sgpr_count 15
		.amdhsa_user_sgpr_dispatch_ptr 0
		.amdhsa_user_sgpr_queue_ptr 0
		.amdhsa_user_sgpr_kernarg_segment_ptr 1
		.amdhsa_user_sgpr_dispatch_id 0
		.amdhsa_user_sgpr_private_segment_size 0
		.amdhsa_wavefront_size32 1
		.amdhsa_uses_dynamic_stack 0
		.amdhsa_enable_private_segment 1
		.amdhsa_system_sgpr_workgroup_id_x 1
		.amdhsa_system_sgpr_workgroup_id_y 0
		.amdhsa_system_sgpr_workgroup_id_z 0
		.amdhsa_system_sgpr_workgroup_info 0
		.amdhsa_system_vgpr_workitem_id 0
		.amdhsa_next_free_vgpr 37
		.amdhsa_next_free_sgpr 34
		.amdhsa_reserve_vcc 1
		.amdhsa_float_round_mode_32 0
		.amdhsa_float_round_mode_16_64 0
		.amdhsa_float_denorm_mode_32 3
		.amdhsa_float_denorm_mode_16_64 3
		.amdhsa_dx10_clamp 1
		.amdhsa_ieee_mode 1
		.amdhsa_fp16_overflow 0
		.amdhsa_workgroup_processor_mode 1
		.amdhsa_memory_ordered 1
		.amdhsa_forward_progress 0
		.amdhsa_shared_vgpr_count 0
		.amdhsa_exception_fp_ieee_invalid_op 0
		.amdhsa_exception_fp_denorm_src 0
		.amdhsa_exception_fp_ieee_div_zero 0
		.amdhsa_exception_fp_ieee_overflow 0
		.amdhsa_exception_fp_ieee_underflow 0
		.amdhsa_exception_fp_ieee_inexact 0
		.amdhsa_exception_int_div_zero 0
	.end_amdhsa_kernel
	.section	.text._ZL15flash_attn_tileILi80ELi80ELi4ELi2ELb1EEvPKcS1_S1_S1_S1_PKiPfP15HIP_vector_typeIfLj2EEffffjfiS5_IjLj3EEiiiiiiiiiiiliiliiiiil,"axG",@progbits,_ZL15flash_attn_tileILi80ELi80ELi4ELi2ELb1EEvPKcS1_S1_S1_S1_PKiPfP15HIP_vector_typeIfLj2EEffffjfiS5_IjLj3EEiiiiiiiiiiiliiliiiiil,comdat
.Lfunc_end86:
	.size	_ZL15flash_attn_tileILi80ELi80ELi4ELi2ELb1EEvPKcS1_S1_S1_S1_PKiPfP15HIP_vector_typeIfLj2EEffffjfiS5_IjLj3EEiiiiiiiiiiiliiliiiiil, .Lfunc_end86-_ZL15flash_attn_tileILi80ELi80ELi4ELi2ELb1EEvPKcS1_S1_S1_S1_PKiPfP15HIP_vector_typeIfLj2EEffffjfiS5_IjLj3EEiiiiiiiiiiiliiliiiiil
                                        ; -- End function
	.section	.AMDGPU.csdata,"",@progbits
; Kernel info:
; codeLenInByte = 44
; NumSgprs: 36
; NumVgprs: 37
; ScratchSize: 16
; MemoryBound: 0
; FloatMode: 240
; IeeeMode: 1
; LDSByteSize: 0 bytes/workgroup (compile time only)
; SGPRBlocks: 4
; VGPRBlocks: 4
; NumSGPRsForWavesPerEU: 36
; NumVGPRsForWavesPerEU: 37
; Occupancy: 16
; WaveLimiterHint : 1
; COMPUTE_PGM_RSRC2:SCRATCH_EN: 1
; COMPUTE_PGM_RSRC2:USER_SGPR: 15
; COMPUTE_PGM_RSRC2:TRAP_HANDLER: 0
; COMPUTE_PGM_RSRC2:TGID_X_EN: 1
; COMPUTE_PGM_RSRC2:TGID_Y_EN: 0
; COMPUTE_PGM_RSRC2:TGID_Z_EN: 0
; COMPUTE_PGM_RSRC2:TIDIG_COMP_CNT: 0
	.section	.text._ZL15flash_attn_tileILi80ELi80ELi2ELi2ELb1EEvPKcS1_S1_S1_S1_PKiPfP15HIP_vector_typeIfLj2EEffffjfiS5_IjLj3EEiiiiiiiiiiiliiliiiiil,"axG",@progbits,_ZL15flash_attn_tileILi80ELi80ELi2ELi2ELb1EEvPKcS1_S1_S1_S1_PKiPfP15HIP_vector_typeIfLj2EEffffjfiS5_IjLj3EEiiiiiiiiiiiliiliiiiil,comdat
	.globl	_ZL15flash_attn_tileILi80ELi80ELi2ELi2ELb1EEvPKcS1_S1_S1_S1_PKiPfP15HIP_vector_typeIfLj2EEffffjfiS5_IjLj3EEiiiiiiiiiiiliiliiiiil ; -- Begin function _ZL15flash_attn_tileILi80ELi80ELi2ELi2ELb1EEvPKcS1_S1_S1_S1_PKiPfP15HIP_vector_typeIfLj2EEffffjfiS5_IjLj3EEiiiiiiiiiiiliiliiiiil
	.p2align	8
	.type	_ZL15flash_attn_tileILi80ELi80ELi2ELi2ELb1EEvPKcS1_S1_S1_S1_PKiPfP15HIP_vector_typeIfLj2EEffffjfiS5_IjLj3EEiiiiiiiiiiiliiliiiiil,@function
_ZL15flash_attn_tileILi80ELi80ELi2ELi2ELb1EEvPKcS1_S1_S1_S1_PKiPfP15HIP_vector_typeIfLj2EEffffjfiS5_IjLj3EEiiiiiiiiiiiliiliiiiil: ; @_ZL15flash_attn_tileILi80ELi80ELi2ELi2ELb1EEvPKcS1_S1_S1_S1_PKiPfP15HIP_vector_typeIfLj2EEffffjfiS5_IjLj3EEiiiiiiiiiiiliiliiiiil
; %bb.0:
	s_add_u32 s8, s0, 0xd0
	s_addc_u32 s9, s1, 0
	s_mov_b32 s32, 0
	s_getpc_b64 s[0:1]
	s_add_u32 s0, s0, _ZL14no_device_codePKciS0_iS0_@rel32@lo+4
	s_addc_u32 s1, s1, _ZL14no_device_codePKciS0_iS0_@rel32@hi+12
	s_delay_alu instid0(SALU_CYCLE_1)
	s_swappc_b64 s[30:31], s[0:1]
	.section	.rodata,"a",@progbits
	.p2align	6, 0x0
	.amdhsa_kernel _ZL15flash_attn_tileILi80ELi80ELi2ELi2ELb1EEvPKcS1_S1_S1_S1_PKiPfP15HIP_vector_typeIfLj2EEffffjfiS5_IjLj3EEiiiiiiiiiiiliiliiiiil
		.amdhsa_group_segment_fixed_size 0
		.amdhsa_private_segment_fixed_size 16
		.amdhsa_kernarg_size 464
		.amdhsa_user_sgpr_count 15
		.amdhsa_user_sgpr_dispatch_ptr 0
		.amdhsa_user_sgpr_queue_ptr 0
		.amdhsa_user_sgpr_kernarg_segment_ptr 1
		.amdhsa_user_sgpr_dispatch_id 0
		.amdhsa_user_sgpr_private_segment_size 0
		.amdhsa_wavefront_size32 1
		.amdhsa_uses_dynamic_stack 0
		.amdhsa_enable_private_segment 1
		.amdhsa_system_sgpr_workgroup_id_x 1
		.amdhsa_system_sgpr_workgroup_id_y 0
		.amdhsa_system_sgpr_workgroup_id_z 0
		.amdhsa_system_sgpr_workgroup_info 0
		.amdhsa_system_vgpr_workitem_id 0
		.amdhsa_next_free_vgpr 37
		.amdhsa_next_free_sgpr 34
		.amdhsa_reserve_vcc 1
		.amdhsa_float_round_mode_32 0
		.amdhsa_float_round_mode_16_64 0
		.amdhsa_float_denorm_mode_32 3
		.amdhsa_float_denorm_mode_16_64 3
		.amdhsa_dx10_clamp 1
		.amdhsa_ieee_mode 1
		.amdhsa_fp16_overflow 0
		.amdhsa_workgroup_processor_mode 1
		.amdhsa_memory_ordered 1
		.amdhsa_forward_progress 0
		.amdhsa_shared_vgpr_count 0
		.amdhsa_exception_fp_ieee_invalid_op 0
		.amdhsa_exception_fp_denorm_src 0
		.amdhsa_exception_fp_ieee_div_zero 0
		.amdhsa_exception_fp_ieee_overflow 0
		.amdhsa_exception_fp_ieee_underflow 0
		.amdhsa_exception_fp_ieee_inexact 0
		.amdhsa_exception_int_div_zero 0
	.end_amdhsa_kernel
	.section	.text._ZL15flash_attn_tileILi80ELi80ELi2ELi2ELb1EEvPKcS1_S1_S1_S1_PKiPfP15HIP_vector_typeIfLj2EEffffjfiS5_IjLj3EEiiiiiiiiiiiliiliiiiil,"axG",@progbits,_ZL15flash_attn_tileILi80ELi80ELi2ELi2ELb1EEvPKcS1_S1_S1_S1_PKiPfP15HIP_vector_typeIfLj2EEffffjfiS5_IjLj3EEiiiiiiiiiiiliiliiiiil,comdat
.Lfunc_end87:
	.size	_ZL15flash_attn_tileILi80ELi80ELi2ELi2ELb1EEvPKcS1_S1_S1_S1_PKiPfP15HIP_vector_typeIfLj2EEffffjfiS5_IjLj3EEiiiiiiiiiiiliiliiiiil, .Lfunc_end87-_ZL15flash_attn_tileILi80ELi80ELi2ELi2ELb1EEvPKcS1_S1_S1_S1_PKiPfP15HIP_vector_typeIfLj2EEffffjfiS5_IjLj3EEiiiiiiiiiiiliiliiiiil
                                        ; -- End function
	.section	.AMDGPU.csdata,"",@progbits
; Kernel info:
; codeLenInByte = 44
; NumSgprs: 36
; NumVgprs: 37
; ScratchSize: 16
; MemoryBound: 0
; FloatMode: 240
; IeeeMode: 1
; LDSByteSize: 0 bytes/workgroup (compile time only)
; SGPRBlocks: 4
; VGPRBlocks: 4
; NumSGPRsForWavesPerEU: 36
; NumVGPRsForWavesPerEU: 37
; Occupancy: 16
; WaveLimiterHint : 1
; COMPUTE_PGM_RSRC2:SCRATCH_EN: 1
; COMPUTE_PGM_RSRC2:USER_SGPR: 15
; COMPUTE_PGM_RSRC2:TRAP_HANDLER: 0
; COMPUTE_PGM_RSRC2:TGID_X_EN: 1
; COMPUTE_PGM_RSRC2:TGID_Y_EN: 0
; COMPUTE_PGM_RSRC2:TGID_Z_EN: 0
; COMPUTE_PGM_RSRC2:TIDIG_COMP_CNT: 0
	.section	.text._ZL15flash_attn_tileILi80ELi80ELi1ELi2ELb1EEvPKcS1_S1_S1_S1_PKiPfP15HIP_vector_typeIfLj2EEffffjfiS5_IjLj3EEiiiiiiiiiiiliiliiiiil,"axG",@progbits,_ZL15flash_attn_tileILi80ELi80ELi1ELi2ELb1EEvPKcS1_S1_S1_S1_PKiPfP15HIP_vector_typeIfLj2EEffffjfiS5_IjLj3EEiiiiiiiiiiiliiliiiiil,comdat
	.globl	_ZL15flash_attn_tileILi80ELi80ELi1ELi2ELb1EEvPKcS1_S1_S1_S1_PKiPfP15HIP_vector_typeIfLj2EEffffjfiS5_IjLj3EEiiiiiiiiiiiliiliiiiil ; -- Begin function _ZL15flash_attn_tileILi80ELi80ELi1ELi2ELb1EEvPKcS1_S1_S1_S1_PKiPfP15HIP_vector_typeIfLj2EEffffjfiS5_IjLj3EEiiiiiiiiiiiliiliiiiil
	.p2align	8
	.type	_ZL15flash_attn_tileILi80ELi80ELi1ELi2ELb1EEvPKcS1_S1_S1_S1_PKiPfP15HIP_vector_typeIfLj2EEffffjfiS5_IjLj3EEiiiiiiiiiiiliiliiiiil,@function
_ZL15flash_attn_tileILi80ELi80ELi1ELi2ELb1EEvPKcS1_S1_S1_S1_PKiPfP15HIP_vector_typeIfLj2EEffffjfiS5_IjLj3EEiiiiiiiiiiiliiliiiiil: ; @_ZL15flash_attn_tileILi80ELi80ELi1ELi2ELb1EEvPKcS1_S1_S1_S1_PKiPfP15HIP_vector_typeIfLj2EEffffjfiS5_IjLj3EEiiiiiiiiiiiliiliiiiil
; %bb.0:
	s_add_u32 s8, s0, 0xd0
	s_addc_u32 s9, s1, 0
	s_mov_b32 s32, 0
	s_getpc_b64 s[0:1]
	s_add_u32 s0, s0, _ZL14no_device_codePKciS0_iS0_@rel32@lo+4
	s_addc_u32 s1, s1, _ZL14no_device_codePKciS0_iS0_@rel32@hi+12
	s_delay_alu instid0(SALU_CYCLE_1)
	s_swappc_b64 s[30:31], s[0:1]
	.section	.rodata,"a",@progbits
	.p2align	6, 0x0
	.amdhsa_kernel _ZL15flash_attn_tileILi80ELi80ELi1ELi2ELb1EEvPKcS1_S1_S1_S1_PKiPfP15HIP_vector_typeIfLj2EEffffjfiS5_IjLj3EEiiiiiiiiiiiliiliiiiil
		.amdhsa_group_segment_fixed_size 0
		.amdhsa_private_segment_fixed_size 16
		.amdhsa_kernarg_size 464
		.amdhsa_user_sgpr_count 15
		.amdhsa_user_sgpr_dispatch_ptr 0
		.amdhsa_user_sgpr_queue_ptr 0
		.amdhsa_user_sgpr_kernarg_segment_ptr 1
		.amdhsa_user_sgpr_dispatch_id 0
		.amdhsa_user_sgpr_private_segment_size 0
		.amdhsa_wavefront_size32 1
		.amdhsa_uses_dynamic_stack 0
		.amdhsa_enable_private_segment 1
		.amdhsa_system_sgpr_workgroup_id_x 1
		.amdhsa_system_sgpr_workgroup_id_y 0
		.amdhsa_system_sgpr_workgroup_id_z 0
		.amdhsa_system_sgpr_workgroup_info 0
		.amdhsa_system_vgpr_workitem_id 0
		.amdhsa_next_free_vgpr 37
		.amdhsa_next_free_sgpr 34
		.amdhsa_reserve_vcc 1
		.amdhsa_float_round_mode_32 0
		.amdhsa_float_round_mode_16_64 0
		.amdhsa_float_denorm_mode_32 3
		.amdhsa_float_denorm_mode_16_64 3
		.amdhsa_dx10_clamp 1
		.amdhsa_ieee_mode 1
		.amdhsa_fp16_overflow 0
		.amdhsa_workgroup_processor_mode 1
		.amdhsa_memory_ordered 1
		.amdhsa_forward_progress 0
		.amdhsa_shared_vgpr_count 0
		.amdhsa_exception_fp_ieee_invalid_op 0
		.amdhsa_exception_fp_denorm_src 0
		.amdhsa_exception_fp_ieee_div_zero 0
		.amdhsa_exception_fp_ieee_overflow 0
		.amdhsa_exception_fp_ieee_underflow 0
		.amdhsa_exception_fp_ieee_inexact 0
		.amdhsa_exception_int_div_zero 0
	.end_amdhsa_kernel
	.section	.text._ZL15flash_attn_tileILi80ELi80ELi1ELi2ELb1EEvPKcS1_S1_S1_S1_PKiPfP15HIP_vector_typeIfLj2EEffffjfiS5_IjLj3EEiiiiiiiiiiiliiliiiiil,"axG",@progbits,_ZL15flash_attn_tileILi80ELi80ELi1ELi2ELb1EEvPKcS1_S1_S1_S1_PKiPfP15HIP_vector_typeIfLj2EEffffjfiS5_IjLj3EEiiiiiiiiiiiliiliiiiil,comdat
.Lfunc_end88:
	.size	_ZL15flash_attn_tileILi80ELi80ELi1ELi2ELb1EEvPKcS1_S1_S1_S1_PKiPfP15HIP_vector_typeIfLj2EEffffjfiS5_IjLj3EEiiiiiiiiiiiliiliiiiil, .Lfunc_end88-_ZL15flash_attn_tileILi80ELi80ELi1ELi2ELb1EEvPKcS1_S1_S1_S1_PKiPfP15HIP_vector_typeIfLj2EEffffjfiS5_IjLj3EEiiiiiiiiiiiliiliiiiil
                                        ; -- End function
	.section	.AMDGPU.csdata,"",@progbits
; Kernel info:
; codeLenInByte = 44
; NumSgprs: 36
; NumVgprs: 37
; ScratchSize: 16
; MemoryBound: 0
; FloatMode: 240
; IeeeMode: 1
; LDSByteSize: 0 bytes/workgroup (compile time only)
; SGPRBlocks: 4
; VGPRBlocks: 4
; NumSGPRsForWavesPerEU: 36
; NumVGPRsForWavesPerEU: 37
; Occupancy: 16
; WaveLimiterHint : 1
; COMPUTE_PGM_RSRC2:SCRATCH_EN: 1
; COMPUTE_PGM_RSRC2:USER_SGPR: 15
; COMPUTE_PGM_RSRC2:TRAP_HANDLER: 0
; COMPUTE_PGM_RSRC2:TGID_X_EN: 1
; COMPUTE_PGM_RSRC2:TGID_Y_EN: 0
; COMPUTE_PGM_RSRC2:TGID_Z_EN: 0
; COMPUTE_PGM_RSRC2:TIDIG_COMP_CNT: 0
	.section	.text._ZL15flash_attn_tileILi80ELi80ELi64ELi1ELb1EEvPKcS1_S1_S1_S1_PKiPfP15HIP_vector_typeIfLj2EEffffjfiS5_IjLj3EEiiiiiiiiiiiliiliiiiil,"axG",@progbits,_ZL15flash_attn_tileILi80ELi80ELi64ELi1ELb1EEvPKcS1_S1_S1_S1_PKiPfP15HIP_vector_typeIfLj2EEffffjfiS5_IjLj3EEiiiiiiiiiiiliiliiiiil,comdat
	.globl	_ZL15flash_attn_tileILi80ELi80ELi64ELi1ELb1EEvPKcS1_S1_S1_S1_PKiPfP15HIP_vector_typeIfLj2EEffffjfiS5_IjLj3EEiiiiiiiiiiiliiliiiiil ; -- Begin function _ZL15flash_attn_tileILi80ELi80ELi64ELi1ELb1EEvPKcS1_S1_S1_S1_PKiPfP15HIP_vector_typeIfLj2EEffffjfiS5_IjLj3EEiiiiiiiiiiiliiliiiiil
	.p2align	8
	.type	_ZL15flash_attn_tileILi80ELi80ELi64ELi1ELb1EEvPKcS1_S1_S1_S1_PKiPfP15HIP_vector_typeIfLj2EEffffjfiS5_IjLj3EEiiiiiiiiiiiliiliiiiil,@function
_ZL15flash_attn_tileILi80ELi80ELi64ELi1ELb1EEvPKcS1_S1_S1_S1_PKiPfP15HIP_vector_typeIfLj2EEffffjfiS5_IjLj3EEiiiiiiiiiiiliiliiiiil: ; @_ZL15flash_attn_tileILi80ELi80ELi64ELi1ELb1EEvPKcS1_S1_S1_S1_PKiPfP15HIP_vector_typeIfLj2EEffffjfiS5_IjLj3EEiiiiiiiiiiiliiliiiiil
; %bb.0:
	s_add_u32 s8, s0, 0xd0
	s_addc_u32 s9, s1, 0
	s_mov_b32 s32, 0
	s_getpc_b64 s[0:1]
	s_add_u32 s0, s0, _ZL14no_device_codePKciS0_iS0_@rel32@lo+4
	s_addc_u32 s1, s1, _ZL14no_device_codePKciS0_iS0_@rel32@hi+12
	s_delay_alu instid0(SALU_CYCLE_1)
	s_swappc_b64 s[30:31], s[0:1]
	.section	.rodata,"a",@progbits
	.p2align	6, 0x0
	.amdhsa_kernel _ZL15flash_attn_tileILi80ELi80ELi64ELi1ELb1EEvPKcS1_S1_S1_S1_PKiPfP15HIP_vector_typeIfLj2EEffffjfiS5_IjLj3EEiiiiiiiiiiiliiliiiiil
		.amdhsa_group_segment_fixed_size 0
		.amdhsa_private_segment_fixed_size 16
		.amdhsa_kernarg_size 464
		.amdhsa_user_sgpr_count 15
		.amdhsa_user_sgpr_dispatch_ptr 0
		.amdhsa_user_sgpr_queue_ptr 0
		.amdhsa_user_sgpr_kernarg_segment_ptr 1
		.amdhsa_user_sgpr_dispatch_id 0
		.amdhsa_user_sgpr_private_segment_size 0
		.amdhsa_wavefront_size32 1
		.amdhsa_uses_dynamic_stack 0
		.amdhsa_enable_private_segment 1
		.amdhsa_system_sgpr_workgroup_id_x 1
		.amdhsa_system_sgpr_workgroup_id_y 0
		.amdhsa_system_sgpr_workgroup_id_z 0
		.amdhsa_system_sgpr_workgroup_info 0
		.amdhsa_system_vgpr_workitem_id 0
		.amdhsa_next_free_vgpr 37
		.amdhsa_next_free_sgpr 34
		.amdhsa_reserve_vcc 1
		.amdhsa_float_round_mode_32 0
		.amdhsa_float_round_mode_16_64 0
		.amdhsa_float_denorm_mode_32 3
		.amdhsa_float_denorm_mode_16_64 3
		.amdhsa_dx10_clamp 1
		.amdhsa_ieee_mode 1
		.amdhsa_fp16_overflow 0
		.amdhsa_workgroup_processor_mode 1
		.amdhsa_memory_ordered 1
		.amdhsa_forward_progress 0
		.amdhsa_shared_vgpr_count 0
		.amdhsa_exception_fp_ieee_invalid_op 0
		.amdhsa_exception_fp_denorm_src 0
		.amdhsa_exception_fp_ieee_div_zero 0
		.amdhsa_exception_fp_ieee_overflow 0
		.amdhsa_exception_fp_ieee_underflow 0
		.amdhsa_exception_fp_ieee_inexact 0
		.amdhsa_exception_int_div_zero 0
	.end_amdhsa_kernel
	.section	.text._ZL15flash_attn_tileILi80ELi80ELi64ELi1ELb1EEvPKcS1_S1_S1_S1_PKiPfP15HIP_vector_typeIfLj2EEffffjfiS5_IjLj3EEiiiiiiiiiiiliiliiiiil,"axG",@progbits,_ZL15flash_attn_tileILi80ELi80ELi64ELi1ELb1EEvPKcS1_S1_S1_S1_PKiPfP15HIP_vector_typeIfLj2EEffffjfiS5_IjLj3EEiiiiiiiiiiiliiliiiiil,comdat
.Lfunc_end89:
	.size	_ZL15flash_attn_tileILi80ELi80ELi64ELi1ELb1EEvPKcS1_S1_S1_S1_PKiPfP15HIP_vector_typeIfLj2EEffffjfiS5_IjLj3EEiiiiiiiiiiiliiliiiiil, .Lfunc_end89-_ZL15flash_attn_tileILi80ELi80ELi64ELi1ELb1EEvPKcS1_S1_S1_S1_PKiPfP15HIP_vector_typeIfLj2EEffffjfiS5_IjLj3EEiiiiiiiiiiiliiliiiiil
                                        ; -- End function
	.section	.AMDGPU.csdata,"",@progbits
; Kernel info:
; codeLenInByte = 44
; NumSgprs: 36
; NumVgprs: 37
; ScratchSize: 16
; MemoryBound: 0
; FloatMode: 240
; IeeeMode: 1
; LDSByteSize: 0 bytes/workgroup (compile time only)
; SGPRBlocks: 4
; VGPRBlocks: 4
; NumSGPRsForWavesPerEU: 36
; NumVGPRsForWavesPerEU: 37
; Occupancy: 16
; WaveLimiterHint : 1
; COMPUTE_PGM_RSRC2:SCRATCH_EN: 1
; COMPUTE_PGM_RSRC2:USER_SGPR: 15
; COMPUTE_PGM_RSRC2:TRAP_HANDLER: 0
; COMPUTE_PGM_RSRC2:TGID_X_EN: 1
; COMPUTE_PGM_RSRC2:TGID_Y_EN: 0
; COMPUTE_PGM_RSRC2:TGID_Z_EN: 0
; COMPUTE_PGM_RSRC2:TIDIG_COMP_CNT: 0
	.section	.text._ZL15flash_attn_tileILi80ELi80ELi32ELi1ELb1EEvPKcS1_S1_S1_S1_PKiPfP15HIP_vector_typeIfLj2EEffffjfiS5_IjLj3EEiiiiiiiiiiiliiliiiiil,"axG",@progbits,_ZL15flash_attn_tileILi80ELi80ELi32ELi1ELb1EEvPKcS1_S1_S1_S1_PKiPfP15HIP_vector_typeIfLj2EEffffjfiS5_IjLj3EEiiiiiiiiiiiliiliiiiil,comdat
	.globl	_ZL15flash_attn_tileILi80ELi80ELi32ELi1ELb1EEvPKcS1_S1_S1_S1_PKiPfP15HIP_vector_typeIfLj2EEffffjfiS5_IjLj3EEiiiiiiiiiiiliiliiiiil ; -- Begin function _ZL15flash_attn_tileILi80ELi80ELi32ELi1ELb1EEvPKcS1_S1_S1_S1_PKiPfP15HIP_vector_typeIfLj2EEffffjfiS5_IjLj3EEiiiiiiiiiiiliiliiiiil
	.p2align	8
	.type	_ZL15flash_attn_tileILi80ELi80ELi32ELi1ELb1EEvPKcS1_S1_S1_S1_PKiPfP15HIP_vector_typeIfLj2EEffffjfiS5_IjLj3EEiiiiiiiiiiiliiliiiiil,@function
_ZL15flash_attn_tileILi80ELi80ELi32ELi1ELb1EEvPKcS1_S1_S1_S1_PKiPfP15HIP_vector_typeIfLj2EEffffjfiS5_IjLj3EEiiiiiiiiiiiliiliiiiil: ; @_ZL15flash_attn_tileILi80ELi80ELi32ELi1ELb1EEvPKcS1_S1_S1_S1_PKiPfP15HIP_vector_typeIfLj2EEffffjfiS5_IjLj3EEiiiiiiiiiiiliiliiiiil
; %bb.0:
	s_add_u32 s8, s0, 0xd0
	s_addc_u32 s9, s1, 0
	s_mov_b32 s32, 0
	s_getpc_b64 s[0:1]
	s_add_u32 s0, s0, _ZL14no_device_codePKciS0_iS0_@rel32@lo+4
	s_addc_u32 s1, s1, _ZL14no_device_codePKciS0_iS0_@rel32@hi+12
	s_delay_alu instid0(SALU_CYCLE_1)
	s_swappc_b64 s[30:31], s[0:1]
	.section	.rodata,"a",@progbits
	.p2align	6, 0x0
	.amdhsa_kernel _ZL15flash_attn_tileILi80ELi80ELi32ELi1ELb1EEvPKcS1_S1_S1_S1_PKiPfP15HIP_vector_typeIfLj2EEffffjfiS5_IjLj3EEiiiiiiiiiiiliiliiiiil
		.amdhsa_group_segment_fixed_size 0
		.amdhsa_private_segment_fixed_size 16
		.amdhsa_kernarg_size 464
		.amdhsa_user_sgpr_count 15
		.amdhsa_user_sgpr_dispatch_ptr 0
		.amdhsa_user_sgpr_queue_ptr 0
		.amdhsa_user_sgpr_kernarg_segment_ptr 1
		.amdhsa_user_sgpr_dispatch_id 0
		.amdhsa_user_sgpr_private_segment_size 0
		.amdhsa_wavefront_size32 1
		.amdhsa_uses_dynamic_stack 0
		.amdhsa_enable_private_segment 1
		.amdhsa_system_sgpr_workgroup_id_x 1
		.amdhsa_system_sgpr_workgroup_id_y 0
		.amdhsa_system_sgpr_workgroup_id_z 0
		.amdhsa_system_sgpr_workgroup_info 0
		.amdhsa_system_vgpr_workitem_id 0
		.amdhsa_next_free_vgpr 37
		.amdhsa_next_free_sgpr 34
		.amdhsa_reserve_vcc 1
		.amdhsa_float_round_mode_32 0
		.amdhsa_float_round_mode_16_64 0
		.amdhsa_float_denorm_mode_32 3
		.amdhsa_float_denorm_mode_16_64 3
		.amdhsa_dx10_clamp 1
		.amdhsa_ieee_mode 1
		.amdhsa_fp16_overflow 0
		.amdhsa_workgroup_processor_mode 1
		.amdhsa_memory_ordered 1
		.amdhsa_forward_progress 0
		.amdhsa_shared_vgpr_count 0
		.amdhsa_exception_fp_ieee_invalid_op 0
		.amdhsa_exception_fp_denorm_src 0
		.amdhsa_exception_fp_ieee_div_zero 0
		.amdhsa_exception_fp_ieee_overflow 0
		.amdhsa_exception_fp_ieee_underflow 0
		.amdhsa_exception_fp_ieee_inexact 0
		.amdhsa_exception_int_div_zero 0
	.end_amdhsa_kernel
	.section	.text._ZL15flash_attn_tileILi80ELi80ELi32ELi1ELb1EEvPKcS1_S1_S1_S1_PKiPfP15HIP_vector_typeIfLj2EEffffjfiS5_IjLj3EEiiiiiiiiiiiliiliiiiil,"axG",@progbits,_ZL15flash_attn_tileILi80ELi80ELi32ELi1ELb1EEvPKcS1_S1_S1_S1_PKiPfP15HIP_vector_typeIfLj2EEffffjfiS5_IjLj3EEiiiiiiiiiiiliiliiiiil,comdat
.Lfunc_end90:
	.size	_ZL15flash_attn_tileILi80ELi80ELi32ELi1ELb1EEvPKcS1_S1_S1_S1_PKiPfP15HIP_vector_typeIfLj2EEffffjfiS5_IjLj3EEiiiiiiiiiiiliiliiiiil, .Lfunc_end90-_ZL15flash_attn_tileILi80ELi80ELi32ELi1ELb1EEvPKcS1_S1_S1_S1_PKiPfP15HIP_vector_typeIfLj2EEffffjfiS5_IjLj3EEiiiiiiiiiiiliiliiiiil
                                        ; -- End function
	.section	.AMDGPU.csdata,"",@progbits
; Kernel info:
; codeLenInByte = 44
; NumSgprs: 36
; NumVgprs: 37
; ScratchSize: 16
; MemoryBound: 0
; FloatMode: 240
; IeeeMode: 1
; LDSByteSize: 0 bytes/workgroup (compile time only)
; SGPRBlocks: 4
; VGPRBlocks: 4
; NumSGPRsForWavesPerEU: 36
; NumVGPRsForWavesPerEU: 37
; Occupancy: 16
; WaveLimiterHint : 1
; COMPUTE_PGM_RSRC2:SCRATCH_EN: 1
; COMPUTE_PGM_RSRC2:USER_SGPR: 15
; COMPUTE_PGM_RSRC2:TRAP_HANDLER: 0
; COMPUTE_PGM_RSRC2:TGID_X_EN: 1
; COMPUTE_PGM_RSRC2:TGID_Y_EN: 0
; COMPUTE_PGM_RSRC2:TGID_Z_EN: 0
; COMPUTE_PGM_RSRC2:TIDIG_COMP_CNT: 0
	.section	.text._ZL15flash_attn_tileILi80ELi80ELi16ELi1ELb1EEvPKcS1_S1_S1_S1_PKiPfP15HIP_vector_typeIfLj2EEffffjfiS5_IjLj3EEiiiiiiiiiiiliiliiiiil,"axG",@progbits,_ZL15flash_attn_tileILi80ELi80ELi16ELi1ELb1EEvPKcS1_S1_S1_S1_PKiPfP15HIP_vector_typeIfLj2EEffffjfiS5_IjLj3EEiiiiiiiiiiiliiliiiiil,comdat
	.globl	_ZL15flash_attn_tileILi80ELi80ELi16ELi1ELb1EEvPKcS1_S1_S1_S1_PKiPfP15HIP_vector_typeIfLj2EEffffjfiS5_IjLj3EEiiiiiiiiiiiliiliiiiil ; -- Begin function _ZL15flash_attn_tileILi80ELi80ELi16ELi1ELb1EEvPKcS1_S1_S1_S1_PKiPfP15HIP_vector_typeIfLj2EEffffjfiS5_IjLj3EEiiiiiiiiiiiliiliiiiil
	.p2align	8
	.type	_ZL15flash_attn_tileILi80ELi80ELi16ELi1ELb1EEvPKcS1_S1_S1_S1_PKiPfP15HIP_vector_typeIfLj2EEffffjfiS5_IjLj3EEiiiiiiiiiiiliiliiiiil,@function
_ZL15flash_attn_tileILi80ELi80ELi16ELi1ELb1EEvPKcS1_S1_S1_S1_PKiPfP15HIP_vector_typeIfLj2EEffffjfiS5_IjLj3EEiiiiiiiiiiiliiliiiiil: ; @_ZL15flash_attn_tileILi80ELi80ELi16ELi1ELb1EEvPKcS1_S1_S1_S1_PKiPfP15HIP_vector_typeIfLj2EEffffjfiS5_IjLj3EEiiiiiiiiiiiliiliiiiil
; %bb.0:
	s_add_u32 s8, s0, 0xd0
	s_addc_u32 s9, s1, 0
	s_mov_b32 s32, 0
	s_getpc_b64 s[0:1]
	s_add_u32 s0, s0, _ZL14no_device_codePKciS0_iS0_@rel32@lo+4
	s_addc_u32 s1, s1, _ZL14no_device_codePKciS0_iS0_@rel32@hi+12
	s_delay_alu instid0(SALU_CYCLE_1)
	s_swappc_b64 s[30:31], s[0:1]
	.section	.rodata,"a",@progbits
	.p2align	6, 0x0
	.amdhsa_kernel _ZL15flash_attn_tileILi80ELi80ELi16ELi1ELb1EEvPKcS1_S1_S1_S1_PKiPfP15HIP_vector_typeIfLj2EEffffjfiS5_IjLj3EEiiiiiiiiiiiliiliiiiil
		.amdhsa_group_segment_fixed_size 0
		.amdhsa_private_segment_fixed_size 16
		.amdhsa_kernarg_size 464
		.amdhsa_user_sgpr_count 15
		.amdhsa_user_sgpr_dispatch_ptr 0
		.amdhsa_user_sgpr_queue_ptr 0
		.amdhsa_user_sgpr_kernarg_segment_ptr 1
		.amdhsa_user_sgpr_dispatch_id 0
		.amdhsa_user_sgpr_private_segment_size 0
		.amdhsa_wavefront_size32 1
		.amdhsa_uses_dynamic_stack 0
		.amdhsa_enable_private_segment 1
		.amdhsa_system_sgpr_workgroup_id_x 1
		.amdhsa_system_sgpr_workgroup_id_y 0
		.amdhsa_system_sgpr_workgroup_id_z 0
		.amdhsa_system_sgpr_workgroup_info 0
		.amdhsa_system_vgpr_workitem_id 0
		.amdhsa_next_free_vgpr 37
		.amdhsa_next_free_sgpr 34
		.amdhsa_reserve_vcc 1
		.amdhsa_float_round_mode_32 0
		.amdhsa_float_round_mode_16_64 0
		.amdhsa_float_denorm_mode_32 3
		.amdhsa_float_denorm_mode_16_64 3
		.amdhsa_dx10_clamp 1
		.amdhsa_ieee_mode 1
		.amdhsa_fp16_overflow 0
		.amdhsa_workgroup_processor_mode 1
		.amdhsa_memory_ordered 1
		.amdhsa_forward_progress 0
		.amdhsa_shared_vgpr_count 0
		.amdhsa_exception_fp_ieee_invalid_op 0
		.amdhsa_exception_fp_denorm_src 0
		.amdhsa_exception_fp_ieee_div_zero 0
		.amdhsa_exception_fp_ieee_overflow 0
		.amdhsa_exception_fp_ieee_underflow 0
		.amdhsa_exception_fp_ieee_inexact 0
		.amdhsa_exception_int_div_zero 0
	.end_amdhsa_kernel
	.section	.text._ZL15flash_attn_tileILi80ELi80ELi16ELi1ELb1EEvPKcS1_S1_S1_S1_PKiPfP15HIP_vector_typeIfLj2EEffffjfiS5_IjLj3EEiiiiiiiiiiiliiliiiiil,"axG",@progbits,_ZL15flash_attn_tileILi80ELi80ELi16ELi1ELb1EEvPKcS1_S1_S1_S1_PKiPfP15HIP_vector_typeIfLj2EEffffjfiS5_IjLj3EEiiiiiiiiiiiliiliiiiil,comdat
.Lfunc_end91:
	.size	_ZL15flash_attn_tileILi80ELi80ELi16ELi1ELb1EEvPKcS1_S1_S1_S1_PKiPfP15HIP_vector_typeIfLj2EEffffjfiS5_IjLj3EEiiiiiiiiiiiliiliiiiil, .Lfunc_end91-_ZL15flash_attn_tileILi80ELi80ELi16ELi1ELb1EEvPKcS1_S1_S1_S1_PKiPfP15HIP_vector_typeIfLj2EEffffjfiS5_IjLj3EEiiiiiiiiiiiliiliiiiil
                                        ; -- End function
	.section	.AMDGPU.csdata,"",@progbits
; Kernel info:
; codeLenInByte = 44
; NumSgprs: 36
; NumVgprs: 37
; ScratchSize: 16
; MemoryBound: 0
; FloatMode: 240
; IeeeMode: 1
; LDSByteSize: 0 bytes/workgroup (compile time only)
; SGPRBlocks: 4
; VGPRBlocks: 4
; NumSGPRsForWavesPerEU: 36
; NumVGPRsForWavesPerEU: 37
; Occupancy: 16
; WaveLimiterHint : 1
; COMPUTE_PGM_RSRC2:SCRATCH_EN: 1
; COMPUTE_PGM_RSRC2:USER_SGPR: 15
; COMPUTE_PGM_RSRC2:TRAP_HANDLER: 0
; COMPUTE_PGM_RSRC2:TGID_X_EN: 1
; COMPUTE_PGM_RSRC2:TGID_Y_EN: 0
; COMPUTE_PGM_RSRC2:TGID_Z_EN: 0
; COMPUTE_PGM_RSRC2:TIDIG_COMP_CNT: 0
	.section	.text._ZL15flash_attn_tileILi80ELi80ELi8ELi1ELb1EEvPKcS1_S1_S1_S1_PKiPfP15HIP_vector_typeIfLj2EEffffjfiS5_IjLj3EEiiiiiiiiiiiliiliiiiil,"axG",@progbits,_ZL15flash_attn_tileILi80ELi80ELi8ELi1ELb1EEvPKcS1_S1_S1_S1_PKiPfP15HIP_vector_typeIfLj2EEffffjfiS5_IjLj3EEiiiiiiiiiiiliiliiiiil,comdat
	.globl	_ZL15flash_attn_tileILi80ELi80ELi8ELi1ELb1EEvPKcS1_S1_S1_S1_PKiPfP15HIP_vector_typeIfLj2EEffffjfiS5_IjLj3EEiiiiiiiiiiiliiliiiiil ; -- Begin function _ZL15flash_attn_tileILi80ELi80ELi8ELi1ELb1EEvPKcS1_S1_S1_S1_PKiPfP15HIP_vector_typeIfLj2EEffffjfiS5_IjLj3EEiiiiiiiiiiiliiliiiiil
	.p2align	8
	.type	_ZL15flash_attn_tileILi80ELi80ELi8ELi1ELb1EEvPKcS1_S1_S1_S1_PKiPfP15HIP_vector_typeIfLj2EEffffjfiS5_IjLj3EEiiiiiiiiiiiliiliiiiil,@function
_ZL15flash_attn_tileILi80ELi80ELi8ELi1ELb1EEvPKcS1_S1_S1_S1_PKiPfP15HIP_vector_typeIfLj2EEffffjfiS5_IjLj3EEiiiiiiiiiiiliiliiiiil: ; @_ZL15flash_attn_tileILi80ELi80ELi8ELi1ELb1EEvPKcS1_S1_S1_S1_PKiPfP15HIP_vector_typeIfLj2EEffffjfiS5_IjLj3EEiiiiiiiiiiiliiliiiiil
; %bb.0:
	s_add_u32 s8, s0, 0xd0
	s_addc_u32 s9, s1, 0
	s_mov_b32 s32, 0
	s_getpc_b64 s[0:1]
	s_add_u32 s0, s0, _ZL14no_device_codePKciS0_iS0_@rel32@lo+4
	s_addc_u32 s1, s1, _ZL14no_device_codePKciS0_iS0_@rel32@hi+12
	s_delay_alu instid0(SALU_CYCLE_1)
	s_swappc_b64 s[30:31], s[0:1]
	.section	.rodata,"a",@progbits
	.p2align	6, 0x0
	.amdhsa_kernel _ZL15flash_attn_tileILi80ELi80ELi8ELi1ELb1EEvPKcS1_S1_S1_S1_PKiPfP15HIP_vector_typeIfLj2EEffffjfiS5_IjLj3EEiiiiiiiiiiiliiliiiiil
		.amdhsa_group_segment_fixed_size 0
		.amdhsa_private_segment_fixed_size 16
		.amdhsa_kernarg_size 464
		.amdhsa_user_sgpr_count 15
		.amdhsa_user_sgpr_dispatch_ptr 0
		.amdhsa_user_sgpr_queue_ptr 0
		.amdhsa_user_sgpr_kernarg_segment_ptr 1
		.amdhsa_user_sgpr_dispatch_id 0
		.amdhsa_user_sgpr_private_segment_size 0
		.amdhsa_wavefront_size32 1
		.amdhsa_uses_dynamic_stack 0
		.amdhsa_enable_private_segment 1
		.amdhsa_system_sgpr_workgroup_id_x 1
		.amdhsa_system_sgpr_workgroup_id_y 0
		.amdhsa_system_sgpr_workgroup_id_z 0
		.amdhsa_system_sgpr_workgroup_info 0
		.amdhsa_system_vgpr_workitem_id 0
		.amdhsa_next_free_vgpr 37
		.amdhsa_next_free_sgpr 34
		.amdhsa_reserve_vcc 1
		.amdhsa_float_round_mode_32 0
		.amdhsa_float_round_mode_16_64 0
		.amdhsa_float_denorm_mode_32 3
		.amdhsa_float_denorm_mode_16_64 3
		.amdhsa_dx10_clamp 1
		.amdhsa_ieee_mode 1
		.amdhsa_fp16_overflow 0
		.amdhsa_workgroup_processor_mode 1
		.amdhsa_memory_ordered 1
		.amdhsa_forward_progress 0
		.amdhsa_shared_vgpr_count 0
		.amdhsa_exception_fp_ieee_invalid_op 0
		.amdhsa_exception_fp_denorm_src 0
		.amdhsa_exception_fp_ieee_div_zero 0
		.amdhsa_exception_fp_ieee_overflow 0
		.amdhsa_exception_fp_ieee_underflow 0
		.amdhsa_exception_fp_ieee_inexact 0
		.amdhsa_exception_int_div_zero 0
	.end_amdhsa_kernel
	.section	.text._ZL15flash_attn_tileILi80ELi80ELi8ELi1ELb1EEvPKcS1_S1_S1_S1_PKiPfP15HIP_vector_typeIfLj2EEffffjfiS5_IjLj3EEiiiiiiiiiiiliiliiiiil,"axG",@progbits,_ZL15flash_attn_tileILi80ELi80ELi8ELi1ELb1EEvPKcS1_S1_S1_S1_PKiPfP15HIP_vector_typeIfLj2EEffffjfiS5_IjLj3EEiiiiiiiiiiiliiliiiiil,comdat
.Lfunc_end92:
	.size	_ZL15flash_attn_tileILi80ELi80ELi8ELi1ELb1EEvPKcS1_S1_S1_S1_PKiPfP15HIP_vector_typeIfLj2EEffffjfiS5_IjLj3EEiiiiiiiiiiiliiliiiiil, .Lfunc_end92-_ZL15flash_attn_tileILi80ELi80ELi8ELi1ELb1EEvPKcS1_S1_S1_S1_PKiPfP15HIP_vector_typeIfLj2EEffffjfiS5_IjLj3EEiiiiiiiiiiiliiliiiiil
                                        ; -- End function
	.section	.AMDGPU.csdata,"",@progbits
; Kernel info:
; codeLenInByte = 44
; NumSgprs: 36
; NumVgprs: 37
; ScratchSize: 16
; MemoryBound: 0
; FloatMode: 240
; IeeeMode: 1
; LDSByteSize: 0 bytes/workgroup (compile time only)
; SGPRBlocks: 4
; VGPRBlocks: 4
; NumSGPRsForWavesPerEU: 36
; NumVGPRsForWavesPerEU: 37
; Occupancy: 16
; WaveLimiterHint : 1
; COMPUTE_PGM_RSRC2:SCRATCH_EN: 1
; COMPUTE_PGM_RSRC2:USER_SGPR: 15
; COMPUTE_PGM_RSRC2:TRAP_HANDLER: 0
; COMPUTE_PGM_RSRC2:TGID_X_EN: 1
; COMPUTE_PGM_RSRC2:TGID_Y_EN: 0
; COMPUTE_PGM_RSRC2:TGID_Z_EN: 0
; COMPUTE_PGM_RSRC2:TIDIG_COMP_CNT: 0
	.section	.text._ZL15flash_attn_tileILi80ELi80ELi4ELi1ELb1EEvPKcS1_S1_S1_S1_PKiPfP15HIP_vector_typeIfLj2EEffffjfiS5_IjLj3EEiiiiiiiiiiiliiliiiiil,"axG",@progbits,_ZL15flash_attn_tileILi80ELi80ELi4ELi1ELb1EEvPKcS1_S1_S1_S1_PKiPfP15HIP_vector_typeIfLj2EEffffjfiS5_IjLj3EEiiiiiiiiiiiliiliiiiil,comdat
	.globl	_ZL15flash_attn_tileILi80ELi80ELi4ELi1ELb1EEvPKcS1_S1_S1_S1_PKiPfP15HIP_vector_typeIfLj2EEffffjfiS5_IjLj3EEiiiiiiiiiiiliiliiiiil ; -- Begin function _ZL15flash_attn_tileILi80ELi80ELi4ELi1ELb1EEvPKcS1_S1_S1_S1_PKiPfP15HIP_vector_typeIfLj2EEffffjfiS5_IjLj3EEiiiiiiiiiiiliiliiiiil
	.p2align	8
	.type	_ZL15flash_attn_tileILi80ELi80ELi4ELi1ELb1EEvPKcS1_S1_S1_S1_PKiPfP15HIP_vector_typeIfLj2EEffffjfiS5_IjLj3EEiiiiiiiiiiiliiliiiiil,@function
_ZL15flash_attn_tileILi80ELi80ELi4ELi1ELb1EEvPKcS1_S1_S1_S1_PKiPfP15HIP_vector_typeIfLj2EEffffjfiS5_IjLj3EEiiiiiiiiiiiliiliiiiil: ; @_ZL15flash_attn_tileILi80ELi80ELi4ELi1ELb1EEvPKcS1_S1_S1_S1_PKiPfP15HIP_vector_typeIfLj2EEffffjfiS5_IjLj3EEiiiiiiiiiiiliiliiiiil
; %bb.0:
	s_add_u32 s8, s0, 0xd0
	s_addc_u32 s9, s1, 0
	s_mov_b32 s32, 0
	s_getpc_b64 s[0:1]
	s_add_u32 s0, s0, _ZL14no_device_codePKciS0_iS0_@rel32@lo+4
	s_addc_u32 s1, s1, _ZL14no_device_codePKciS0_iS0_@rel32@hi+12
	s_delay_alu instid0(SALU_CYCLE_1)
	s_swappc_b64 s[30:31], s[0:1]
	.section	.rodata,"a",@progbits
	.p2align	6, 0x0
	.amdhsa_kernel _ZL15flash_attn_tileILi80ELi80ELi4ELi1ELb1EEvPKcS1_S1_S1_S1_PKiPfP15HIP_vector_typeIfLj2EEffffjfiS5_IjLj3EEiiiiiiiiiiiliiliiiiil
		.amdhsa_group_segment_fixed_size 0
		.amdhsa_private_segment_fixed_size 16
		.amdhsa_kernarg_size 464
		.amdhsa_user_sgpr_count 15
		.amdhsa_user_sgpr_dispatch_ptr 0
		.amdhsa_user_sgpr_queue_ptr 0
		.amdhsa_user_sgpr_kernarg_segment_ptr 1
		.amdhsa_user_sgpr_dispatch_id 0
		.amdhsa_user_sgpr_private_segment_size 0
		.amdhsa_wavefront_size32 1
		.amdhsa_uses_dynamic_stack 0
		.amdhsa_enable_private_segment 1
		.amdhsa_system_sgpr_workgroup_id_x 1
		.amdhsa_system_sgpr_workgroup_id_y 0
		.amdhsa_system_sgpr_workgroup_id_z 0
		.amdhsa_system_sgpr_workgroup_info 0
		.amdhsa_system_vgpr_workitem_id 0
		.amdhsa_next_free_vgpr 37
		.amdhsa_next_free_sgpr 34
		.amdhsa_reserve_vcc 1
		.amdhsa_float_round_mode_32 0
		.amdhsa_float_round_mode_16_64 0
		.amdhsa_float_denorm_mode_32 3
		.amdhsa_float_denorm_mode_16_64 3
		.amdhsa_dx10_clamp 1
		.amdhsa_ieee_mode 1
		.amdhsa_fp16_overflow 0
		.amdhsa_workgroup_processor_mode 1
		.amdhsa_memory_ordered 1
		.amdhsa_forward_progress 0
		.amdhsa_shared_vgpr_count 0
		.amdhsa_exception_fp_ieee_invalid_op 0
		.amdhsa_exception_fp_denorm_src 0
		.amdhsa_exception_fp_ieee_div_zero 0
		.amdhsa_exception_fp_ieee_overflow 0
		.amdhsa_exception_fp_ieee_underflow 0
		.amdhsa_exception_fp_ieee_inexact 0
		.amdhsa_exception_int_div_zero 0
	.end_amdhsa_kernel
	.section	.text._ZL15flash_attn_tileILi80ELi80ELi4ELi1ELb1EEvPKcS1_S1_S1_S1_PKiPfP15HIP_vector_typeIfLj2EEffffjfiS5_IjLj3EEiiiiiiiiiiiliiliiiiil,"axG",@progbits,_ZL15flash_attn_tileILi80ELi80ELi4ELi1ELb1EEvPKcS1_S1_S1_S1_PKiPfP15HIP_vector_typeIfLj2EEffffjfiS5_IjLj3EEiiiiiiiiiiiliiliiiiil,comdat
.Lfunc_end93:
	.size	_ZL15flash_attn_tileILi80ELi80ELi4ELi1ELb1EEvPKcS1_S1_S1_S1_PKiPfP15HIP_vector_typeIfLj2EEffffjfiS5_IjLj3EEiiiiiiiiiiiliiliiiiil, .Lfunc_end93-_ZL15flash_attn_tileILi80ELi80ELi4ELi1ELb1EEvPKcS1_S1_S1_S1_PKiPfP15HIP_vector_typeIfLj2EEffffjfiS5_IjLj3EEiiiiiiiiiiiliiliiiiil
                                        ; -- End function
	.section	.AMDGPU.csdata,"",@progbits
; Kernel info:
; codeLenInByte = 44
; NumSgprs: 36
; NumVgprs: 37
; ScratchSize: 16
; MemoryBound: 0
; FloatMode: 240
; IeeeMode: 1
; LDSByteSize: 0 bytes/workgroup (compile time only)
; SGPRBlocks: 4
; VGPRBlocks: 4
; NumSGPRsForWavesPerEU: 36
; NumVGPRsForWavesPerEU: 37
; Occupancy: 16
; WaveLimiterHint : 1
; COMPUTE_PGM_RSRC2:SCRATCH_EN: 1
; COMPUTE_PGM_RSRC2:USER_SGPR: 15
; COMPUTE_PGM_RSRC2:TRAP_HANDLER: 0
; COMPUTE_PGM_RSRC2:TGID_X_EN: 1
; COMPUTE_PGM_RSRC2:TGID_Y_EN: 0
; COMPUTE_PGM_RSRC2:TGID_Z_EN: 0
; COMPUTE_PGM_RSRC2:TIDIG_COMP_CNT: 0
	.section	.text._ZL15flash_attn_tileILi80ELi80ELi2ELi1ELb1EEvPKcS1_S1_S1_S1_PKiPfP15HIP_vector_typeIfLj2EEffffjfiS5_IjLj3EEiiiiiiiiiiiliiliiiiil,"axG",@progbits,_ZL15flash_attn_tileILi80ELi80ELi2ELi1ELb1EEvPKcS1_S1_S1_S1_PKiPfP15HIP_vector_typeIfLj2EEffffjfiS5_IjLj3EEiiiiiiiiiiiliiliiiiil,comdat
	.globl	_ZL15flash_attn_tileILi80ELi80ELi2ELi1ELb1EEvPKcS1_S1_S1_S1_PKiPfP15HIP_vector_typeIfLj2EEffffjfiS5_IjLj3EEiiiiiiiiiiiliiliiiiil ; -- Begin function _ZL15flash_attn_tileILi80ELi80ELi2ELi1ELb1EEvPKcS1_S1_S1_S1_PKiPfP15HIP_vector_typeIfLj2EEffffjfiS5_IjLj3EEiiiiiiiiiiiliiliiiiil
	.p2align	8
	.type	_ZL15flash_attn_tileILi80ELi80ELi2ELi1ELb1EEvPKcS1_S1_S1_S1_PKiPfP15HIP_vector_typeIfLj2EEffffjfiS5_IjLj3EEiiiiiiiiiiiliiliiiiil,@function
_ZL15flash_attn_tileILi80ELi80ELi2ELi1ELb1EEvPKcS1_S1_S1_S1_PKiPfP15HIP_vector_typeIfLj2EEffffjfiS5_IjLj3EEiiiiiiiiiiiliiliiiiil: ; @_ZL15flash_attn_tileILi80ELi80ELi2ELi1ELb1EEvPKcS1_S1_S1_S1_PKiPfP15HIP_vector_typeIfLj2EEffffjfiS5_IjLj3EEiiiiiiiiiiiliiliiiiil
; %bb.0:
	s_add_u32 s8, s0, 0xd0
	s_addc_u32 s9, s1, 0
	s_mov_b32 s32, 0
	s_getpc_b64 s[0:1]
	s_add_u32 s0, s0, _ZL14no_device_codePKciS0_iS0_@rel32@lo+4
	s_addc_u32 s1, s1, _ZL14no_device_codePKciS0_iS0_@rel32@hi+12
	s_delay_alu instid0(SALU_CYCLE_1)
	s_swappc_b64 s[30:31], s[0:1]
	.section	.rodata,"a",@progbits
	.p2align	6, 0x0
	.amdhsa_kernel _ZL15flash_attn_tileILi80ELi80ELi2ELi1ELb1EEvPKcS1_S1_S1_S1_PKiPfP15HIP_vector_typeIfLj2EEffffjfiS5_IjLj3EEiiiiiiiiiiiliiliiiiil
		.amdhsa_group_segment_fixed_size 0
		.amdhsa_private_segment_fixed_size 16
		.amdhsa_kernarg_size 464
		.amdhsa_user_sgpr_count 15
		.amdhsa_user_sgpr_dispatch_ptr 0
		.amdhsa_user_sgpr_queue_ptr 0
		.amdhsa_user_sgpr_kernarg_segment_ptr 1
		.amdhsa_user_sgpr_dispatch_id 0
		.amdhsa_user_sgpr_private_segment_size 0
		.amdhsa_wavefront_size32 1
		.amdhsa_uses_dynamic_stack 0
		.amdhsa_enable_private_segment 1
		.amdhsa_system_sgpr_workgroup_id_x 1
		.amdhsa_system_sgpr_workgroup_id_y 0
		.amdhsa_system_sgpr_workgroup_id_z 0
		.amdhsa_system_sgpr_workgroup_info 0
		.amdhsa_system_vgpr_workitem_id 0
		.amdhsa_next_free_vgpr 37
		.amdhsa_next_free_sgpr 34
		.amdhsa_reserve_vcc 1
		.amdhsa_float_round_mode_32 0
		.amdhsa_float_round_mode_16_64 0
		.amdhsa_float_denorm_mode_32 3
		.amdhsa_float_denorm_mode_16_64 3
		.amdhsa_dx10_clamp 1
		.amdhsa_ieee_mode 1
		.amdhsa_fp16_overflow 0
		.amdhsa_workgroup_processor_mode 1
		.amdhsa_memory_ordered 1
		.amdhsa_forward_progress 0
		.amdhsa_shared_vgpr_count 0
		.amdhsa_exception_fp_ieee_invalid_op 0
		.amdhsa_exception_fp_denorm_src 0
		.amdhsa_exception_fp_ieee_div_zero 0
		.amdhsa_exception_fp_ieee_overflow 0
		.amdhsa_exception_fp_ieee_underflow 0
		.amdhsa_exception_fp_ieee_inexact 0
		.amdhsa_exception_int_div_zero 0
	.end_amdhsa_kernel
	.section	.text._ZL15flash_attn_tileILi80ELi80ELi2ELi1ELb1EEvPKcS1_S1_S1_S1_PKiPfP15HIP_vector_typeIfLj2EEffffjfiS5_IjLj3EEiiiiiiiiiiiliiliiiiil,"axG",@progbits,_ZL15flash_attn_tileILi80ELi80ELi2ELi1ELb1EEvPKcS1_S1_S1_S1_PKiPfP15HIP_vector_typeIfLj2EEffffjfiS5_IjLj3EEiiiiiiiiiiiliiliiiiil,comdat
.Lfunc_end94:
	.size	_ZL15flash_attn_tileILi80ELi80ELi2ELi1ELb1EEvPKcS1_S1_S1_S1_PKiPfP15HIP_vector_typeIfLj2EEffffjfiS5_IjLj3EEiiiiiiiiiiiliiliiiiil, .Lfunc_end94-_ZL15flash_attn_tileILi80ELi80ELi2ELi1ELb1EEvPKcS1_S1_S1_S1_PKiPfP15HIP_vector_typeIfLj2EEffffjfiS5_IjLj3EEiiiiiiiiiiiliiliiiiil
                                        ; -- End function
	.section	.AMDGPU.csdata,"",@progbits
; Kernel info:
; codeLenInByte = 44
; NumSgprs: 36
; NumVgprs: 37
; ScratchSize: 16
; MemoryBound: 0
; FloatMode: 240
; IeeeMode: 1
; LDSByteSize: 0 bytes/workgroup (compile time only)
; SGPRBlocks: 4
; VGPRBlocks: 4
; NumSGPRsForWavesPerEU: 36
; NumVGPRsForWavesPerEU: 37
; Occupancy: 16
; WaveLimiterHint : 1
; COMPUTE_PGM_RSRC2:SCRATCH_EN: 1
; COMPUTE_PGM_RSRC2:USER_SGPR: 15
; COMPUTE_PGM_RSRC2:TRAP_HANDLER: 0
; COMPUTE_PGM_RSRC2:TGID_X_EN: 1
; COMPUTE_PGM_RSRC2:TGID_Y_EN: 0
; COMPUTE_PGM_RSRC2:TGID_Z_EN: 0
; COMPUTE_PGM_RSRC2:TIDIG_COMP_CNT: 0
	.text
	.p2alignl 7, 3214868480
	.fill 96, 4, 3214868480
	.type	.str.1,@object                  ; @.str.1
	.section	.rodata.str1.1,"aMS",@progbits,1
.str.1:
	.asciz	"/root/src/amdgpu-assembly/repos/ggml-org__llama.cpp/ggml/src/ggml-cuda/template-instances/../fattn-tile.cuh"
	.size	.str.1, 108

	.type	__FUNCTION__._ZL15flash_attn_tileILi80ELi80ELi8ELi8ELb1EEvPKcS1_S1_S1_S1_PKiPfP15HIP_vector_typeIfLj2EEffffjfiS5_IjLj3EEiiiiiiiiiiiliiliiiiil,@object ; @__FUNCTION__._ZL15flash_attn_tileILi80ELi80ELi8ELi8ELb1EEvPKcS1_S1_S1_S1_PKiPfP15HIP_vector_typeIfLj2EEffffjfiS5_IjLj3EEiiiiiiiiiiiliiliiiiil
__FUNCTION__._ZL15flash_attn_tileILi80ELi80ELi8ELi8ELb1EEvPKcS1_S1_S1_S1_PKiPfP15HIP_vector_typeIfLj2EEffffjfiS5_IjLj3EEiiiiiiiiiiiliiliiiiil:
	.asciz	"flash_attn_tile"
	.size	__FUNCTION__._ZL15flash_attn_tileILi80ELi80ELi8ELi8ELb1EEvPKcS1_S1_S1_S1_PKiPfP15HIP_vector_typeIfLj2EEffffjfiS5_IjLj3EEiiiiiiiiiiiliiliiiiil, 16

	.type	.str.3,@object                  ; @.str.3
.str.3:
	.asciz	"%s:%d: ERROR: HIP kernel %s has no device code compatible with HIP arch %d.\n"
	.size	.str.3, 77

	.type	__hip_cuid_4a3df9ae889cb04a,@object ; @__hip_cuid_4a3df9ae889cb04a
	.section	.bss,"aw",@nobits
	.globl	__hip_cuid_4a3df9ae889cb04a
__hip_cuid_4a3df9ae889cb04a:
	.byte	0                               ; 0x0
	.size	__hip_cuid_4a3df9ae889cb04a, 1

	.ident	"AMD clang version 19.0.0git (https://github.com/RadeonOpenCompute/llvm-project roc-6.4.0 25133 c7fe45cf4b819c5991fe208aaa96edf142730f1d)"
	.section	".note.GNU-stack","",@progbits
	.addrsig
	.addrsig_sym __hip_cuid_4a3df9ae889cb04a
	.amdgpu_metadata
---
amdhsa.kernels:
  - .args:
      - .address_space:  global
        .offset:         0
        .size:           8
        .value_kind:     global_buffer
      - .address_space:  global
        .offset:         8
        .size:           8
        .value_kind:     global_buffer
      - .address_space:  global
        .offset:         16
        .size:           8
        .value_kind:     global_buffer
      - .address_space:  global
        .offset:         24
        .size:           8
        .value_kind:     global_buffer
      - .address_space:  global
        .offset:         32
        .size:           8
        .value_kind:     global_buffer
      - .address_space:  global
        .offset:         40
        .size:           8
        .value_kind:     global_buffer
      - .address_space:  global
        .offset:         48
        .size:           8
        .value_kind:     global_buffer
      - .address_space:  global
        .offset:         56
        .size:           8
        .value_kind:     global_buffer
      - .offset:         64
        .size:           4
        .value_kind:     by_value
      - .offset:         68
        .size:           4
        .value_kind:     by_value
      - .offset:         72
        .size:           4
        .value_kind:     by_value
      - .offset:         76
        .size:           4
        .value_kind:     by_value
      - .offset:         80
        .size:           4
        .value_kind:     by_value
      - .offset:         84
        .size:           4
        .value_kind:     by_value
      - .offset:         88
        .size:           4
        .value_kind:     by_value
      - .offset:         92
        .size:           12
        .value_kind:     by_value
      - .offset:         104
        .size:           4
        .value_kind:     by_value
      - .offset:         108
        .size:           4
        .value_kind:     by_value
      - .offset:         112
        .size:           4
        .value_kind:     by_value
      - .offset:         116
        .size:           4
        .value_kind:     by_value
      - .offset:         120
        .size:           4
        .value_kind:     by_value
      - .offset:         124
        .size:           4
        .value_kind:     by_value
      - .offset:         128
        .size:           4
        .value_kind:     by_value
      - .offset:         132
        .size:           4
        .value_kind:     by_value
      - .offset:         136
        .size:           4
        .value_kind:     by_value
      - .offset:         140
        .size:           4
        .value_kind:     by_value
      - .offset:         144
        .size:           4
        .value_kind:     by_value
      - .offset:         152
        .size:           8
        .value_kind:     by_value
      - .offset:         160
        .size:           4
        .value_kind:     by_value
      - .offset:         164
        .size:           4
        .value_kind:     by_value
      - .offset:         168
        .size:           8
        .value_kind:     by_value
      - .offset:         176
        .size:           4
        .value_kind:     by_value
      - .offset:         180
        .size:           4
        .value_kind:     by_value
      - .offset:         184
        .size:           4
        .value_kind:     by_value
      - .offset:         188
        .size:           4
        .value_kind:     by_value
      - .offset:         192
        .size:           4
        .value_kind:     by_value
      - .offset:         200
        .size:           8
        .value_kind:     by_value
      - .offset:         208
        .size:           4
        .value_kind:     hidden_block_count_x
      - .offset:         212
        .size:           4
        .value_kind:     hidden_block_count_y
      - .offset:         216
        .size:           4
        .value_kind:     hidden_block_count_z
      - .offset:         220
        .size:           2
        .value_kind:     hidden_group_size_x
      - .offset:         222
        .size:           2
        .value_kind:     hidden_group_size_y
      - .offset:         224
        .size:           2
        .value_kind:     hidden_group_size_z
      - .offset:         226
        .size:           2
        .value_kind:     hidden_remainder_x
      - .offset:         228
        .size:           2
        .value_kind:     hidden_remainder_y
      - .offset:         230
        .size:           2
        .value_kind:     hidden_remainder_z
      - .offset:         248
        .size:           8
        .value_kind:     hidden_global_offset_x
      - .offset:         256
        .size:           8
        .value_kind:     hidden_global_offset_y
      - .offset:         264
        .size:           8
        .value_kind:     hidden_global_offset_z
      - .offset:         272
        .size:           2
        .value_kind:     hidden_grid_dims
    .group_segment_fixed_size: 17600
    .kernarg_segment_align: 8
    .kernarg_segment_size: 464
    .language:       OpenCL C
    .language_version:
      - 2
      - 0
    .max_flat_workgroup_size: 256
    .name:           _ZL15flash_attn_tileILi80ELi80ELi8ELi8ELb0EEvPKcS1_S1_S1_S1_PKiPfP15HIP_vector_typeIfLj2EEffffjfiS5_IjLj3EEiiiiiiiiiiiliiliiiiil
    .private_segment_fixed_size: 0
    .sgpr_count:     52
    .sgpr_spill_count: 0
    .symbol:         _ZL15flash_attn_tileILi80ELi80ELi8ELi8ELb0EEvPKcS1_S1_S1_S1_PKiPfP15HIP_vector_typeIfLj2EEffffjfiS5_IjLj3EEiiiiiiiiiiiliiliiiiil.kd
    .uniform_work_group_size: 1
    .uses_dynamic_stack: false
    .vgpr_count:     203
    .vgpr_spill_count: 0
    .wavefront_size: 32
    .workgroup_processor_mode: 1
  - .args:
      - .actual_access:  read_only
        .address_space:  global
        .offset:         0
        .size:           8
        .value_kind:     global_buffer
      - .actual_access:  write_only
        .address_space:  global
        .offset:         8
        .size:           8
        .value_kind:     global_buffer
      - .offset:         16
        .size:           4
        .value_kind:     by_value
      - .offset:         20
        .size:           4
        .value_kind:     by_value
      - .offset:         24
        .size:           4
        .value_kind:     by_value
      - .offset:         32
        .size:           4
        .value_kind:     hidden_block_count_x
      - .offset:         36
        .size:           4
        .value_kind:     hidden_block_count_y
      - .offset:         40
        .size:           4
        .value_kind:     hidden_block_count_z
      - .offset:         44
        .size:           2
        .value_kind:     hidden_group_size_x
      - .offset:         46
        .size:           2
        .value_kind:     hidden_group_size_y
      - .offset:         48
        .size:           2
        .value_kind:     hidden_group_size_z
      - .offset:         50
        .size:           2
        .value_kind:     hidden_remainder_x
      - .offset:         52
        .size:           2
        .value_kind:     hidden_remainder_y
      - .offset:         54
        .size:           2
        .value_kind:     hidden_remainder_z
      - .offset:         72
        .size:           8
        .value_kind:     hidden_global_offset_x
      - .offset:         80
        .size:           8
        .value_kind:     hidden_global_offset_y
      - .offset:         88
        .size:           8
        .value_kind:     hidden_global_offset_z
      - .offset:         96
        .size:           2
        .value_kind:     hidden_grid_dims
    .group_segment_fixed_size: 128
    .kernarg_segment_align: 8
    .kernarg_segment_size: 288
    .language:       OpenCL C
    .language_version:
      - 2
      - 0
    .max_flat_workgroup_size: 128
    .name:           _ZL25flash_attn_mask_to_KV_maxILi8EEvPK7__half2Piiii
    .private_segment_fixed_size: 0
    .sgpr_count:     29
    .sgpr_spill_count: 0
    .symbol:         _ZL25flash_attn_mask_to_KV_maxILi8EEvPK7__half2Piiii.kd
    .uniform_work_group_size: 1
    .uses_dynamic_stack: false
    .vgpr_count:     9
    .vgpr_spill_count: 0
    .wavefront_size: 32
    .workgroup_processor_mode: 1
  - .args:
      - .address_space:  global
        .offset:         0
        .size:           8
        .value_kind:     global_buffer
      - .address_space:  global
        .offset:         8
        .size:           8
        .value_kind:     global_buffer
      - .offset:         16
        .size:           4
        .value_kind:     by_value
      - .offset:         20
        .size:           4
        .value_kind:     by_value
      - .offset:         24
        .size:           4
        .value_kind:     by_value
      - .offset:         28
        .size:           4
        .value_kind:     by_value
      - .offset:         32
        .size:           4
        .value_kind:     by_value
      - .offset:         36
        .size:           4
        .value_kind:     by_value
      - .offset:         40
        .size:           12
        .value_kind:     by_value
      - .offset:         52
        .size:           12
        .value_kind:     by_value
      - .offset:         64
        .size:           12
        .value_kind:     by_value
    .group_segment_fixed_size: 0
    .kernarg_segment_align: 8
    .kernarg_segment_size: 76
    .language:       OpenCL C
    .language_version:
      - 2
      - 0
    .max_flat_workgroup_size: 80
    .name:           _ZL33flash_attn_stream_k_fixup_uniformILi80ELi8ELi8EEvPfPK15HIP_vector_typeIfLj2EEiiiiiiS1_IjLj3EES5_S5_
    .private_segment_fixed_size: 0
    .sgpr_count:     22
    .sgpr_spill_count: 0
    .symbol:         _ZL33flash_attn_stream_k_fixup_uniformILi80ELi8ELi8EEvPfPK15HIP_vector_typeIfLj2EEiiiiiiS1_IjLj3EES5_S5_.kd
    .uniform_work_group_size: 1
    .uses_dynamic_stack: false
    .vgpr_count:     15
    .vgpr_spill_count: 0
    .wavefront_size: 32
    .workgroup_processor_mode: 1
  - .args:
      - .address_space:  global
        .offset:         0
        .size:           8
        .value_kind:     global_buffer
      - .address_space:  global
        .offset:         8
        .size:           8
        .value_kind:     global_buffer
      - .offset:         16
        .size:           4
        .value_kind:     by_value
      - .offset:         20
        .size:           4
        .value_kind:     by_value
      - .offset:         24
        .size:           4
        .value_kind:     by_value
      - .offset:         28
        .size:           4
        .value_kind:     by_value
      - .offset:         32
        .size:           12
        .value_kind:     by_value
      - .offset:         44
        .size:           12
        .value_kind:     by_value
      - .offset:         56
        .size:           12
        .value_kind:     by_value
      - .offset:         68
        .size:           12
        .value_kind:     by_value
      - .offset:         80
        .size:           4
        .value_kind:     hidden_block_count_x
      - .offset:         84
        .size:           4
        .value_kind:     hidden_block_count_y
      - .offset:         88
        .size:           4
        .value_kind:     hidden_block_count_z
      - .offset:         92
        .size:           2
        .value_kind:     hidden_group_size_x
      - .offset:         94
        .size:           2
        .value_kind:     hidden_group_size_y
      - .offset:         96
        .size:           2
        .value_kind:     hidden_group_size_z
      - .offset:         98
        .size:           2
        .value_kind:     hidden_remainder_x
      - .offset:         100
        .size:           2
        .value_kind:     hidden_remainder_y
      - .offset:         102
        .size:           2
        .value_kind:     hidden_remainder_z
      - .offset:         120
        .size:           8
        .value_kind:     hidden_global_offset_x
      - .offset:         128
        .size:           8
        .value_kind:     hidden_global_offset_y
      - .offset:         136
        .size:           8
        .value_kind:     hidden_global_offset_z
      - .offset:         144
        .size:           2
        .value_kind:     hidden_grid_dims
    .group_segment_fixed_size: 0
    .kernarg_segment_align: 8
    .kernarg_segment_size: 336
    .language:       OpenCL C
    .language_version:
      - 2
      - 0
    .max_flat_workgroup_size: 80
    .name:           _ZL33flash_attn_stream_k_fixup_generalILi80ELi8ELi8EEvPfPK15HIP_vector_typeIfLj2EEiiiiS1_IjLj3EES5_S5_S5_
    .private_segment_fixed_size: 0
    .sgpr_count:     34
    .sgpr_spill_count: 0
    .symbol:         _ZL33flash_attn_stream_k_fixup_generalILi80ELi8ELi8EEvPfPK15HIP_vector_typeIfLj2EEiiiiS1_IjLj3EES5_S5_S5_.kd
    .uniform_work_group_size: 1
    .uses_dynamic_stack: false
    .vgpr_count:     19
    .vgpr_spill_count: 0
    .wavefront_size: 32
    .workgroup_processor_mode: 1
  - .args:
      - .address_space:  global
        .offset:         0
        .size:           8
        .value_kind:     global_buffer
      - .address_space:  global
        .offset:         8
        .size:           8
        .value_kind:     global_buffer
      - .address_space:  global
        .offset:         16
        .size:           8
        .value_kind:     global_buffer
      - .offset:         24
        .size:           4
        .value_kind:     by_value
      - .offset:         32
        .size:           4
        .value_kind:     hidden_block_count_x
      - .offset:         36
        .size:           4
        .value_kind:     hidden_block_count_y
      - .offset:         40
        .size:           4
        .value_kind:     hidden_block_count_z
      - .offset:         44
        .size:           2
        .value_kind:     hidden_group_size_x
      - .offset:         46
        .size:           2
        .value_kind:     hidden_group_size_y
      - .offset:         48
        .size:           2
        .value_kind:     hidden_group_size_z
      - .offset:         50
        .size:           2
        .value_kind:     hidden_remainder_x
      - .offset:         52
        .size:           2
        .value_kind:     hidden_remainder_y
      - .offset:         54
        .size:           2
        .value_kind:     hidden_remainder_z
      - .offset:         72
        .size:           8
        .value_kind:     hidden_global_offset_x
      - .offset:         80
        .size:           8
        .value_kind:     hidden_global_offset_y
      - .offset:         88
        .size:           8
        .value_kind:     hidden_global_offset_z
      - .offset:         96
        .size:           2
        .value_kind:     hidden_grid_dims
      - .offset:         152
        .size:           4
        .value_kind:     hidden_dynamic_lds_size
    .group_segment_fixed_size: 0
    .kernarg_segment_align: 8
    .kernarg_segment_size: 288
    .language:       OpenCL C
    .language_version:
      - 2
      - 0
    .max_flat_workgroup_size: 80
    .name:           _ZL26flash_attn_combine_resultsILi80EEvPKfPK15HIP_vector_typeIfLj2EEPfi
    .private_segment_fixed_size: 0
    .sgpr_count:     22
    .sgpr_spill_count: 0
    .symbol:         _ZL26flash_attn_combine_resultsILi80EEvPKfPK15HIP_vector_typeIfLj2EEPfi.kd
    .uniform_work_group_size: 1
    .uses_dynamic_stack: false
    .vgpr_count:     57
    .vgpr_spill_count: 0
    .wavefront_size: 32
    .workgroup_processor_mode: 1
  - .args:
      - .address_space:  global
        .offset:         0
        .size:           8
        .value_kind:     global_buffer
      - .address_space:  global
        .offset:         8
        .size:           8
        .value_kind:     global_buffer
      - .address_space:  global
        .offset:         16
        .size:           8
        .value_kind:     global_buffer
      - .address_space:  global
        .offset:         24
        .size:           8
        .value_kind:     global_buffer
      - .address_space:  global
        .offset:         32
        .size:           8
        .value_kind:     global_buffer
      - .address_space:  global
        .offset:         40
        .size:           8
        .value_kind:     global_buffer
      - .address_space:  global
        .offset:         48
        .size:           8
        .value_kind:     global_buffer
      - .address_space:  global
        .offset:         56
        .size:           8
        .value_kind:     global_buffer
      - .offset:         64
        .size:           4
        .value_kind:     by_value
      - .offset:         68
        .size:           4
        .value_kind:     by_value
      - .offset:         72
        .size:           4
        .value_kind:     by_value
      - .offset:         76
        .size:           4
        .value_kind:     by_value
      - .offset:         80
        .size:           4
        .value_kind:     by_value
      - .offset:         84
        .size:           4
        .value_kind:     by_value
      - .offset:         88
        .size:           4
        .value_kind:     by_value
      - .offset:         92
        .size:           12
        .value_kind:     by_value
      - .offset:         104
        .size:           4
        .value_kind:     by_value
      - .offset:         108
        .size:           4
        .value_kind:     by_value
      - .offset:         112
        .size:           4
        .value_kind:     by_value
      - .offset:         116
        .size:           4
        .value_kind:     by_value
      - .offset:         120
        .size:           4
        .value_kind:     by_value
      - .offset:         124
        .size:           4
        .value_kind:     by_value
      - .offset:         128
        .size:           4
        .value_kind:     by_value
      - .offset:         132
        .size:           4
        .value_kind:     by_value
      - .offset:         136
        .size:           4
        .value_kind:     by_value
      - .offset:         140
        .size:           4
        .value_kind:     by_value
      - .offset:         144
        .size:           4
        .value_kind:     by_value
      - .offset:         152
        .size:           8
        .value_kind:     by_value
      - .offset:         160
        .size:           4
        .value_kind:     by_value
      - .offset:         164
        .size:           4
        .value_kind:     by_value
      - .offset:         168
        .size:           8
        .value_kind:     by_value
      - .offset:         176
        .size:           4
        .value_kind:     by_value
      - .offset:         180
        .size:           4
        .value_kind:     by_value
      - .offset:         184
        .size:           4
        .value_kind:     by_value
      - .offset:         188
        .size:           4
        .value_kind:     by_value
      - .offset:         192
        .size:           4
        .value_kind:     by_value
      - .offset:         200
        .size:           8
        .value_kind:     by_value
      - .offset:         208
        .size:           4
        .value_kind:     hidden_block_count_x
      - .offset:         212
        .size:           4
        .value_kind:     hidden_block_count_y
      - .offset:         216
        .size:           4
        .value_kind:     hidden_block_count_z
      - .offset:         220
        .size:           2
        .value_kind:     hidden_group_size_x
      - .offset:         222
        .size:           2
        .value_kind:     hidden_group_size_y
      - .offset:         224
        .size:           2
        .value_kind:     hidden_group_size_z
      - .offset:         226
        .size:           2
        .value_kind:     hidden_remainder_x
      - .offset:         228
        .size:           2
        .value_kind:     hidden_remainder_y
      - .offset:         230
        .size:           2
        .value_kind:     hidden_remainder_z
      - .offset:         248
        .size:           8
        .value_kind:     hidden_global_offset_x
      - .offset:         256
        .size:           8
        .value_kind:     hidden_global_offset_y
      - .offset:         264
        .size:           8
        .value_kind:     hidden_global_offset_z
      - .offset:         272
        .size:           2
        .value_kind:     hidden_grid_dims
    .group_segment_fixed_size: 10432
    .kernarg_segment_align: 8
    .kernarg_segment_size: 464
    .language:       OpenCL C
    .language_version:
      - 2
      - 0
    .max_flat_workgroup_size: 256
    .name:           _ZL15flash_attn_tileILi80ELi80ELi4ELi8ELb0EEvPKcS1_S1_S1_S1_PKiPfP15HIP_vector_typeIfLj2EEffffjfiS5_IjLj3EEiiiiiiiiiiiliiliiiiil
    .private_segment_fixed_size: 0
    .sgpr_count:     44
    .sgpr_spill_count: 0
    .symbol:         _ZL15flash_attn_tileILi80ELi80ELi4ELi8ELb0EEvPKcS1_S1_S1_S1_PKiPfP15HIP_vector_typeIfLj2EEffffjfiS5_IjLj3EEiiiiiiiiiiiliiliiiiil.kd
    .uniform_work_group_size: 1
    .uses_dynamic_stack: false
    .vgpr_count:     132
    .vgpr_spill_count: 0
    .wavefront_size: 32
    .workgroup_processor_mode: 1
  - .args:
      - .actual_access:  read_only
        .address_space:  global
        .offset:         0
        .size:           8
        .value_kind:     global_buffer
      - .actual_access:  write_only
        .address_space:  global
        .offset:         8
        .size:           8
        .value_kind:     global_buffer
      - .offset:         16
        .size:           4
        .value_kind:     by_value
      - .offset:         20
        .size:           4
        .value_kind:     by_value
      - .offset:         24
        .size:           4
        .value_kind:     by_value
      - .offset:         32
        .size:           4
        .value_kind:     hidden_block_count_x
      - .offset:         36
        .size:           4
        .value_kind:     hidden_block_count_y
      - .offset:         40
        .size:           4
        .value_kind:     hidden_block_count_z
      - .offset:         44
        .size:           2
        .value_kind:     hidden_group_size_x
      - .offset:         46
        .size:           2
        .value_kind:     hidden_group_size_y
      - .offset:         48
        .size:           2
        .value_kind:     hidden_group_size_z
      - .offset:         50
        .size:           2
        .value_kind:     hidden_remainder_x
      - .offset:         52
        .size:           2
        .value_kind:     hidden_remainder_y
      - .offset:         54
        .size:           2
        .value_kind:     hidden_remainder_z
      - .offset:         72
        .size:           8
        .value_kind:     hidden_global_offset_x
      - .offset:         80
        .size:           8
        .value_kind:     hidden_global_offset_y
      - .offset:         88
        .size:           8
        .value_kind:     hidden_global_offset_z
      - .offset:         96
        .size:           2
        .value_kind:     hidden_grid_dims
    .group_segment_fixed_size: 128
    .kernarg_segment_align: 8
    .kernarg_segment_size: 288
    .language:       OpenCL C
    .language_version:
      - 2
      - 0
    .max_flat_workgroup_size: 128
    .name:           _ZL25flash_attn_mask_to_KV_maxILi4EEvPK7__half2Piiii
    .private_segment_fixed_size: 0
    .sgpr_count:     21
    .sgpr_spill_count: 0
    .symbol:         _ZL25flash_attn_mask_to_KV_maxILi4EEvPK7__half2Piiii.kd
    .uniform_work_group_size: 1
    .uses_dynamic_stack: false
    .vgpr_count:     9
    .vgpr_spill_count: 0
    .wavefront_size: 32
    .workgroup_processor_mode: 1
  - .args:
      - .address_space:  global
        .offset:         0
        .size:           8
        .value_kind:     global_buffer
      - .address_space:  global
        .offset:         8
        .size:           8
        .value_kind:     global_buffer
      - .offset:         16
        .size:           4
        .value_kind:     by_value
      - .offset:         20
        .size:           4
        .value_kind:     by_value
      - .offset:         24
        .size:           4
        .value_kind:     by_value
      - .offset:         28
        .size:           4
        .value_kind:     by_value
      - .offset:         32
        .size:           4
        .value_kind:     by_value
      - .offset:         36
        .size:           4
        .value_kind:     by_value
      - .offset:         40
        .size:           12
        .value_kind:     by_value
      - .offset:         52
        .size:           12
        .value_kind:     by_value
      - .offset:         64
        .size:           12
        .value_kind:     by_value
    .group_segment_fixed_size: 0
    .kernarg_segment_align: 8
    .kernarg_segment_size: 76
    .language:       OpenCL C
    .language_version:
      - 2
      - 0
    .max_flat_workgroup_size: 80
    .name:           _ZL33flash_attn_stream_k_fixup_uniformILi80ELi4ELi8EEvPfPK15HIP_vector_typeIfLj2EEiiiiiiS1_IjLj3EES5_S5_
    .private_segment_fixed_size: 0
    .sgpr_count:     22
    .sgpr_spill_count: 0
    .symbol:         _ZL33flash_attn_stream_k_fixup_uniformILi80ELi4ELi8EEvPfPK15HIP_vector_typeIfLj2EEiiiiiiS1_IjLj3EES5_S5_.kd
    .uniform_work_group_size: 1
    .uses_dynamic_stack: false
    .vgpr_count:     15
    .vgpr_spill_count: 0
    .wavefront_size: 32
    .workgroup_processor_mode: 1
  - .args:
      - .address_space:  global
        .offset:         0
        .size:           8
        .value_kind:     global_buffer
      - .address_space:  global
        .offset:         8
        .size:           8
        .value_kind:     global_buffer
      - .offset:         16
        .size:           4
        .value_kind:     by_value
      - .offset:         20
        .size:           4
        .value_kind:     by_value
      - .offset:         24
        .size:           4
        .value_kind:     by_value
      - .offset:         28
        .size:           4
        .value_kind:     by_value
      - .offset:         32
        .size:           12
        .value_kind:     by_value
      - .offset:         44
        .size:           12
        .value_kind:     by_value
      - .offset:         56
        .size:           12
        .value_kind:     by_value
      - .offset:         68
        .size:           12
        .value_kind:     by_value
      - .offset:         80
        .size:           4
        .value_kind:     hidden_block_count_x
      - .offset:         84
        .size:           4
        .value_kind:     hidden_block_count_y
      - .offset:         88
        .size:           4
        .value_kind:     hidden_block_count_z
      - .offset:         92
        .size:           2
        .value_kind:     hidden_group_size_x
      - .offset:         94
        .size:           2
        .value_kind:     hidden_group_size_y
      - .offset:         96
        .size:           2
        .value_kind:     hidden_group_size_z
      - .offset:         98
        .size:           2
        .value_kind:     hidden_remainder_x
      - .offset:         100
        .size:           2
        .value_kind:     hidden_remainder_y
      - .offset:         102
        .size:           2
        .value_kind:     hidden_remainder_z
      - .offset:         120
        .size:           8
        .value_kind:     hidden_global_offset_x
      - .offset:         128
        .size:           8
        .value_kind:     hidden_global_offset_y
      - .offset:         136
        .size:           8
        .value_kind:     hidden_global_offset_z
      - .offset:         144
        .size:           2
        .value_kind:     hidden_grid_dims
    .group_segment_fixed_size: 0
    .kernarg_segment_align: 8
    .kernarg_segment_size: 336
    .language:       OpenCL C
    .language_version:
      - 2
      - 0
    .max_flat_workgroup_size: 80
    .name:           _ZL33flash_attn_stream_k_fixup_generalILi80ELi4ELi8EEvPfPK15HIP_vector_typeIfLj2EEiiiiS1_IjLj3EES5_S5_S5_
    .private_segment_fixed_size: 0
    .sgpr_count:     34
    .sgpr_spill_count: 0
    .symbol:         _ZL33flash_attn_stream_k_fixup_generalILi80ELi4ELi8EEvPfPK15HIP_vector_typeIfLj2EEiiiiS1_IjLj3EES5_S5_S5_.kd
    .uniform_work_group_size: 1
    .uses_dynamic_stack: false
    .vgpr_count:     19
    .vgpr_spill_count: 0
    .wavefront_size: 32
    .workgroup_processor_mode: 1
  - .args:
      - .address_space:  global
        .offset:         0
        .size:           8
        .value_kind:     global_buffer
      - .address_space:  global
        .offset:         8
        .size:           8
        .value_kind:     global_buffer
      - .address_space:  global
        .offset:         16
        .size:           8
        .value_kind:     global_buffer
      - .address_space:  global
        .offset:         24
        .size:           8
        .value_kind:     global_buffer
      - .address_space:  global
        .offset:         32
        .size:           8
        .value_kind:     global_buffer
      - .address_space:  global
        .offset:         40
        .size:           8
        .value_kind:     global_buffer
      - .address_space:  global
        .offset:         48
        .size:           8
        .value_kind:     global_buffer
      - .address_space:  global
        .offset:         56
        .size:           8
        .value_kind:     global_buffer
      - .offset:         64
        .size:           4
        .value_kind:     by_value
      - .offset:         68
        .size:           4
        .value_kind:     by_value
      - .offset:         72
        .size:           4
        .value_kind:     by_value
      - .offset:         76
        .size:           4
        .value_kind:     by_value
      - .offset:         80
        .size:           4
        .value_kind:     by_value
      - .offset:         84
        .size:           4
        .value_kind:     by_value
      - .offset:         88
        .size:           4
        .value_kind:     by_value
      - .offset:         92
        .size:           12
        .value_kind:     by_value
      - .offset:         104
        .size:           4
        .value_kind:     by_value
      - .offset:         108
        .size:           4
        .value_kind:     by_value
      - .offset:         112
        .size:           4
        .value_kind:     by_value
      - .offset:         116
        .size:           4
        .value_kind:     by_value
      - .offset:         120
        .size:           4
        .value_kind:     by_value
      - .offset:         124
        .size:           4
        .value_kind:     by_value
      - .offset:         128
        .size:           4
        .value_kind:     by_value
      - .offset:         132
        .size:           4
        .value_kind:     by_value
      - .offset:         136
        .size:           4
        .value_kind:     by_value
      - .offset:         140
        .size:           4
        .value_kind:     by_value
      - .offset:         144
        .size:           4
        .value_kind:     by_value
      - .offset:         152
        .size:           8
        .value_kind:     by_value
      - .offset:         160
        .size:           4
        .value_kind:     by_value
      - .offset:         164
        .size:           4
        .value_kind:     by_value
      - .offset:         168
        .size:           8
        .value_kind:     by_value
      - .offset:         176
        .size:           4
        .value_kind:     by_value
      - .offset:         180
        .size:           4
        .value_kind:     by_value
      - .offset:         184
        .size:           4
        .value_kind:     by_value
      - .offset:         188
        .size:           4
        .value_kind:     by_value
      - .offset:         192
        .size:           4
        .value_kind:     by_value
      - .offset:         200
        .size:           8
        .value_kind:     by_value
      - .offset:         208
        .size:           4
        .value_kind:     hidden_block_count_x
      - .offset:         212
        .size:           4
        .value_kind:     hidden_block_count_y
      - .offset:         216
        .size:           4
        .value_kind:     hidden_block_count_z
      - .offset:         220
        .size:           2
        .value_kind:     hidden_group_size_x
      - .offset:         222
        .size:           2
        .value_kind:     hidden_group_size_y
      - .offset:         224
        .size:           2
        .value_kind:     hidden_group_size_z
      - .offset:         226
        .size:           2
        .value_kind:     hidden_remainder_x
      - .offset:         228
        .size:           2
        .value_kind:     hidden_remainder_y
      - .offset:         230
        .size:           2
        .value_kind:     hidden_remainder_z
      - .offset:         248
        .size:           8
        .value_kind:     hidden_global_offset_x
      - .offset:         256
        .size:           8
        .value_kind:     hidden_global_offset_y
      - .offset:         264
        .size:           8
        .value_kind:     hidden_global_offset_z
      - .offset:         272
        .size:           2
        .value_kind:     hidden_grid_dims
    .group_segment_fixed_size: 6848
    .kernarg_segment_align: 8
    .kernarg_segment_size: 464
    .language:       OpenCL C
    .language_version:
      - 2
      - 0
    .max_flat_workgroup_size: 256
    .name:           _ZL15flash_attn_tileILi80ELi80ELi2ELi8ELb0EEvPKcS1_S1_S1_S1_PKiPfP15HIP_vector_typeIfLj2EEffffjfiS5_IjLj3EEiiiiiiiiiiiliiliiiiil
    .private_segment_fixed_size: 0
    .sgpr_count:     44
    .sgpr_spill_count: 0
    .symbol:         _ZL15flash_attn_tileILi80ELi80ELi2ELi8ELb0EEvPKcS1_S1_S1_S1_PKiPfP15HIP_vector_typeIfLj2EEffffjfiS5_IjLj3EEiiiiiiiiiiiliiliiiiil.kd
    .uniform_work_group_size: 1
    .uses_dynamic_stack: false
    .vgpr_count:     100
    .vgpr_spill_count: 0
    .wavefront_size: 32
    .workgroup_processor_mode: 1
  - .args:
      - .actual_access:  read_only
        .address_space:  global
        .offset:         0
        .size:           8
        .value_kind:     global_buffer
      - .actual_access:  write_only
        .address_space:  global
        .offset:         8
        .size:           8
        .value_kind:     global_buffer
      - .offset:         16
        .size:           4
        .value_kind:     by_value
      - .offset:         20
        .size:           4
        .value_kind:     by_value
      - .offset:         24
        .size:           4
        .value_kind:     by_value
      - .offset:         32
        .size:           4
        .value_kind:     hidden_block_count_x
      - .offset:         36
        .size:           4
        .value_kind:     hidden_block_count_y
      - .offset:         40
        .size:           4
        .value_kind:     hidden_block_count_z
      - .offset:         44
        .size:           2
        .value_kind:     hidden_group_size_x
      - .offset:         46
        .size:           2
        .value_kind:     hidden_group_size_y
      - .offset:         48
        .size:           2
        .value_kind:     hidden_group_size_z
      - .offset:         50
        .size:           2
        .value_kind:     hidden_remainder_x
      - .offset:         52
        .size:           2
        .value_kind:     hidden_remainder_y
      - .offset:         54
        .size:           2
        .value_kind:     hidden_remainder_z
      - .offset:         72
        .size:           8
        .value_kind:     hidden_global_offset_x
      - .offset:         80
        .size:           8
        .value_kind:     hidden_global_offset_y
      - .offset:         88
        .size:           8
        .value_kind:     hidden_global_offset_z
      - .offset:         96
        .size:           2
        .value_kind:     hidden_grid_dims
    .group_segment_fixed_size: 128
    .kernarg_segment_align: 8
    .kernarg_segment_size: 288
    .language:       OpenCL C
    .language_version:
      - 2
      - 0
    .max_flat_workgroup_size: 128
    .name:           _ZL25flash_attn_mask_to_KV_maxILi2EEvPK7__half2Piiii
    .private_segment_fixed_size: 0
    .sgpr_count:     18
    .sgpr_spill_count: 0
    .symbol:         _ZL25flash_attn_mask_to_KV_maxILi2EEvPK7__half2Piiii.kd
    .uniform_work_group_size: 1
    .uses_dynamic_stack: false
    .vgpr_count:     7
    .vgpr_spill_count: 0
    .wavefront_size: 32
    .workgroup_processor_mode: 1
  - .args:
      - .address_space:  global
        .offset:         0
        .size:           8
        .value_kind:     global_buffer
      - .address_space:  global
        .offset:         8
        .size:           8
        .value_kind:     global_buffer
      - .offset:         16
        .size:           4
        .value_kind:     by_value
      - .offset:         20
        .size:           4
        .value_kind:     by_value
      - .offset:         24
        .size:           4
        .value_kind:     by_value
      - .offset:         28
        .size:           4
        .value_kind:     by_value
      - .offset:         32
        .size:           4
        .value_kind:     by_value
      - .offset:         36
        .size:           4
        .value_kind:     by_value
      - .offset:         40
        .size:           12
        .value_kind:     by_value
      - .offset:         52
        .size:           12
        .value_kind:     by_value
      - .offset:         64
        .size:           12
        .value_kind:     by_value
    .group_segment_fixed_size: 0
    .kernarg_segment_align: 8
    .kernarg_segment_size: 76
    .language:       OpenCL C
    .language_version:
      - 2
      - 0
    .max_flat_workgroup_size: 80
    .name:           _ZL33flash_attn_stream_k_fixup_uniformILi80ELi2ELi8EEvPfPK15HIP_vector_typeIfLj2EEiiiiiiS1_IjLj3EES5_S5_
    .private_segment_fixed_size: 0
    .sgpr_count:     22
    .sgpr_spill_count: 0
    .symbol:         _ZL33flash_attn_stream_k_fixup_uniformILi80ELi2ELi8EEvPfPK15HIP_vector_typeIfLj2EEiiiiiiS1_IjLj3EES5_S5_.kd
    .uniform_work_group_size: 1
    .uses_dynamic_stack: false
    .vgpr_count:     15
    .vgpr_spill_count: 0
    .wavefront_size: 32
    .workgroup_processor_mode: 1
  - .args:
      - .address_space:  global
        .offset:         0
        .size:           8
        .value_kind:     global_buffer
      - .address_space:  global
        .offset:         8
        .size:           8
        .value_kind:     global_buffer
      - .offset:         16
        .size:           4
        .value_kind:     by_value
      - .offset:         20
        .size:           4
        .value_kind:     by_value
      - .offset:         24
        .size:           4
        .value_kind:     by_value
      - .offset:         28
        .size:           4
        .value_kind:     by_value
      - .offset:         32
        .size:           12
        .value_kind:     by_value
      - .offset:         44
        .size:           12
        .value_kind:     by_value
      - .offset:         56
        .size:           12
        .value_kind:     by_value
      - .offset:         68
        .size:           12
        .value_kind:     by_value
      - .offset:         80
        .size:           4
        .value_kind:     hidden_block_count_x
      - .offset:         84
        .size:           4
        .value_kind:     hidden_block_count_y
      - .offset:         88
        .size:           4
        .value_kind:     hidden_block_count_z
      - .offset:         92
        .size:           2
        .value_kind:     hidden_group_size_x
      - .offset:         94
        .size:           2
        .value_kind:     hidden_group_size_y
      - .offset:         96
        .size:           2
        .value_kind:     hidden_group_size_z
      - .offset:         98
        .size:           2
        .value_kind:     hidden_remainder_x
      - .offset:         100
        .size:           2
        .value_kind:     hidden_remainder_y
      - .offset:         102
        .size:           2
        .value_kind:     hidden_remainder_z
      - .offset:         120
        .size:           8
        .value_kind:     hidden_global_offset_x
      - .offset:         128
        .size:           8
        .value_kind:     hidden_global_offset_y
      - .offset:         136
        .size:           8
        .value_kind:     hidden_global_offset_z
      - .offset:         144
        .size:           2
        .value_kind:     hidden_grid_dims
    .group_segment_fixed_size: 0
    .kernarg_segment_align: 8
    .kernarg_segment_size: 336
    .language:       OpenCL C
    .language_version:
      - 2
      - 0
    .max_flat_workgroup_size: 80
    .name:           _ZL33flash_attn_stream_k_fixup_generalILi80ELi2ELi8EEvPfPK15HIP_vector_typeIfLj2EEiiiiS1_IjLj3EES5_S5_S5_
    .private_segment_fixed_size: 0
    .sgpr_count:     34
    .sgpr_spill_count: 0
    .symbol:         _ZL33flash_attn_stream_k_fixup_generalILi80ELi2ELi8EEvPfPK15HIP_vector_typeIfLj2EEiiiiS1_IjLj3EES5_S5_S5_.kd
    .uniform_work_group_size: 1
    .uses_dynamic_stack: false
    .vgpr_count:     19
    .vgpr_spill_count: 0
    .wavefront_size: 32
    .workgroup_processor_mode: 1
  - .args:
      - .address_space:  global
        .offset:         0
        .size:           8
        .value_kind:     global_buffer
      - .address_space:  global
        .offset:         8
        .size:           8
        .value_kind:     global_buffer
      - .address_space:  global
        .offset:         16
        .size:           8
        .value_kind:     global_buffer
      - .address_space:  global
        .offset:         24
        .size:           8
        .value_kind:     global_buffer
      - .address_space:  global
        .offset:         32
        .size:           8
        .value_kind:     global_buffer
      - .address_space:  global
        .offset:         40
        .size:           8
        .value_kind:     global_buffer
      - .address_space:  global
        .offset:         48
        .size:           8
        .value_kind:     global_buffer
      - .address_space:  global
        .offset:         56
        .size:           8
        .value_kind:     global_buffer
      - .offset:         64
        .size:           4
        .value_kind:     by_value
      - .offset:         68
        .size:           4
        .value_kind:     by_value
      - .offset:         72
        .size:           4
        .value_kind:     by_value
      - .offset:         76
        .size:           4
        .value_kind:     by_value
      - .offset:         80
        .size:           4
        .value_kind:     by_value
      - .offset:         84
        .size:           4
        .value_kind:     by_value
      - .offset:         88
        .size:           4
        .value_kind:     by_value
      - .offset:         92
        .size:           12
        .value_kind:     by_value
      - .offset:         104
        .size:           4
        .value_kind:     by_value
      - .offset:         108
        .size:           4
        .value_kind:     by_value
      - .offset:         112
        .size:           4
        .value_kind:     by_value
      - .offset:         116
        .size:           4
        .value_kind:     by_value
      - .offset:         120
        .size:           4
        .value_kind:     by_value
      - .offset:         124
        .size:           4
        .value_kind:     by_value
      - .offset:         128
        .size:           4
        .value_kind:     by_value
      - .offset:         132
        .size:           4
        .value_kind:     by_value
      - .offset:         136
        .size:           4
        .value_kind:     by_value
      - .offset:         140
        .size:           4
        .value_kind:     by_value
      - .offset:         144
        .size:           4
        .value_kind:     by_value
      - .offset:         152
        .size:           8
        .value_kind:     by_value
      - .offset:         160
        .size:           4
        .value_kind:     by_value
      - .offset:         164
        .size:           4
        .value_kind:     by_value
      - .offset:         168
        .size:           8
        .value_kind:     by_value
      - .offset:         176
        .size:           4
        .value_kind:     by_value
      - .offset:         180
        .size:           4
        .value_kind:     by_value
      - .offset:         184
        .size:           4
        .value_kind:     by_value
      - .offset:         188
        .size:           4
        .value_kind:     by_value
      - .offset:         192
        .size:           4
        .value_kind:     by_value
      - .offset:         200
        .size:           8
        .value_kind:     by_value
      - .offset:         208
        .size:           4
        .value_kind:     hidden_block_count_x
      - .offset:         212
        .size:           4
        .value_kind:     hidden_block_count_y
      - .offset:         216
        .size:           4
        .value_kind:     hidden_block_count_z
      - .offset:         220
        .size:           2
        .value_kind:     hidden_group_size_x
      - .offset:         222
        .size:           2
        .value_kind:     hidden_group_size_y
      - .offset:         224
        .size:           2
        .value_kind:     hidden_group_size_z
      - .offset:         226
        .size:           2
        .value_kind:     hidden_remainder_x
      - .offset:         228
        .size:           2
        .value_kind:     hidden_remainder_y
      - .offset:         230
        .size:           2
        .value_kind:     hidden_remainder_z
      - .offset:         248
        .size:           8
        .value_kind:     hidden_global_offset_x
      - .offset:         256
        .size:           8
        .value_kind:     hidden_global_offset_y
      - .offset:         264
        .size:           8
        .value_kind:     hidden_global_offset_z
      - .offset:         272
        .size:           2
        .value_kind:     hidden_grid_dims
    .group_segment_fixed_size: 5056
    .kernarg_segment_align: 8
    .kernarg_segment_size: 464
    .language:       OpenCL C
    .language_version:
      - 2
      - 0
    .max_flat_workgroup_size: 256
    .name:           _ZL15flash_attn_tileILi80ELi80ELi1ELi8ELb0EEvPKcS1_S1_S1_S1_PKiPfP15HIP_vector_typeIfLj2EEffffjfiS5_IjLj3EEiiiiiiiiiiiliiliiiiil
    .private_segment_fixed_size: 0
    .sgpr_count:     46
    .sgpr_spill_count: 0
    .symbol:         _ZL15flash_attn_tileILi80ELi80ELi1ELi8ELb0EEvPKcS1_S1_S1_S1_PKiPfP15HIP_vector_typeIfLj2EEffffjfiS5_IjLj3EEiiiiiiiiiiiliiliiiiil.kd
    .uniform_work_group_size: 1
    .uses_dynamic_stack: false
    .vgpr_count:     85
    .vgpr_spill_count: 0
    .wavefront_size: 32
    .workgroup_processor_mode: 1
  - .args:
      - .actual_access:  read_only
        .address_space:  global
        .offset:         0
        .size:           8
        .value_kind:     global_buffer
      - .actual_access:  write_only
        .address_space:  global
        .offset:         8
        .size:           8
        .value_kind:     global_buffer
      - .offset:         16
        .size:           4
        .value_kind:     by_value
      - .offset:         20
        .size:           4
        .value_kind:     by_value
      - .offset:         24
        .size:           4
        .value_kind:     by_value
      - .offset:         32
        .size:           4
        .value_kind:     hidden_block_count_x
      - .offset:         36
        .size:           4
        .value_kind:     hidden_block_count_y
      - .offset:         40
        .size:           4
        .value_kind:     hidden_block_count_z
      - .offset:         44
        .size:           2
        .value_kind:     hidden_group_size_x
      - .offset:         46
        .size:           2
        .value_kind:     hidden_group_size_y
      - .offset:         48
        .size:           2
        .value_kind:     hidden_group_size_z
      - .offset:         50
        .size:           2
        .value_kind:     hidden_remainder_x
      - .offset:         52
        .size:           2
        .value_kind:     hidden_remainder_y
      - .offset:         54
        .size:           2
        .value_kind:     hidden_remainder_z
      - .offset:         72
        .size:           8
        .value_kind:     hidden_global_offset_x
      - .offset:         80
        .size:           8
        .value_kind:     hidden_global_offset_y
      - .offset:         88
        .size:           8
        .value_kind:     hidden_global_offset_z
      - .offset:         96
        .size:           2
        .value_kind:     hidden_grid_dims
    .group_segment_fixed_size: 128
    .kernarg_segment_align: 8
    .kernarg_segment_size: 288
    .language:       OpenCL C
    .language_version:
      - 2
      - 0
    .max_flat_workgroup_size: 128
    .name:           _ZL25flash_attn_mask_to_KV_maxILi1EEvPK7__half2Piiii
    .private_segment_fixed_size: 0
    .sgpr_count:     18
    .sgpr_spill_count: 0
    .symbol:         _ZL25flash_attn_mask_to_KV_maxILi1EEvPK7__half2Piiii.kd
    .uniform_work_group_size: 1
    .uses_dynamic_stack: false
    .vgpr_count:     7
    .vgpr_spill_count: 0
    .wavefront_size: 32
    .workgroup_processor_mode: 1
  - .args:
      - .address_space:  global
        .offset:         0
        .size:           8
        .value_kind:     global_buffer
      - .address_space:  global
        .offset:         8
        .size:           8
        .value_kind:     global_buffer
      - .offset:         16
        .size:           4
        .value_kind:     by_value
      - .offset:         20
        .size:           4
        .value_kind:     by_value
      - .offset:         24
        .size:           4
        .value_kind:     by_value
      - .offset:         28
        .size:           4
        .value_kind:     by_value
      - .offset:         32
        .size:           4
        .value_kind:     by_value
      - .offset:         36
        .size:           4
        .value_kind:     by_value
      - .offset:         40
        .size:           12
        .value_kind:     by_value
      - .offset:         52
        .size:           12
        .value_kind:     by_value
      - .offset:         64
        .size:           12
        .value_kind:     by_value
    .group_segment_fixed_size: 0
    .kernarg_segment_align: 8
    .kernarg_segment_size: 76
    .language:       OpenCL C
    .language_version:
      - 2
      - 0
    .max_flat_workgroup_size: 80
    .name:           _ZL33flash_attn_stream_k_fixup_uniformILi80ELi1ELi8EEvPfPK15HIP_vector_typeIfLj2EEiiiiiiS1_IjLj3EES5_S5_
    .private_segment_fixed_size: 0
    .sgpr_count:     22
    .sgpr_spill_count: 0
    .symbol:         _ZL33flash_attn_stream_k_fixup_uniformILi80ELi1ELi8EEvPfPK15HIP_vector_typeIfLj2EEiiiiiiS1_IjLj3EES5_S5_.kd
    .uniform_work_group_size: 1
    .uses_dynamic_stack: false
    .vgpr_count:     15
    .vgpr_spill_count: 0
    .wavefront_size: 32
    .workgroup_processor_mode: 1
  - .args:
      - .address_space:  global
        .offset:         0
        .size:           8
        .value_kind:     global_buffer
      - .address_space:  global
        .offset:         8
        .size:           8
        .value_kind:     global_buffer
      - .offset:         16
        .size:           4
        .value_kind:     by_value
      - .offset:         20
        .size:           4
        .value_kind:     by_value
      - .offset:         24
        .size:           4
        .value_kind:     by_value
      - .offset:         28
        .size:           4
        .value_kind:     by_value
      - .offset:         32
        .size:           12
        .value_kind:     by_value
      - .offset:         44
        .size:           12
        .value_kind:     by_value
      - .offset:         56
        .size:           12
        .value_kind:     by_value
      - .offset:         68
        .size:           12
        .value_kind:     by_value
      - .offset:         80
        .size:           4
        .value_kind:     hidden_block_count_x
      - .offset:         84
        .size:           4
        .value_kind:     hidden_block_count_y
      - .offset:         88
        .size:           4
        .value_kind:     hidden_block_count_z
      - .offset:         92
        .size:           2
        .value_kind:     hidden_group_size_x
      - .offset:         94
        .size:           2
        .value_kind:     hidden_group_size_y
      - .offset:         96
        .size:           2
        .value_kind:     hidden_group_size_z
      - .offset:         98
        .size:           2
        .value_kind:     hidden_remainder_x
      - .offset:         100
        .size:           2
        .value_kind:     hidden_remainder_y
      - .offset:         102
        .size:           2
        .value_kind:     hidden_remainder_z
      - .offset:         120
        .size:           8
        .value_kind:     hidden_global_offset_x
      - .offset:         128
        .size:           8
        .value_kind:     hidden_global_offset_y
      - .offset:         136
        .size:           8
        .value_kind:     hidden_global_offset_z
      - .offset:         144
        .size:           2
        .value_kind:     hidden_grid_dims
    .group_segment_fixed_size: 0
    .kernarg_segment_align: 8
    .kernarg_segment_size: 336
    .language:       OpenCL C
    .language_version:
      - 2
      - 0
    .max_flat_workgroup_size: 80
    .name:           _ZL33flash_attn_stream_k_fixup_generalILi80ELi1ELi8EEvPfPK15HIP_vector_typeIfLj2EEiiiiS1_IjLj3EES5_S5_S5_
    .private_segment_fixed_size: 0
    .sgpr_count:     34
    .sgpr_spill_count: 0
    .symbol:         _ZL33flash_attn_stream_k_fixup_generalILi80ELi1ELi8EEvPfPK15HIP_vector_typeIfLj2EEiiiiS1_IjLj3EES5_S5_S5_.kd
    .uniform_work_group_size: 1
    .uses_dynamic_stack: false
    .vgpr_count:     19
    .vgpr_spill_count: 0
    .wavefront_size: 32
    .workgroup_processor_mode: 1
  - .args:
      - .address_space:  global
        .offset:         0
        .size:           8
        .value_kind:     global_buffer
      - .address_space:  global
        .offset:         8
        .size:           8
        .value_kind:     global_buffer
      - .address_space:  global
        .offset:         16
        .size:           8
        .value_kind:     global_buffer
      - .address_space:  global
        .offset:         24
        .size:           8
        .value_kind:     global_buffer
      - .address_space:  global
        .offset:         32
        .size:           8
        .value_kind:     global_buffer
      - .address_space:  global
        .offset:         40
        .size:           8
        .value_kind:     global_buffer
      - .address_space:  global
        .offset:         48
        .size:           8
        .value_kind:     global_buffer
      - .address_space:  global
        .offset:         56
        .size:           8
        .value_kind:     global_buffer
      - .offset:         64
        .size:           4
        .value_kind:     by_value
      - .offset:         68
        .size:           4
        .value_kind:     by_value
      - .offset:         72
        .size:           4
        .value_kind:     by_value
      - .offset:         76
        .size:           4
        .value_kind:     by_value
      - .offset:         80
        .size:           4
        .value_kind:     by_value
      - .offset:         84
        .size:           4
        .value_kind:     by_value
      - .offset:         88
        .size:           4
        .value_kind:     by_value
      - .offset:         92
        .size:           12
        .value_kind:     by_value
      - .offset:         104
        .size:           4
        .value_kind:     by_value
      - .offset:         108
        .size:           4
        .value_kind:     by_value
      - .offset:         112
        .size:           4
        .value_kind:     by_value
      - .offset:         116
        .size:           4
        .value_kind:     by_value
      - .offset:         120
        .size:           4
        .value_kind:     by_value
      - .offset:         124
        .size:           4
        .value_kind:     by_value
      - .offset:         128
        .size:           4
        .value_kind:     by_value
      - .offset:         132
        .size:           4
        .value_kind:     by_value
      - .offset:         136
        .size:           4
        .value_kind:     by_value
      - .offset:         140
        .size:           4
        .value_kind:     by_value
      - .offset:         144
        .size:           4
        .value_kind:     by_value
      - .offset:         152
        .size:           8
        .value_kind:     by_value
      - .offset:         160
        .size:           4
        .value_kind:     by_value
      - .offset:         164
        .size:           4
        .value_kind:     by_value
      - .offset:         168
        .size:           8
        .value_kind:     by_value
      - .offset:         176
        .size:           4
        .value_kind:     by_value
      - .offset:         180
        .size:           4
        .value_kind:     by_value
      - .offset:         184
        .size:           4
        .value_kind:     by_value
      - .offset:         188
        .size:           4
        .value_kind:     by_value
      - .offset:         192
        .size:           4
        .value_kind:     by_value
      - .offset:         200
        .size:           8
        .value_kind:     by_value
      - .offset:         208
        .size:           4
        .value_kind:     hidden_block_count_x
      - .offset:         212
        .size:           4
        .value_kind:     hidden_block_count_y
      - .offset:         216
        .size:           4
        .value_kind:     hidden_block_count_z
      - .offset:         220
        .size:           2
        .value_kind:     hidden_group_size_x
      - .offset:         222
        .size:           2
        .value_kind:     hidden_group_size_y
      - .offset:         224
        .size:           2
        .value_kind:     hidden_group_size_z
      - .offset:         226
        .size:           2
        .value_kind:     hidden_remainder_x
      - .offset:         228
        .size:           2
        .value_kind:     hidden_remainder_y
      - .offset:         230
        .size:           2
        .value_kind:     hidden_remainder_z
      - .offset:         248
        .size:           8
        .value_kind:     hidden_global_offset_x
      - .offset:         256
        .size:           8
        .value_kind:     hidden_global_offset_y
      - .offset:         264
        .size:           8
        .value_kind:     hidden_global_offset_z
      - .offset:         272
        .size:           2
        .value_kind:     hidden_grid_dims
    .group_segment_fixed_size: 17600
    .kernarg_segment_align: 8
    .kernarg_segment_size: 464
    .language:       OpenCL C
    .language_version:
      - 2
      - 0
    .max_flat_workgroup_size: 256
    .name:           _ZL15flash_attn_tileILi80ELi80ELi16ELi4ELb0EEvPKcS1_S1_S1_S1_PKiPfP15HIP_vector_typeIfLj2EEffffjfiS5_IjLj3EEiiiiiiiiiiiliiliiiiil
    .private_segment_fixed_size: 0
    .sgpr_count:     53
    .sgpr_spill_count: 0
    .symbol:         _ZL15flash_attn_tileILi80ELi80ELi16ELi4ELb0EEvPKcS1_S1_S1_S1_PKiPfP15HIP_vector_typeIfLj2EEffffjfiS5_IjLj3EEiiiiiiiiiiiliiliiiiil.kd
    .uniform_work_group_size: 1
    .uses_dynamic_stack: false
    .vgpr_count:     208
    .vgpr_spill_count: 0
    .wavefront_size: 32
    .workgroup_processor_mode: 1
  - .args:
      - .actual_access:  read_only
        .address_space:  global
        .offset:         0
        .size:           8
        .value_kind:     global_buffer
      - .actual_access:  write_only
        .address_space:  global
        .offset:         8
        .size:           8
        .value_kind:     global_buffer
      - .offset:         16
        .size:           4
        .value_kind:     by_value
      - .offset:         20
        .size:           4
        .value_kind:     by_value
      - .offset:         24
        .size:           4
        .value_kind:     by_value
      - .offset:         32
        .size:           4
        .value_kind:     hidden_block_count_x
      - .offset:         36
        .size:           4
        .value_kind:     hidden_block_count_y
      - .offset:         40
        .size:           4
        .value_kind:     hidden_block_count_z
      - .offset:         44
        .size:           2
        .value_kind:     hidden_group_size_x
      - .offset:         46
        .size:           2
        .value_kind:     hidden_group_size_y
      - .offset:         48
        .size:           2
        .value_kind:     hidden_group_size_z
      - .offset:         50
        .size:           2
        .value_kind:     hidden_remainder_x
      - .offset:         52
        .size:           2
        .value_kind:     hidden_remainder_y
      - .offset:         54
        .size:           2
        .value_kind:     hidden_remainder_z
      - .offset:         72
        .size:           8
        .value_kind:     hidden_global_offset_x
      - .offset:         80
        .size:           8
        .value_kind:     hidden_global_offset_y
      - .offset:         88
        .size:           8
        .value_kind:     hidden_global_offset_z
      - .offset:         96
        .size:           2
        .value_kind:     hidden_grid_dims
    .group_segment_fixed_size: 128
    .kernarg_segment_align: 8
    .kernarg_segment_size: 288
    .language:       OpenCL C
    .language_version:
      - 2
      - 0
    .max_flat_workgroup_size: 128
    .name:           _ZL25flash_attn_mask_to_KV_maxILi16EEvPK7__half2Piiii
    .private_segment_fixed_size: 0
    .sgpr_count:     46
    .sgpr_spill_count: 0
    .symbol:         _ZL25flash_attn_mask_to_KV_maxILi16EEvPK7__half2Piiii.kd
    .uniform_work_group_size: 1
    .uses_dynamic_stack: false
    .vgpr_count:     9
    .vgpr_spill_count: 0
    .wavefront_size: 32
    .workgroup_processor_mode: 1
  - .args:
      - .address_space:  global
        .offset:         0
        .size:           8
        .value_kind:     global_buffer
      - .address_space:  global
        .offset:         8
        .size:           8
        .value_kind:     global_buffer
      - .offset:         16
        .size:           4
        .value_kind:     by_value
      - .offset:         20
        .size:           4
        .value_kind:     by_value
      - .offset:         24
        .size:           4
        .value_kind:     by_value
      - .offset:         28
        .size:           4
        .value_kind:     by_value
      - .offset:         32
        .size:           4
        .value_kind:     by_value
      - .offset:         36
        .size:           4
        .value_kind:     by_value
      - .offset:         40
        .size:           12
        .value_kind:     by_value
      - .offset:         52
        .size:           12
        .value_kind:     by_value
      - .offset:         64
        .size:           12
        .value_kind:     by_value
    .group_segment_fixed_size: 0
    .kernarg_segment_align: 8
    .kernarg_segment_size: 76
    .language:       OpenCL C
    .language_version:
      - 2
      - 0
    .max_flat_workgroup_size: 80
    .name:           _ZL33flash_attn_stream_k_fixup_uniformILi80ELi16ELi4EEvPfPK15HIP_vector_typeIfLj2EEiiiiiiS1_IjLj3EES5_S5_
    .private_segment_fixed_size: 0
    .sgpr_count:     22
    .sgpr_spill_count: 0
    .symbol:         _ZL33flash_attn_stream_k_fixup_uniformILi80ELi16ELi4EEvPfPK15HIP_vector_typeIfLj2EEiiiiiiS1_IjLj3EES5_S5_.kd
    .uniform_work_group_size: 1
    .uses_dynamic_stack: false
    .vgpr_count:     15
    .vgpr_spill_count: 0
    .wavefront_size: 32
    .workgroup_processor_mode: 1
  - .args:
      - .address_space:  global
        .offset:         0
        .size:           8
        .value_kind:     global_buffer
      - .address_space:  global
        .offset:         8
        .size:           8
        .value_kind:     global_buffer
      - .offset:         16
        .size:           4
        .value_kind:     by_value
      - .offset:         20
        .size:           4
        .value_kind:     by_value
      - .offset:         24
        .size:           4
        .value_kind:     by_value
      - .offset:         28
        .size:           4
        .value_kind:     by_value
      - .offset:         32
        .size:           12
        .value_kind:     by_value
      - .offset:         44
        .size:           12
        .value_kind:     by_value
      - .offset:         56
        .size:           12
        .value_kind:     by_value
      - .offset:         68
        .size:           12
        .value_kind:     by_value
      - .offset:         80
        .size:           4
        .value_kind:     hidden_block_count_x
      - .offset:         84
        .size:           4
        .value_kind:     hidden_block_count_y
      - .offset:         88
        .size:           4
        .value_kind:     hidden_block_count_z
      - .offset:         92
        .size:           2
        .value_kind:     hidden_group_size_x
      - .offset:         94
        .size:           2
        .value_kind:     hidden_group_size_y
      - .offset:         96
        .size:           2
        .value_kind:     hidden_group_size_z
      - .offset:         98
        .size:           2
        .value_kind:     hidden_remainder_x
      - .offset:         100
        .size:           2
        .value_kind:     hidden_remainder_y
      - .offset:         102
        .size:           2
        .value_kind:     hidden_remainder_z
      - .offset:         120
        .size:           8
        .value_kind:     hidden_global_offset_x
      - .offset:         128
        .size:           8
        .value_kind:     hidden_global_offset_y
      - .offset:         136
        .size:           8
        .value_kind:     hidden_global_offset_z
      - .offset:         144
        .size:           2
        .value_kind:     hidden_grid_dims
    .group_segment_fixed_size: 0
    .kernarg_segment_align: 8
    .kernarg_segment_size: 336
    .language:       OpenCL C
    .language_version:
      - 2
      - 0
    .max_flat_workgroup_size: 80
    .name:           _ZL33flash_attn_stream_k_fixup_generalILi80ELi16ELi4EEvPfPK15HIP_vector_typeIfLj2EEiiiiS1_IjLj3EES5_S5_S5_
    .private_segment_fixed_size: 0
    .sgpr_count:     34
    .sgpr_spill_count: 0
    .symbol:         _ZL33flash_attn_stream_k_fixup_generalILi80ELi16ELi4EEvPfPK15HIP_vector_typeIfLj2EEiiiiS1_IjLj3EES5_S5_S5_.kd
    .uniform_work_group_size: 1
    .uses_dynamic_stack: false
    .vgpr_count:     19
    .vgpr_spill_count: 0
    .wavefront_size: 32
    .workgroup_processor_mode: 1
  - .args:
      - .address_space:  global
        .offset:         0
        .size:           8
        .value_kind:     global_buffer
      - .address_space:  global
        .offset:         8
        .size:           8
        .value_kind:     global_buffer
      - .address_space:  global
        .offset:         16
        .size:           8
        .value_kind:     global_buffer
      - .address_space:  global
        .offset:         24
        .size:           8
        .value_kind:     global_buffer
      - .address_space:  global
        .offset:         32
        .size:           8
        .value_kind:     global_buffer
      - .address_space:  global
        .offset:         40
        .size:           8
        .value_kind:     global_buffer
      - .address_space:  global
        .offset:         48
        .size:           8
        .value_kind:     global_buffer
      - .address_space:  global
        .offset:         56
        .size:           8
        .value_kind:     global_buffer
      - .offset:         64
        .size:           4
        .value_kind:     by_value
      - .offset:         68
        .size:           4
        .value_kind:     by_value
      - .offset:         72
        .size:           4
        .value_kind:     by_value
      - .offset:         76
        .size:           4
        .value_kind:     by_value
      - .offset:         80
        .size:           4
        .value_kind:     by_value
      - .offset:         84
        .size:           4
        .value_kind:     by_value
      - .offset:         88
        .size:           4
        .value_kind:     by_value
      - .offset:         92
        .size:           12
        .value_kind:     by_value
      - .offset:         104
        .size:           4
        .value_kind:     by_value
      - .offset:         108
        .size:           4
        .value_kind:     by_value
      - .offset:         112
        .size:           4
        .value_kind:     by_value
      - .offset:         116
        .size:           4
        .value_kind:     by_value
      - .offset:         120
        .size:           4
        .value_kind:     by_value
      - .offset:         124
        .size:           4
        .value_kind:     by_value
      - .offset:         128
        .size:           4
        .value_kind:     by_value
      - .offset:         132
        .size:           4
        .value_kind:     by_value
      - .offset:         136
        .size:           4
        .value_kind:     by_value
      - .offset:         140
        .size:           4
        .value_kind:     by_value
      - .offset:         144
        .size:           4
        .value_kind:     by_value
      - .offset:         152
        .size:           8
        .value_kind:     by_value
      - .offset:         160
        .size:           4
        .value_kind:     by_value
      - .offset:         164
        .size:           4
        .value_kind:     by_value
      - .offset:         168
        .size:           8
        .value_kind:     by_value
      - .offset:         176
        .size:           4
        .value_kind:     by_value
      - .offset:         180
        .size:           4
        .value_kind:     by_value
      - .offset:         184
        .size:           4
        .value_kind:     by_value
      - .offset:         188
        .size:           4
        .value_kind:     by_value
      - .offset:         192
        .size:           4
        .value_kind:     by_value
      - .offset:         200
        .size:           8
        .value_kind:     by_value
      - .offset:         208
        .size:           4
        .value_kind:     hidden_block_count_x
      - .offset:         212
        .size:           4
        .value_kind:     hidden_block_count_y
      - .offset:         216
        .size:           4
        .value_kind:     hidden_block_count_z
      - .offset:         220
        .size:           2
        .value_kind:     hidden_group_size_x
      - .offset:         222
        .size:           2
        .value_kind:     hidden_group_size_y
      - .offset:         224
        .size:           2
        .value_kind:     hidden_group_size_z
      - .offset:         226
        .size:           2
        .value_kind:     hidden_remainder_x
      - .offset:         228
        .size:           2
        .value_kind:     hidden_remainder_y
      - .offset:         230
        .size:           2
        .value_kind:     hidden_remainder_z
      - .offset:         248
        .size:           8
        .value_kind:     hidden_global_offset_x
      - .offset:         256
        .size:           8
        .value_kind:     hidden_global_offset_y
      - .offset:         264
        .size:           8
        .value_kind:     hidden_global_offset_z
      - .offset:         272
        .size:           2
        .value_kind:     hidden_grid_dims
    .group_segment_fixed_size: 10432
    .kernarg_segment_align: 8
    .kernarg_segment_size: 464
    .language:       OpenCL C
    .language_version:
      - 2
      - 0
    .max_flat_workgroup_size: 256
    .name:           _ZL15flash_attn_tileILi80ELi80ELi8ELi4ELb0EEvPKcS1_S1_S1_S1_PKiPfP15HIP_vector_typeIfLj2EEffffjfiS5_IjLj3EEiiiiiiiiiiiliiliiiiil
    .private_segment_fixed_size: 0
    .sgpr_count:     44
    .sgpr_spill_count: 0
    .symbol:         _ZL15flash_attn_tileILi80ELi80ELi8ELi4ELb0EEvPKcS1_S1_S1_S1_PKiPfP15HIP_vector_typeIfLj2EEffffjfiS5_IjLj3EEiiiiiiiiiiiliiliiiiil.kd
    .uniform_work_group_size: 1
    .uses_dynamic_stack: false
    .vgpr_count:     131
    .vgpr_spill_count: 0
    .wavefront_size: 32
    .workgroup_processor_mode: 1
  - .args:
      - .address_space:  global
        .offset:         0
        .size:           8
        .value_kind:     global_buffer
      - .address_space:  global
        .offset:         8
        .size:           8
        .value_kind:     global_buffer
      - .offset:         16
        .size:           4
        .value_kind:     by_value
      - .offset:         20
        .size:           4
        .value_kind:     by_value
      - .offset:         24
        .size:           4
        .value_kind:     by_value
      - .offset:         28
        .size:           4
        .value_kind:     by_value
      - .offset:         32
        .size:           4
        .value_kind:     by_value
      - .offset:         36
        .size:           4
        .value_kind:     by_value
      - .offset:         40
        .size:           12
        .value_kind:     by_value
      - .offset:         52
        .size:           12
        .value_kind:     by_value
      - .offset:         64
        .size:           12
        .value_kind:     by_value
    .group_segment_fixed_size: 0
    .kernarg_segment_align: 8
    .kernarg_segment_size: 76
    .language:       OpenCL C
    .language_version:
      - 2
      - 0
    .max_flat_workgroup_size: 80
    .name:           _ZL33flash_attn_stream_k_fixup_uniformILi80ELi8ELi4EEvPfPK15HIP_vector_typeIfLj2EEiiiiiiS1_IjLj3EES5_S5_
    .private_segment_fixed_size: 0
    .sgpr_count:     22
    .sgpr_spill_count: 0
    .symbol:         _ZL33flash_attn_stream_k_fixup_uniformILi80ELi8ELi4EEvPfPK15HIP_vector_typeIfLj2EEiiiiiiS1_IjLj3EES5_S5_.kd
    .uniform_work_group_size: 1
    .uses_dynamic_stack: false
    .vgpr_count:     15
    .vgpr_spill_count: 0
    .wavefront_size: 32
    .workgroup_processor_mode: 1
  - .args:
      - .address_space:  global
        .offset:         0
        .size:           8
        .value_kind:     global_buffer
      - .address_space:  global
        .offset:         8
        .size:           8
        .value_kind:     global_buffer
      - .offset:         16
        .size:           4
        .value_kind:     by_value
      - .offset:         20
        .size:           4
        .value_kind:     by_value
      - .offset:         24
        .size:           4
        .value_kind:     by_value
      - .offset:         28
        .size:           4
        .value_kind:     by_value
      - .offset:         32
        .size:           12
        .value_kind:     by_value
      - .offset:         44
        .size:           12
        .value_kind:     by_value
      - .offset:         56
        .size:           12
        .value_kind:     by_value
      - .offset:         68
        .size:           12
        .value_kind:     by_value
      - .offset:         80
        .size:           4
        .value_kind:     hidden_block_count_x
      - .offset:         84
        .size:           4
        .value_kind:     hidden_block_count_y
      - .offset:         88
        .size:           4
        .value_kind:     hidden_block_count_z
      - .offset:         92
        .size:           2
        .value_kind:     hidden_group_size_x
      - .offset:         94
        .size:           2
        .value_kind:     hidden_group_size_y
      - .offset:         96
        .size:           2
        .value_kind:     hidden_group_size_z
      - .offset:         98
        .size:           2
        .value_kind:     hidden_remainder_x
      - .offset:         100
        .size:           2
        .value_kind:     hidden_remainder_y
      - .offset:         102
        .size:           2
        .value_kind:     hidden_remainder_z
      - .offset:         120
        .size:           8
        .value_kind:     hidden_global_offset_x
      - .offset:         128
        .size:           8
        .value_kind:     hidden_global_offset_y
      - .offset:         136
        .size:           8
        .value_kind:     hidden_global_offset_z
      - .offset:         144
        .size:           2
        .value_kind:     hidden_grid_dims
    .group_segment_fixed_size: 0
    .kernarg_segment_align: 8
    .kernarg_segment_size: 336
    .language:       OpenCL C
    .language_version:
      - 2
      - 0
    .max_flat_workgroup_size: 80
    .name:           _ZL33flash_attn_stream_k_fixup_generalILi80ELi8ELi4EEvPfPK15HIP_vector_typeIfLj2EEiiiiS1_IjLj3EES5_S5_S5_
    .private_segment_fixed_size: 0
    .sgpr_count:     34
    .sgpr_spill_count: 0
    .symbol:         _ZL33flash_attn_stream_k_fixup_generalILi80ELi8ELi4EEvPfPK15HIP_vector_typeIfLj2EEiiiiS1_IjLj3EES5_S5_S5_.kd
    .uniform_work_group_size: 1
    .uses_dynamic_stack: false
    .vgpr_count:     19
    .vgpr_spill_count: 0
    .wavefront_size: 32
    .workgroup_processor_mode: 1
  - .args:
      - .address_space:  global
        .offset:         0
        .size:           8
        .value_kind:     global_buffer
      - .address_space:  global
        .offset:         8
        .size:           8
        .value_kind:     global_buffer
      - .address_space:  global
        .offset:         16
        .size:           8
        .value_kind:     global_buffer
      - .address_space:  global
        .offset:         24
        .size:           8
        .value_kind:     global_buffer
      - .address_space:  global
        .offset:         32
        .size:           8
        .value_kind:     global_buffer
      - .address_space:  global
        .offset:         40
        .size:           8
        .value_kind:     global_buffer
      - .address_space:  global
        .offset:         48
        .size:           8
        .value_kind:     global_buffer
      - .address_space:  global
        .offset:         56
        .size:           8
        .value_kind:     global_buffer
      - .offset:         64
        .size:           4
        .value_kind:     by_value
      - .offset:         68
        .size:           4
        .value_kind:     by_value
      - .offset:         72
        .size:           4
        .value_kind:     by_value
      - .offset:         76
        .size:           4
        .value_kind:     by_value
      - .offset:         80
        .size:           4
        .value_kind:     by_value
      - .offset:         84
        .size:           4
        .value_kind:     by_value
      - .offset:         88
        .size:           4
        .value_kind:     by_value
      - .offset:         92
        .size:           12
        .value_kind:     by_value
      - .offset:         104
        .size:           4
        .value_kind:     by_value
      - .offset:         108
        .size:           4
        .value_kind:     by_value
      - .offset:         112
        .size:           4
        .value_kind:     by_value
      - .offset:         116
        .size:           4
        .value_kind:     by_value
      - .offset:         120
        .size:           4
        .value_kind:     by_value
      - .offset:         124
        .size:           4
        .value_kind:     by_value
      - .offset:         128
        .size:           4
        .value_kind:     by_value
      - .offset:         132
        .size:           4
        .value_kind:     by_value
      - .offset:         136
        .size:           4
        .value_kind:     by_value
      - .offset:         140
        .size:           4
        .value_kind:     by_value
      - .offset:         144
        .size:           4
        .value_kind:     by_value
      - .offset:         152
        .size:           8
        .value_kind:     by_value
      - .offset:         160
        .size:           4
        .value_kind:     by_value
      - .offset:         164
        .size:           4
        .value_kind:     by_value
      - .offset:         168
        .size:           8
        .value_kind:     by_value
      - .offset:         176
        .size:           4
        .value_kind:     by_value
      - .offset:         180
        .size:           4
        .value_kind:     by_value
      - .offset:         184
        .size:           4
        .value_kind:     by_value
      - .offset:         188
        .size:           4
        .value_kind:     by_value
      - .offset:         192
        .size:           4
        .value_kind:     by_value
      - .offset:         200
        .size:           8
        .value_kind:     by_value
      - .offset:         208
        .size:           4
        .value_kind:     hidden_block_count_x
      - .offset:         212
        .size:           4
        .value_kind:     hidden_block_count_y
      - .offset:         216
        .size:           4
        .value_kind:     hidden_block_count_z
      - .offset:         220
        .size:           2
        .value_kind:     hidden_group_size_x
      - .offset:         222
        .size:           2
        .value_kind:     hidden_group_size_y
      - .offset:         224
        .size:           2
        .value_kind:     hidden_group_size_z
      - .offset:         226
        .size:           2
        .value_kind:     hidden_remainder_x
      - .offset:         228
        .size:           2
        .value_kind:     hidden_remainder_y
      - .offset:         230
        .size:           2
        .value_kind:     hidden_remainder_z
      - .offset:         248
        .size:           8
        .value_kind:     hidden_global_offset_x
      - .offset:         256
        .size:           8
        .value_kind:     hidden_global_offset_y
      - .offset:         264
        .size:           8
        .value_kind:     hidden_global_offset_z
      - .offset:         272
        .size:           2
        .value_kind:     hidden_grid_dims
    .group_segment_fixed_size: 6848
    .kernarg_segment_align: 8
    .kernarg_segment_size: 464
    .language:       OpenCL C
    .language_version:
      - 2
      - 0
    .max_flat_workgroup_size: 256
    .name:           _ZL15flash_attn_tileILi80ELi80ELi4ELi4ELb0EEvPKcS1_S1_S1_S1_PKiPfP15HIP_vector_typeIfLj2EEffffjfiS5_IjLj3EEiiiiiiiiiiiliiliiiiil
    .private_segment_fixed_size: 0
    .sgpr_count:     44
    .sgpr_spill_count: 0
    .symbol:         _ZL15flash_attn_tileILi80ELi80ELi4ELi4ELb0EEvPKcS1_S1_S1_S1_PKiPfP15HIP_vector_typeIfLj2EEffffjfiS5_IjLj3EEiiiiiiiiiiiliiliiiiil.kd
    .uniform_work_group_size: 1
    .uses_dynamic_stack: false
    .vgpr_count:     100
    .vgpr_spill_count: 0
    .wavefront_size: 32
    .workgroup_processor_mode: 1
  - .args:
      - .address_space:  global
        .offset:         0
        .size:           8
        .value_kind:     global_buffer
      - .address_space:  global
        .offset:         8
        .size:           8
        .value_kind:     global_buffer
      - .offset:         16
        .size:           4
        .value_kind:     by_value
      - .offset:         20
        .size:           4
        .value_kind:     by_value
      - .offset:         24
        .size:           4
        .value_kind:     by_value
      - .offset:         28
        .size:           4
        .value_kind:     by_value
      - .offset:         32
        .size:           4
        .value_kind:     by_value
      - .offset:         36
        .size:           4
        .value_kind:     by_value
      - .offset:         40
        .size:           12
        .value_kind:     by_value
      - .offset:         52
        .size:           12
        .value_kind:     by_value
      - .offset:         64
        .size:           12
        .value_kind:     by_value
    .group_segment_fixed_size: 0
    .kernarg_segment_align: 8
    .kernarg_segment_size: 76
    .language:       OpenCL C
    .language_version:
      - 2
      - 0
    .max_flat_workgroup_size: 80
    .name:           _ZL33flash_attn_stream_k_fixup_uniformILi80ELi4ELi4EEvPfPK15HIP_vector_typeIfLj2EEiiiiiiS1_IjLj3EES5_S5_
    .private_segment_fixed_size: 0
    .sgpr_count:     22
    .sgpr_spill_count: 0
    .symbol:         _ZL33flash_attn_stream_k_fixup_uniformILi80ELi4ELi4EEvPfPK15HIP_vector_typeIfLj2EEiiiiiiS1_IjLj3EES5_S5_.kd
    .uniform_work_group_size: 1
    .uses_dynamic_stack: false
    .vgpr_count:     15
    .vgpr_spill_count: 0
    .wavefront_size: 32
    .workgroup_processor_mode: 1
  - .args:
      - .address_space:  global
        .offset:         0
        .size:           8
        .value_kind:     global_buffer
      - .address_space:  global
        .offset:         8
        .size:           8
        .value_kind:     global_buffer
      - .offset:         16
        .size:           4
        .value_kind:     by_value
      - .offset:         20
        .size:           4
        .value_kind:     by_value
      - .offset:         24
        .size:           4
        .value_kind:     by_value
      - .offset:         28
        .size:           4
        .value_kind:     by_value
      - .offset:         32
        .size:           12
        .value_kind:     by_value
      - .offset:         44
        .size:           12
        .value_kind:     by_value
      - .offset:         56
        .size:           12
        .value_kind:     by_value
      - .offset:         68
        .size:           12
        .value_kind:     by_value
      - .offset:         80
        .size:           4
        .value_kind:     hidden_block_count_x
      - .offset:         84
        .size:           4
        .value_kind:     hidden_block_count_y
      - .offset:         88
        .size:           4
        .value_kind:     hidden_block_count_z
      - .offset:         92
        .size:           2
        .value_kind:     hidden_group_size_x
      - .offset:         94
        .size:           2
        .value_kind:     hidden_group_size_y
      - .offset:         96
        .size:           2
        .value_kind:     hidden_group_size_z
      - .offset:         98
        .size:           2
        .value_kind:     hidden_remainder_x
      - .offset:         100
        .size:           2
        .value_kind:     hidden_remainder_y
      - .offset:         102
        .size:           2
        .value_kind:     hidden_remainder_z
      - .offset:         120
        .size:           8
        .value_kind:     hidden_global_offset_x
      - .offset:         128
        .size:           8
        .value_kind:     hidden_global_offset_y
      - .offset:         136
        .size:           8
        .value_kind:     hidden_global_offset_z
      - .offset:         144
        .size:           2
        .value_kind:     hidden_grid_dims
    .group_segment_fixed_size: 0
    .kernarg_segment_align: 8
    .kernarg_segment_size: 336
    .language:       OpenCL C
    .language_version:
      - 2
      - 0
    .max_flat_workgroup_size: 80
    .name:           _ZL33flash_attn_stream_k_fixup_generalILi80ELi4ELi4EEvPfPK15HIP_vector_typeIfLj2EEiiiiS1_IjLj3EES5_S5_S5_
    .private_segment_fixed_size: 0
    .sgpr_count:     34
    .sgpr_spill_count: 0
    .symbol:         _ZL33flash_attn_stream_k_fixup_generalILi80ELi4ELi4EEvPfPK15HIP_vector_typeIfLj2EEiiiiS1_IjLj3EES5_S5_S5_.kd
    .uniform_work_group_size: 1
    .uses_dynamic_stack: false
    .vgpr_count:     19
    .vgpr_spill_count: 0
    .wavefront_size: 32
    .workgroup_processor_mode: 1
  - .args:
      - .address_space:  global
        .offset:         0
        .size:           8
        .value_kind:     global_buffer
      - .address_space:  global
        .offset:         8
        .size:           8
        .value_kind:     global_buffer
      - .address_space:  global
        .offset:         16
        .size:           8
        .value_kind:     global_buffer
      - .address_space:  global
        .offset:         24
        .size:           8
        .value_kind:     global_buffer
      - .address_space:  global
        .offset:         32
        .size:           8
        .value_kind:     global_buffer
      - .address_space:  global
        .offset:         40
        .size:           8
        .value_kind:     global_buffer
      - .address_space:  global
        .offset:         48
        .size:           8
        .value_kind:     global_buffer
      - .address_space:  global
        .offset:         56
        .size:           8
        .value_kind:     global_buffer
      - .offset:         64
        .size:           4
        .value_kind:     by_value
      - .offset:         68
        .size:           4
        .value_kind:     by_value
      - .offset:         72
        .size:           4
        .value_kind:     by_value
      - .offset:         76
        .size:           4
        .value_kind:     by_value
      - .offset:         80
        .size:           4
        .value_kind:     by_value
      - .offset:         84
        .size:           4
        .value_kind:     by_value
      - .offset:         88
        .size:           4
        .value_kind:     by_value
      - .offset:         92
        .size:           12
        .value_kind:     by_value
      - .offset:         104
        .size:           4
        .value_kind:     by_value
      - .offset:         108
        .size:           4
        .value_kind:     by_value
      - .offset:         112
        .size:           4
        .value_kind:     by_value
      - .offset:         116
        .size:           4
        .value_kind:     by_value
      - .offset:         120
        .size:           4
        .value_kind:     by_value
      - .offset:         124
        .size:           4
        .value_kind:     by_value
      - .offset:         128
        .size:           4
        .value_kind:     by_value
      - .offset:         132
        .size:           4
        .value_kind:     by_value
      - .offset:         136
        .size:           4
        .value_kind:     by_value
      - .offset:         140
        .size:           4
        .value_kind:     by_value
      - .offset:         144
        .size:           4
        .value_kind:     by_value
      - .offset:         152
        .size:           8
        .value_kind:     by_value
      - .offset:         160
        .size:           4
        .value_kind:     by_value
      - .offset:         164
        .size:           4
        .value_kind:     by_value
      - .offset:         168
        .size:           8
        .value_kind:     by_value
      - .offset:         176
        .size:           4
        .value_kind:     by_value
      - .offset:         180
        .size:           4
        .value_kind:     by_value
      - .offset:         184
        .size:           4
        .value_kind:     by_value
      - .offset:         188
        .size:           4
        .value_kind:     by_value
      - .offset:         192
        .size:           4
        .value_kind:     by_value
      - .offset:         200
        .size:           8
        .value_kind:     by_value
      - .offset:         208
        .size:           4
        .value_kind:     hidden_block_count_x
      - .offset:         212
        .size:           4
        .value_kind:     hidden_block_count_y
      - .offset:         216
        .size:           4
        .value_kind:     hidden_block_count_z
      - .offset:         220
        .size:           2
        .value_kind:     hidden_group_size_x
      - .offset:         222
        .size:           2
        .value_kind:     hidden_group_size_y
      - .offset:         224
        .size:           2
        .value_kind:     hidden_group_size_z
      - .offset:         226
        .size:           2
        .value_kind:     hidden_remainder_x
      - .offset:         228
        .size:           2
        .value_kind:     hidden_remainder_y
      - .offset:         230
        .size:           2
        .value_kind:     hidden_remainder_z
      - .offset:         248
        .size:           8
        .value_kind:     hidden_global_offset_x
      - .offset:         256
        .size:           8
        .value_kind:     hidden_global_offset_y
      - .offset:         264
        .size:           8
        .value_kind:     hidden_global_offset_z
      - .offset:         272
        .size:           2
        .value_kind:     hidden_grid_dims
    .group_segment_fixed_size: 5056
    .kernarg_segment_align: 8
    .kernarg_segment_size: 464
    .language:       OpenCL C
    .language_version:
      - 2
      - 0
    .max_flat_workgroup_size: 256
    .name:           _ZL15flash_attn_tileILi80ELi80ELi2ELi4ELb0EEvPKcS1_S1_S1_S1_PKiPfP15HIP_vector_typeIfLj2EEffffjfiS5_IjLj3EEiiiiiiiiiiiliiliiiiil
    .private_segment_fixed_size: 0
    .sgpr_count:     46
    .sgpr_spill_count: 0
    .symbol:         _ZL15flash_attn_tileILi80ELi80ELi2ELi4ELb0EEvPKcS1_S1_S1_S1_PKiPfP15HIP_vector_typeIfLj2EEffffjfiS5_IjLj3EEiiiiiiiiiiiliiliiiiil.kd
    .uniform_work_group_size: 1
    .uses_dynamic_stack: false
    .vgpr_count:     85
    .vgpr_spill_count: 0
    .wavefront_size: 32
    .workgroup_processor_mode: 1
  - .args:
      - .address_space:  global
        .offset:         0
        .size:           8
        .value_kind:     global_buffer
      - .address_space:  global
        .offset:         8
        .size:           8
        .value_kind:     global_buffer
      - .offset:         16
        .size:           4
        .value_kind:     by_value
      - .offset:         20
        .size:           4
        .value_kind:     by_value
      - .offset:         24
        .size:           4
        .value_kind:     by_value
      - .offset:         28
        .size:           4
        .value_kind:     by_value
      - .offset:         32
        .size:           4
        .value_kind:     by_value
      - .offset:         36
        .size:           4
        .value_kind:     by_value
      - .offset:         40
        .size:           12
        .value_kind:     by_value
      - .offset:         52
        .size:           12
        .value_kind:     by_value
      - .offset:         64
        .size:           12
        .value_kind:     by_value
    .group_segment_fixed_size: 0
    .kernarg_segment_align: 8
    .kernarg_segment_size: 76
    .language:       OpenCL C
    .language_version:
      - 2
      - 0
    .max_flat_workgroup_size: 80
    .name:           _ZL33flash_attn_stream_k_fixup_uniformILi80ELi2ELi4EEvPfPK15HIP_vector_typeIfLj2EEiiiiiiS1_IjLj3EES5_S5_
    .private_segment_fixed_size: 0
    .sgpr_count:     22
    .sgpr_spill_count: 0
    .symbol:         _ZL33flash_attn_stream_k_fixup_uniformILi80ELi2ELi4EEvPfPK15HIP_vector_typeIfLj2EEiiiiiiS1_IjLj3EES5_S5_.kd
    .uniform_work_group_size: 1
    .uses_dynamic_stack: false
    .vgpr_count:     15
    .vgpr_spill_count: 0
    .wavefront_size: 32
    .workgroup_processor_mode: 1
  - .args:
      - .address_space:  global
        .offset:         0
        .size:           8
        .value_kind:     global_buffer
      - .address_space:  global
        .offset:         8
        .size:           8
        .value_kind:     global_buffer
      - .offset:         16
        .size:           4
        .value_kind:     by_value
      - .offset:         20
        .size:           4
        .value_kind:     by_value
      - .offset:         24
        .size:           4
        .value_kind:     by_value
      - .offset:         28
        .size:           4
        .value_kind:     by_value
      - .offset:         32
        .size:           12
        .value_kind:     by_value
      - .offset:         44
        .size:           12
        .value_kind:     by_value
      - .offset:         56
        .size:           12
        .value_kind:     by_value
      - .offset:         68
        .size:           12
        .value_kind:     by_value
      - .offset:         80
        .size:           4
        .value_kind:     hidden_block_count_x
      - .offset:         84
        .size:           4
        .value_kind:     hidden_block_count_y
      - .offset:         88
        .size:           4
        .value_kind:     hidden_block_count_z
      - .offset:         92
        .size:           2
        .value_kind:     hidden_group_size_x
      - .offset:         94
        .size:           2
        .value_kind:     hidden_group_size_y
      - .offset:         96
        .size:           2
        .value_kind:     hidden_group_size_z
      - .offset:         98
        .size:           2
        .value_kind:     hidden_remainder_x
      - .offset:         100
        .size:           2
        .value_kind:     hidden_remainder_y
      - .offset:         102
        .size:           2
        .value_kind:     hidden_remainder_z
      - .offset:         120
        .size:           8
        .value_kind:     hidden_global_offset_x
      - .offset:         128
        .size:           8
        .value_kind:     hidden_global_offset_y
      - .offset:         136
        .size:           8
        .value_kind:     hidden_global_offset_z
      - .offset:         144
        .size:           2
        .value_kind:     hidden_grid_dims
    .group_segment_fixed_size: 0
    .kernarg_segment_align: 8
    .kernarg_segment_size: 336
    .language:       OpenCL C
    .language_version:
      - 2
      - 0
    .max_flat_workgroup_size: 80
    .name:           _ZL33flash_attn_stream_k_fixup_generalILi80ELi2ELi4EEvPfPK15HIP_vector_typeIfLj2EEiiiiS1_IjLj3EES5_S5_S5_
    .private_segment_fixed_size: 0
    .sgpr_count:     34
    .sgpr_spill_count: 0
    .symbol:         _ZL33flash_attn_stream_k_fixup_generalILi80ELi2ELi4EEvPfPK15HIP_vector_typeIfLj2EEiiiiS1_IjLj3EES5_S5_S5_.kd
    .uniform_work_group_size: 1
    .uses_dynamic_stack: false
    .vgpr_count:     19
    .vgpr_spill_count: 0
    .wavefront_size: 32
    .workgroup_processor_mode: 1
  - .args:
      - .address_space:  global
        .offset:         0
        .size:           8
        .value_kind:     global_buffer
      - .address_space:  global
        .offset:         8
        .size:           8
        .value_kind:     global_buffer
      - .address_space:  global
        .offset:         16
        .size:           8
        .value_kind:     global_buffer
      - .address_space:  global
        .offset:         24
        .size:           8
        .value_kind:     global_buffer
      - .address_space:  global
        .offset:         32
        .size:           8
        .value_kind:     global_buffer
      - .address_space:  global
        .offset:         40
        .size:           8
        .value_kind:     global_buffer
      - .address_space:  global
        .offset:         48
        .size:           8
        .value_kind:     global_buffer
      - .address_space:  global
        .offset:         56
        .size:           8
        .value_kind:     global_buffer
      - .offset:         64
        .size:           4
        .value_kind:     by_value
      - .offset:         68
        .size:           4
        .value_kind:     by_value
      - .offset:         72
        .size:           4
        .value_kind:     by_value
      - .offset:         76
        .size:           4
        .value_kind:     by_value
      - .offset:         80
        .size:           4
        .value_kind:     by_value
      - .offset:         84
        .size:           4
        .value_kind:     by_value
      - .offset:         88
        .size:           4
        .value_kind:     by_value
      - .offset:         92
        .size:           12
        .value_kind:     by_value
      - .offset:         104
        .size:           4
        .value_kind:     by_value
      - .offset:         108
        .size:           4
        .value_kind:     by_value
      - .offset:         112
        .size:           4
        .value_kind:     by_value
      - .offset:         116
        .size:           4
        .value_kind:     by_value
      - .offset:         120
        .size:           4
        .value_kind:     by_value
      - .offset:         124
        .size:           4
        .value_kind:     by_value
      - .offset:         128
        .size:           4
        .value_kind:     by_value
      - .offset:         132
        .size:           4
        .value_kind:     by_value
      - .offset:         136
        .size:           4
        .value_kind:     by_value
      - .offset:         140
        .size:           4
        .value_kind:     by_value
      - .offset:         144
        .size:           4
        .value_kind:     by_value
      - .offset:         152
        .size:           8
        .value_kind:     by_value
      - .offset:         160
        .size:           4
        .value_kind:     by_value
      - .offset:         164
        .size:           4
        .value_kind:     by_value
      - .offset:         168
        .size:           8
        .value_kind:     by_value
      - .offset:         176
        .size:           4
        .value_kind:     by_value
      - .offset:         180
        .size:           4
        .value_kind:     by_value
      - .offset:         184
        .size:           4
        .value_kind:     by_value
      - .offset:         188
        .size:           4
        .value_kind:     by_value
      - .offset:         192
        .size:           4
        .value_kind:     by_value
      - .offset:         200
        .size:           8
        .value_kind:     by_value
      - .offset:         208
        .size:           4
        .value_kind:     hidden_block_count_x
      - .offset:         212
        .size:           4
        .value_kind:     hidden_block_count_y
      - .offset:         216
        .size:           4
        .value_kind:     hidden_block_count_z
      - .offset:         220
        .size:           2
        .value_kind:     hidden_group_size_x
      - .offset:         222
        .size:           2
        .value_kind:     hidden_group_size_y
      - .offset:         224
        .size:           2
        .value_kind:     hidden_group_size_z
      - .offset:         226
        .size:           2
        .value_kind:     hidden_remainder_x
      - .offset:         228
        .size:           2
        .value_kind:     hidden_remainder_y
      - .offset:         230
        .size:           2
        .value_kind:     hidden_remainder_z
      - .offset:         248
        .size:           8
        .value_kind:     hidden_global_offset_x
      - .offset:         256
        .size:           8
        .value_kind:     hidden_global_offset_y
      - .offset:         264
        .size:           8
        .value_kind:     hidden_global_offset_z
      - .offset:         272
        .size:           2
        .value_kind:     hidden_grid_dims
    .group_segment_fixed_size: 4160
    .kernarg_segment_align: 8
    .kernarg_segment_size: 464
    .language:       OpenCL C
    .language_version:
      - 2
      - 0
    .max_flat_workgroup_size: 128
    .name:           _ZL15flash_attn_tileILi80ELi80ELi1ELi4ELb0EEvPKcS1_S1_S1_S1_PKiPfP15HIP_vector_typeIfLj2EEffffjfiS5_IjLj3EEiiiiiiiiiiiliiliiiiil
    .private_segment_fixed_size: 0
    .sgpr_count:     46
    .sgpr_spill_count: 0
    .symbol:         _ZL15flash_attn_tileILi80ELi80ELi1ELi4ELb0EEvPKcS1_S1_S1_S1_PKiPfP15HIP_vector_typeIfLj2EEffffjfiS5_IjLj3EEiiiiiiiiiiiliiliiiiil.kd
    .uniform_work_group_size: 1
    .uses_dynamic_stack: false
    .vgpr_count:     86
    .vgpr_spill_count: 0
    .wavefront_size: 32
    .workgroup_processor_mode: 1
  - .args:
      - .address_space:  global
        .offset:         0
        .size:           8
        .value_kind:     global_buffer
      - .address_space:  global
        .offset:         8
        .size:           8
        .value_kind:     global_buffer
      - .offset:         16
        .size:           4
        .value_kind:     by_value
      - .offset:         20
        .size:           4
        .value_kind:     by_value
      - .offset:         24
        .size:           4
        .value_kind:     by_value
      - .offset:         28
        .size:           4
        .value_kind:     by_value
      - .offset:         32
        .size:           4
        .value_kind:     by_value
      - .offset:         36
        .size:           4
        .value_kind:     by_value
      - .offset:         40
        .size:           12
        .value_kind:     by_value
      - .offset:         52
        .size:           12
        .value_kind:     by_value
      - .offset:         64
        .size:           12
        .value_kind:     by_value
    .group_segment_fixed_size: 0
    .kernarg_segment_align: 8
    .kernarg_segment_size: 76
    .language:       OpenCL C
    .language_version:
      - 2
      - 0
    .max_flat_workgroup_size: 80
    .name:           _ZL33flash_attn_stream_k_fixup_uniformILi80ELi1ELi4EEvPfPK15HIP_vector_typeIfLj2EEiiiiiiS1_IjLj3EES5_S5_
    .private_segment_fixed_size: 0
    .sgpr_count:     22
    .sgpr_spill_count: 0
    .symbol:         _ZL33flash_attn_stream_k_fixup_uniformILi80ELi1ELi4EEvPfPK15HIP_vector_typeIfLj2EEiiiiiiS1_IjLj3EES5_S5_.kd
    .uniform_work_group_size: 1
    .uses_dynamic_stack: false
    .vgpr_count:     15
    .vgpr_spill_count: 0
    .wavefront_size: 32
    .workgroup_processor_mode: 1
  - .args:
      - .address_space:  global
        .offset:         0
        .size:           8
        .value_kind:     global_buffer
      - .address_space:  global
        .offset:         8
        .size:           8
        .value_kind:     global_buffer
      - .offset:         16
        .size:           4
        .value_kind:     by_value
      - .offset:         20
        .size:           4
        .value_kind:     by_value
      - .offset:         24
        .size:           4
        .value_kind:     by_value
      - .offset:         28
        .size:           4
        .value_kind:     by_value
      - .offset:         32
        .size:           12
        .value_kind:     by_value
      - .offset:         44
        .size:           12
        .value_kind:     by_value
      - .offset:         56
        .size:           12
        .value_kind:     by_value
      - .offset:         68
        .size:           12
        .value_kind:     by_value
      - .offset:         80
        .size:           4
        .value_kind:     hidden_block_count_x
      - .offset:         84
        .size:           4
        .value_kind:     hidden_block_count_y
      - .offset:         88
        .size:           4
        .value_kind:     hidden_block_count_z
      - .offset:         92
        .size:           2
        .value_kind:     hidden_group_size_x
      - .offset:         94
        .size:           2
        .value_kind:     hidden_group_size_y
      - .offset:         96
        .size:           2
        .value_kind:     hidden_group_size_z
      - .offset:         98
        .size:           2
        .value_kind:     hidden_remainder_x
      - .offset:         100
        .size:           2
        .value_kind:     hidden_remainder_y
      - .offset:         102
        .size:           2
        .value_kind:     hidden_remainder_z
      - .offset:         120
        .size:           8
        .value_kind:     hidden_global_offset_x
      - .offset:         128
        .size:           8
        .value_kind:     hidden_global_offset_y
      - .offset:         136
        .size:           8
        .value_kind:     hidden_global_offset_z
      - .offset:         144
        .size:           2
        .value_kind:     hidden_grid_dims
    .group_segment_fixed_size: 0
    .kernarg_segment_align: 8
    .kernarg_segment_size: 336
    .language:       OpenCL C
    .language_version:
      - 2
      - 0
    .max_flat_workgroup_size: 80
    .name:           _ZL33flash_attn_stream_k_fixup_generalILi80ELi1ELi4EEvPfPK15HIP_vector_typeIfLj2EEiiiiS1_IjLj3EES5_S5_S5_
    .private_segment_fixed_size: 0
    .sgpr_count:     34
    .sgpr_spill_count: 0
    .symbol:         _ZL33flash_attn_stream_k_fixup_generalILi80ELi1ELi4EEvPfPK15HIP_vector_typeIfLj2EEiiiiS1_IjLj3EES5_S5_S5_.kd
    .uniform_work_group_size: 1
    .uses_dynamic_stack: false
    .vgpr_count:     19
    .vgpr_spill_count: 0
    .wavefront_size: 32
    .workgroup_processor_mode: 1
  - .args:
      - .address_space:  global
        .offset:         0
        .size:           8
        .value_kind:     global_buffer
      - .address_space:  global
        .offset:         8
        .size:           8
        .value_kind:     global_buffer
      - .address_space:  global
        .offset:         16
        .size:           8
        .value_kind:     global_buffer
      - .address_space:  global
        .offset:         24
        .size:           8
        .value_kind:     global_buffer
      - .address_space:  global
        .offset:         32
        .size:           8
        .value_kind:     global_buffer
      - .address_space:  global
        .offset:         40
        .size:           8
        .value_kind:     global_buffer
      - .address_space:  global
        .offset:         48
        .size:           8
        .value_kind:     global_buffer
      - .address_space:  global
        .offset:         56
        .size:           8
        .value_kind:     global_buffer
      - .offset:         64
        .size:           4
        .value_kind:     by_value
      - .offset:         68
        .size:           4
        .value_kind:     by_value
      - .offset:         72
        .size:           4
        .value_kind:     by_value
      - .offset:         76
        .size:           4
        .value_kind:     by_value
      - .offset:         80
        .size:           4
        .value_kind:     by_value
      - .offset:         84
        .size:           4
        .value_kind:     by_value
      - .offset:         88
        .size:           4
        .value_kind:     by_value
      - .offset:         92
        .size:           12
        .value_kind:     by_value
      - .offset:         104
        .size:           4
        .value_kind:     by_value
      - .offset:         108
        .size:           4
        .value_kind:     by_value
      - .offset:         112
        .size:           4
        .value_kind:     by_value
      - .offset:         116
        .size:           4
        .value_kind:     by_value
      - .offset:         120
        .size:           4
        .value_kind:     by_value
      - .offset:         124
        .size:           4
        .value_kind:     by_value
      - .offset:         128
        .size:           4
        .value_kind:     by_value
      - .offset:         132
        .size:           4
        .value_kind:     by_value
      - .offset:         136
        .size:           4
        .value_kind:     by_value
      - .offset:         140
        .size:           4
        .value_kind:     by_value
      - .offset:         144
        .size:           4
        .value_kind:     by_value
      - .offset:         152
        .size:           8
        .value_kind:     by_value
      - .offset:         160
        .size:           4
        .value_kind:     by_value
      - .offset:         164
        .size:           4
        .value_kind:     by_value
      - .offset:         168
        .size:           8
        .value_kind:     by_value
      - .offset:         176
        .size:           4
        .value_kind:     by_value
      - .offset:         180
        .size:           4
        .value_kind:     by_value
      - .offset:         184
        .size:           4
        .value_kind:     by_value
      - .offset:         188
        .size:           4
        .value_kind:     by_value
      - .offset:         192
        .size:           4
        .value_kind:     by_value
      - .offset:         200
        .size:           8
        .value_kind:     by_value
      - .offset:         208
        .size:           4
        .value_kind:     hidden_block_count_x
      - .offset:         212
        .size:           4
        .value_kind:     hidden_block_count_y
      - .offset:         216
        .size:           4
        .value_kind:     hidden_block_count_z
      - .offset:         220
        .size:           2
        .value_kind:     hidden_group_size_x
      - .offset:         222
        .size:           2
        .value_kind:     hidden_group_size_y
      - .offset:         224
        .size:           2
        .value_kind:     hidden_group_size_z
      - .offset:         226
        .size:           2
        .value_kind:     hidden_remainder_x
      - .offset:         228
        .size:           2
        .value_kind:     hidden_remainder_y
      - .offset:         230
        .size:           2
        .value_kind:     hidden_remainder_z
      - .offset:         248
        .size:           8
        .value_kind:     hidden_global_offset_x
      - .offset:         256
        .size:           8
        .value_kind:     hidden_global_offset_y
      - .offset:         264
        .size:           8
        .value_kind:     hidden_global_offset_z
      - .offset:         272
        .size:           2
        .value_kind:     hidden_grid_dims
    .group_segment_fixed_size: 17600
    .kernarg_segment_align: 8
    .kernarg_segment_size: 464
    .language:       OpenCL C
    .language_version:
      - 2
      - 0
    .max_flat_workgroup_size: 256
    .name:           _ZL15flash_attn_tileILi80ELi80ELi32ELi2ELb0EEvPKcS1_S1_S1_S1_PKiPfP15HIP_vector_typeIfLj2EEffffjfiS5_IjLj3EEiiiiiiiiiiiliiliiiiil
    .private_segment_fixed_size: 0
    .sgpr_count:     54
    .sgpr_spill_count: 0
    .symbol:         _ZL15flash_attn_tileILi80ELi80ELi32ELi2ELb0EEvPKcS1_S1_S1_S1_PKiPfP15HIP_vector_typeIfLj2EEffffjfiS5_IjLj3EEiiiiiiiiiiiliiliiiiil.kd
    .uniform_work_group_size: 1
    .uses_dynamic_stack: false
    .vgpr_count:     212
    .vgpr_spill_count: 0
    .wavefront_size: 32
    .workgroup_processor_mode: 1
  - .args:
      - .actual_access:  read_only
        .address_space:  global
        .offset:         0
        .size:           8
        .value_kind:     global_buffer
      - .actual_access:  write_only
        .address_space:  global
        .offset:         8
        .size:           8
        .value_kind:     global_buffer
      - .offset:         16
        .size:           4
        .value_kind:     by_value
      - .offset:         20
        .size:           4
        .value_kind:     by_value
      - .offset:         24
        .size:           4
        .value_kind:     by_value
      - .offset:         32
        .size:           4
        .value_kind:     hidden_block_count_x
      - .offset:         36
        .size:           4
        .value_kind:     hidden_block_count_y
      - .offset:         40
        .size:           4
        .value_kind:     hidden_block_count_z
      - .offset:         44
        .size:           2
        .value_kind:     hidden_group_size_x
      - .offset:         46
        .size:           2
        .value_kind:     hidden_group_size_y
      - .offset:         48
        .size:           2
        .value_kind:     hidden_group_size_z
      - .offset:         50
        .size:           2
        .value_kind:     hidden_remainder_x
      - .offset:         52
        .size:           2
        .value_kind:     hidden_remainder_y
      - .offset:         54
        .size:           2
        .value_kind:     hidden_remainder_z
      - .offset:         72
        .size:           8
        .value_kind:     hidden_global_offset_x
      - .offset:         80
        .size:           8
        .value_kind:     hidden_global_offset_y
      - .offset:         88
        .size:           8
        .value_kind:     hidden_global_offset_z
      - .offset:         96
        .size:           2
        .value_kind:     hidden_grid_dims
    .group_segment_fixed_size: 128
    .kernarg_segment_align: 8
    .kernarg_segment_size: 288
    .language:       OpenCL C
    .language_version:
      - 2
      - 0
    .max_flat_workgroup_size: 128
    .name:           _ZL25flash_attn_mask_to_KV_maxILi32EEvPK7__half2Piiii
    .private_segment_fixed_size: 0
    .sgpr_count:     78
    .sgpr_spill_count: 0
    .symbol:         _ZL25flash_attn_mask_to_KV_maxILi32EEvPK7__half2Piiii.kd
    .uniform_work_group_size: 1
    .uses_dynamic_stack: false
    .vgpr_count:     9
    .vgpr_spill_count: 0
    .wavefront_size: 32
    .workgroup_processor_mode: 1
  - .args:
      - .address_space:  global
        .offset:         0
        .size:           8
        .value_kind:     global_buffer
      - .address_space:  global
        .offset:         8
        .size:           8
        .value_kind:     global_buffer
      - .offset:         16
        .size:           4
        .value_kind:     by_value
      - .offset:         20
        .size:           4
        .value_kind:     by_value
      - .offset:         24
        .size:           4
        .value_kind:     by_value
      - .offset:         28
        .size:           4
        .value_kind:     by_value
      - .offset:         32
        .size:           4
        .value_kind:     by_value
      - .offset:         36
        .size:           4
        .value_kind:     by_value
      - .offset:         40
        .size:           12
        .value_kind:     by_value
      - .offset:         52
        .size:           12
        .value_kind:     by_value
      - .offset:         64
        .size:           12
        .value_kind:     by_value
    .group_segment_fixed_size: 0
    .kernarg_segment_align: 8
    .kernarg_segment_size: 76
    .language:       OpenCL C
    .language_version:
      - 2
      - 0
    .max_flat_workgroup_size: 80
    .name:           _ZL33flash_attn_stream_k_fixup_uniformILi80ELi32ELi2EEvPfPK15HIP_vector_typeIfLj2EEiiiiiiS1_IjLj3EES5_S5_
    .private_segment_fixed_size: 0
    .sgpr_count:     22
    .sgpr_spill_count: 0
    .symbol:         _ZL33flash_attn_stream_k_fixup_uniformILi80ELi32ELi2EEvPfPK15HIP_vector_typeIfLj2EEiiiiiiS1_IjLj3EES5_S5_.kd
    .uniform_work_group_size: 1
    .uses_dynamic_stack: false
    .vgpr_count:     15
    .vgpr_spill_count: 0
    .wavefront_size: 32
    .workgroup_processor_mode: 1
  - .args:
      - .address_space:  global
        .offset:         0
        .size:           8
        .value_kind:     global_buffer
      - .address_space:  global
        .offset:         8
        .size:           8
        .value_kind:     global_buffer
      - .offset:         16
        .size:           4
        .value_kind:     by_value
      - .offset:         20
        .size:           4
        .value_kind:     by_value
      - .offset:         24
        .size:           4
        .value_kind:     by_value
      - .offset:         28
        .size:           4
        .value_kind:     by_value
      - .offset:         32
        .size:           12
        .value_kind:     by_value
      - .offset:         44
        .size:           12
        .value_kind:     by_value
      - .offset:         56
        .size:           12
        .value_kind:     by_value
      - .offset:         68
        .size:           12
        .value_kind:     by_value
      - .offset:         80
        .size:           4
        .value_kind:     hidden_block_count_x
      - .offset:         84
        .size:           4
        .value_kind:     hidden_block_count_y
      - .offset:         88
        .size:           4
        .value_kind:     hidden_block_count_z
      - .offset:         92
        .size:           2
        .value_kind:     hidden_group_size_x
      - .offset:         94
        .size:           2
        .value_kind:     hidden_group_size_y
      - .offset:         96
        .size:           2
        .value_kind:     hidden_group_size_z
      - .offset:         98
        .size:           2
        .value_kind:     hidden_remainder_x
      - .offset:         100
        .size:           2
        .value_kind:     hidden_remainder_y
      - .offset:         102
        .size:           2
        .value_kind:     hidden_remainder_z
      - .offset:         120
        .size:           8
        .value_kind:     hidden_global_offset_x
      - .offset:         128
        .size:           8
        .value_kind:     hidden_global_offset_y
      - .offset:         136
        .size:           8
        .value_kind:     hidden_global_offset_z
      - .offset:         144
        .size:           2
        .value_kind:     hidden_grid_dims
    .group_segment_fixed_size: 0
    .kernarg_segment_align: 8
    .kernarg_segment_size: 336
    .language:       OpenCL C
    .language_version:
      - 2
      - 0
    .max_flat_workgroup_size: 80
    .name:           _ZL33flash_attn_stream_k_fixup_generalILi80ELi32ELi2EEvPfPK15HIP_vector_typeIfLj2EEiiiiS1_IjLj3EES5_S5_S5_
    .private_segment_fixed_size: 0
    .sgpr_count:     34
    .sgpr_spill_count: 0
    .symbol:         _ZL33flash_attn_stream_k_fixup_generalILi80ELi32ELi2EEvPfPK15HIP_vector_typeIfLj2EEiiiiS1_IjLj3EES5_S5_S5_.kd
    .uniform_work_group_size: 1
    .uses_dynamic_stack: false
    .vgpr_count:     19
    .vgpr_spill_count: 0
    .wavefront_size: 32
    .workgroup_processor_mode: 1
  - .args:
      - .address_space:  global
        .offset:         0
        .size:           8
        .value_kind:     global_buffer
      - .address_space:  global
        .offset:         8
        .size:           8
        .value_kind:     global_buffer
      - .address_space:  global
        .offset:         16
        .size:           8
        .value_kind:     global_buffer
      - .address_space:  global
        .offset:         24
        .size:           8
        .value_kind:     global_buffer
      - .address_space:  global
        .offset:         32
        .size:           8
        .value_kind:     global_buffer
      - .address_space:  global
        .offset:         40
        .size:           8
        .value_kind:     global_buffer
      - .address_space:  global
        .offset:         48
        .size:           8
        .value_kind:     global_buffer
      - .address_space:  global
        .offset:         56
        .size:           8
        .value_kind:     global_buffer
      - .offset:         64
        .size:           4
        .value_kind:     by_value
      - .offset:         68
        .size:           4
        .value_kind:     by_value
      - .offset:         72
        .size:           4
        .value_kind:     by_value
      - .offset:         76
        .size:           4
        .value_kind:     by_value
      - .offset:         80
        .size:           4
        .value_kind:     by_value
      - .offset:         84
        .size:           4
        .value_kind:     by_value
      - .offset:         88
        .size:           4
        .value_kind:     by_value
      - .offset:         92
        .size:           12
        .value_kind:     by_value
      - .offset:         104
        .size:           4
        .value_kind:     by_value
      - .offset:         108
        .size:           4
        .value_kind:     by_value
      - .offset:         112
        .size:           4
        .value_kind:     by_value
      - .offset:         116
        .size:           4
        .value_kind:     by_value
      - .offset:         120
        .size:           4
        .value_kind:     by_value
      - .offset:         124
        .size:           4
        .value_kind:     by_value
      - .offset:         128
        .size:           4
        .value_kind:     by_value
      - .offset:         132
        .size:           4
        .value_kind:     by_value
      - .offset:         136
        .size:           4
        .value_kind:     by_value
      - .offset:         140
        .size:           4
        .value_kind:     by_value
      - .offset:         144
        .size:           4
        .value_kind:     by_value
      - .offset:         152
        .size:           8
        .value_kind:     by_value
      - .offset:         160
        .size:           4
        .value_kind:     by_value
      - .offset:         164
        .size:           4
        .value_kind:     by_value
      - .offset:         168
        .size:           8
        .value_kind:     by_value
      - .offset:         176
        .size:           4
        .value_kind:     by_value
      - .offset:         180
        .size:           4
        .value_kind:     by_value
      - .offset:         184
        .size:           4
        .value_kind:     by_value
      - .offset:         188
        .size:           4
        .value_kind:     by_value
      - .offset:         192
        .size:           4
        .value_kind:     by_value
      - .offset:         200
        .size:           8
        .value_kind:     by_value
      - .offset:         208
        .size:           4
        .value_kind:     hidden_block_count_x
      - .offset:         212
        .size:           4
        .value_kind:     hidden_block_count_y
      - .offset:         216
        .size:           4
        .value_kind:     hidden_block_count_z
      - .offset:         220
        .size:           2
        .value_kind:     hidden_group_size_x
      - .offset:         222
        .size:           2
        .value_kind:     hidden_group_size_y
      - .offset:         224
        .size:           2
        .value_kind:     hidden_group_size_z
      - .offset:         226
        .size:           2
        .value_kind:     hidden_remainder_x
      - .offset:         228
        .size:           2
        .value_kind:     hidden_remainder_y
      - .offset:         230
        .size:           2
        .value_kind:     hidden_remainder_z
      - .offset:         248
        .size:           8
        .value_kind:     hidden_global_offset_x
      - .offset:         256
        .size:           8
        .value_kind:     hidden_global_offset_y
      - .offset:         264
        .size:           8
        .value_kind:     hidden_global_offset_z
      - .offset:         272
        .size:           2
        .value_kind:     hidden_grid_dims
    .group_segment_fixed_size: 10432
    .kernarg_segment_align: 8
    .kernarg_segment_size: 464
    .language:       OpenCL C
    .language_version:
      - 2
      - 0
    .max_flat_workgroup_size: 256
    .name:           _ZL15flash_attn_tileILi80ELi80ELi16ELi2ELb0EEvPKcS1_S1_S1_S1_PKiPfP15HIP_vector_typeIfLj2EEffffjfiS5_IjLj3EEiiiiiiiiiiiliiliiiiil
    .private_segment_fixed_size: 0
    .sgpr_count:     50
    .sgpr_spill_count: 0
    .symbol:         _ZL15flash_attn_tileILi80ELi80ELi16ELi2ELb0EEvPKcS1_S1_S1_S1_PKiPfP15HIP_vector_typeIfLj2EEffffjfiS5_IjLj3EEiiiiiiiiiiiliiliiiiil.kd
    .uniform_work_group_size: 1
    .uses_dynamic_stack: false
    .vgpr_count:     134
    .vgpr_spill_count: 0
    .wavefront_size: 32
    .workgroup_processor_mode: 1
  - .args:
      - .address_space:  global
        .offset:         0
        .size:           8
        .value_kind:     global_buffer
      - .address_space:  global
        .offset:         8
        .size:           8
        .value_kind:     global_buffer
      - .offset:         16
        .size:           4
        .value_kind:     by_value
      - .offset:         20
        .size:           4
        .value_kind:     by_value
      - .offset:         24
        .size:           4
        .value_kind:     by_value
      - .offset:         28
        .size:           4
        .value_kind:     by_value
      - .offset:         32
        .size:           4
        .value_kind:     by_value
      - .offset:         36
        .size:           4
        .value_kind:     by_value
      - .offset:         40
        .size:           12
        .value_kind:     by_value
      - .offset:         52
        .size:           12
        .value_kind:     by_value
      - .offset:         64
        .size:           12
        .value_kind:     by_value
    .group_segment_fixed_size: 0
    .kernarg_segment_align: 8
    .kernarg_segment_size: 76
    .language:       OpenCL C
    .language_version:
      - 2
      - 0
    .max_flat_workgroup_size: 80
    .name:           _ZL33flash_attn_stream_k_fixup_uniformILi80ELi16ELi2EEvPfPK15HIP_vector_typeIfLj2EEiiiiiiS1_IjLj3EES5_S5_
    .private_segment_fixed_size: 0
    .sgpr_count:     22
    .sgpr_spill_count: 0
    .symbol:         _ZL33flash_attn_stream_k_fixup_uniformILi80ELi16ELi2EEvPfPK15HIP_vector_typeIfLj2EEiiiiiiS1_IjLj3EES5_S5_.kd
    .uniform_work_group_size: 1
    .uses_dynamic_stack: false
    .vgpr_count:     15
    .vgpr_spill_count: 0
    .wavefront_size: 32
    .workgroup_processor_mode: 1
  - .args:
      - .address_space:  global
        .offset:         0
        .size:           8
        .value_kind:     global_buffer
      - .address_space:  global
        .offset:         8
        .size:           8
        .value_kind:     global_buffer
      - .offset:         16
        .size:           4
        .value_kind:     by_value
      - .offset:         20
        .size:           4
        .value_kind:     by_value
      - .offset:         24
        .size:           4
        .value_kind:     by_value
      - .offset:         28
        .size:           4
        .value_kind:     by_value
      - .offset:         32
        .size:           12
        .value_kind:     by_value
      - .offset:         44
        .size:           12
        .value_kind:     by_value
      - .offset:         56
        .size:           12
        .value_kind:     by_value
      - .offset:         68
        .size:           12
        .value_kind:     by_value
      - .offset:         80
        .size:           4
        .value_kind:     hidden_block_count_x
      - .offset:         84
        .size:           4
        .value_kind:     hidden_block_count_y
      - .offset:         88
        .size:           4
        .value_kind:     hidden_block_count_z
      - .offset:         92
        .size:           2
        .value_kind:     hidden_group_size_x
      - .offset:         94
        .size:           2
        .value_kind:     hidden_group_size_y
      - .offset:         96
        .size:           2
        .value_kind:     hidden_group_size_z
      - .offset:         98
        .size:           2
        .value_kind:     hidden_remainder_x
      - .offset:         100
        .size:           2
        .value_kind:     hidden_remainder_y
      - .offset:         102
        .size:           2
        .value_kind:     hidden_remainder_z
      - .offset:         120
        .size:           8
        .value_kind:     hidden_global_offset_x
      - .offset:         128
        .size:           8
        .value_kind:     hidden_global_offset_y
      - .offset:         136
        .size:           8
        .value_kind:     hidden_global_offset_z
      - .offset:         144
        .size:           2
        .value_kind:     hidden_grid_dims
    .group_segment_fixed_size: 0
    .kernarg_segment_align: 8
    .kernarg_segment_size: 336
    .language:       OpenCL C
    .language_version:
      - 2
      - 0
    .max_flat_workgroup_size: 80
    .name:           _ZL33flash_attn_stream_k_fixup_generalILi80ELi16ELi2EEvPfPK15HIP_vector_typeIfLj2EEiiiiS1_IjLj3EES5_S5_S5_
    .private_segment_fixed_size: 0
    .sgpr_count:     34
    .sgpr_spill_count: 0
    .symbol:         _ZL33flash_attn_stream_k_fixup_generalILi80ELi16ELi2EEvPfPK15HIP_vector_typeIfLj2EEiiiiS1_IjLj3EES5_S5_S5_.kd
    .uniform_work_group_size: 1
    .uses_dynamic_stack: false
    .vgpr_count:     19
    .vgpr_spill_count: 0
    .wavefront_size: 32
    .workgroup_processor_mode: 1
  - .args:
      - .address_space:  global
        .offset:         0
        .size:           8
        .value_kind:     global_buffer
      - .address_space:  global
        .offset:         8
        .size:           8
        .value_kind:     global_buffer
      - .address_space:  global
        .offset:         16
        .size:           8
        .value_kind:     global_buffer
      - .address_space:  global
        .offset:         24
        .size:           8
        .value_kind:     global_buffer
      - .address_space:  global
        .offset:         32
        .size:           8
        .value_kind:     global_buffer
      - .address_space:  global
        .offset:         40
        .size:           8
        .value_kind:     global_buffer
      - .address_space:  global
        .offset:         48
        .size:           8
        .value_kind:     global_buffer
      - .address_space:  global
        .offset:         56
        .size:           8
        .value_kind:     global_buffer
      - .offset:         64
        .size:           4
        .value_kind:     by_value
      - .offset:         68
        .size:           4
        .value_kind:     by_value
      - .offset:         72
        .size:           4
        .value_kind:     by_value
      - .offset:         76
        .size:           4
        .value_kind:     by_value
      - .offset:         80
        .size:           4
        .value_kind:     by_value
      - .offset:         84
        .size:           4
        .value_kind:     by_value
      - .offset:         88
        .size:           4
        .value_kind:     by_value
      - .offset:         92
        .size:           12
        .value_kind:     by_value
      - .offset:         104
        .size:           4
        .value_kind:     by_value
      - .offset:         108
        .size:           4
        .value_kind:     by_value
      - .offset:         112
        .size:           4
        .value_kind:     by_value
      - .offset:         116
        .size:           4
        .value_kind:     by_value
      - .offset:         120
        .size:           4
        .value_kind:     by_value
      - .offset:         124
        .size:           4
        .value_kind:     by_value
      - .offset:         128
        .size:           4
        .value_kind:     by_value
      - .offset:         132
        .size:           4
        .value_kind:     by_value
      - .offset:         136
        .size:           4
        .value_kind:     by_value
      - .offset:         140
        .size:           4
        .value_kind:     by_value
      - .offset:         144
        .size:           4
        .value_kind:     by_value
      - .offset:         152
        .size:           8
        .value_kind:     by_value
      - .offset:         160
        .size:           4
        .value_kind:     by_value
      - .offset:         164
        .size:           4
        .value_kind:     by_value
      - .offset:         168
        .size:           8
        .value_kind:     by_value
      - .offset:         176
        .size:           4
        .value_kind:     by_value
      - .offset:         180
        .size:           4
        .value_kind:     by_value
      - .offset:         184
        .size:           4
        .value_kind:     by_value
      - .offset:         188
        .size:           4
        .value_kind:     by_value
      - .offset:         192
        .size:           4
        .value_kind:     by_value
      - .offset:         200
        .size:           8
        .value_kind:     by_value
      - .offset:         208
        .size:           4
        .value_kind:     hidden_block_count_x
      - .offset:         212
        .size:           4
        .value_kind:     hidden_block_count_y
      - .offset:         216
        .size:           4
        .value_kind:     hidden_block_count_z
      - .offset:         220
        .size:           2
        .value_kind:     hidden_group_size_x
      - .offset:         222
        .size:           2
        .value_kind:     hidden_group_size_y
      - .offset:         224
        .size:           2
        .value_kind:     hidden_group_size_z
      - .offset:         226
        .size:           2
        .value_kind:     hidden_remainder_x
      - .offset:         228
        .size:           2
        .value_kind:     hidden_remainder_y
      - .offset:         230
        .size:           2
        .value_kind:     hidden_remainder_z
      - .offset:         248
        .size:           8
        .value_kind:     hidden_global_offset_x
      - .offset:         256
        .size:           8
        .value_kind:     hidden_global_offset_y
      - .offset:         264
        .size:           8
        .value_kind:     hidden_global_offset_z
      - .offset:         272
        .size:           2
        .value_kind:     hidden_grid_dims
    .group_segment_fixed_size: 6848
    .kernarg_segment_align: 8
    .kernarg_segment_size: 464
    .language:       OpenCL C
    .language_version:
      - 2
      - 0
    .max_flat_workgroup_size: 256
    .name:           _ZL15flash_attn_tileILi80ELi80ELi8ELi2ELb0EEvPKcS1_S1_S1_S1_PKiPfP15HIP_vector_typeIfLj2EEffffjfiS5_IjLj3EEiiiiiiiiiiiliiliiiiil
    .private_segment_fixed_size: 0
    .sgpr_count:     50
    .sgpr_spill_count: 0
    .symbol:         _ZL15flash_attn_tileILi80ELi80ELi8ELi2ELb0EEvPKcS1_S1_S1_S1_PKiPfP15HIP_vector_typeIfLj2EEffffjfiS5_IjLj3EEiiiiiiiiiiiliiliiiiil.kd
    .uniform_work_group_size: 1
    .uses_dynamic_stack: false
    .vgpr_count:     99
    .vgpr_spill_count: 0
    .wavefront_size: 32
    .workgroup_processor_mode: 1
  - .args:
      - .address_space:  global
        .offset:         0
        .size:           8
        .value_kind:     global_buffer
      - .address_space:  global
        .offset:         8
        .size:           8
        .value_kind:     global_buffer
      - .offset:         16
        .size:           4
        .value_kind:     by_value
      - .offset:         20
        .size:           4
        .value_kind:     by_value
      - .offset:         24
        .size:           4
        .value_kind:     by_value
      - .offset:         28
        .size:           4
        .value_kind:     by_value
      - .offset:         32
        .size:           4
        .value_kind:     by_value
      - .offset:         36
        .size:           4
        .value_kind:     by_value
      - .offset:         40
        .size:           12
        .value_kind:     by_value
      - .offset:         52
        .size:           12
        .value_kind:     by_value
      - .offset:         64
        .size:           12
        .value_kind:     by_value
    .group_segment_fixed_size: 0
    .kernarg_segment_align: 8
    .kernarg_segment_size: 76
    .language:       OpenCL C
    .language_version:
      - 2
      - 0
    .max_flat_workgroup_size: 80
    .name:           _ZL33flash_attn_stream_k_fixup_uniformILi80ELi8ELi2EEvPfPK15HIP_vector_typeIfLj2EEiiiiiiS1_IjLj3EES5_S5_
    .private_segment_fixed_size: 0
    .sgpr_count:     22
    .sgpr_spill_count: 0
    .symbol:         _ZL33flash_attn_stream_k_fixup_uniformILi80ELi8ELi2EEvPfPK15HIP_vector_typeIfLj2EEiiiiiiS1_IjLj3EES5_S5_.kd
    .uniform_work_group_size: 1
    .uses_dynamic_stack: false
    .vgpr_count:     15
    .vgpr_spill_count: 0
    .wavefront_size: 32
    .workgroup_processor_mode: 1
  - .args:
      - .address_space:  global
        .offset:         0
        .size:           8
        .value_kind:     global_buffer
      - .address_space:  global
        .offset:         8
        .size:           8
        .value_kind:     global_buffer
      - .offset:         16
        .size:           4
        .value_kind:     by_value
      - .offset:         20
        .size:           4
        .value_kind:     by_value
      - .offset:         24
        .size:           4
        .value_kind:     by_value
      - .offset:         28
        .size:           4
        .value_kind:     by_value
      - .offset:         32
        .size:           12
        .value_kind:     by_value
      - .offset:         44
        .size:           12
        .value_kind:     by_value
      - .offset:         56
        .size:           12
        .value_kind:     by_value
      - .offset:         68
        .size:           12
        .value_kind:     by_value
      - .offset:         80
        .size:           4
        .value_kind:     hidden_block_count_x
      - .offset:         84
        .size:           4
        .value_kind:     hidden_block_count_y
      - .offset:         88
        .size:           4
        .value_kind:     hidden_block_count_z
      - .offset:         92
        .size:           2
        .value_kind:     hidden_group_size_x
      - .offset:         94
        .size:           2
        .value_kind:     hidden_group_size_y
      - .offset:         96
        .size:           2
        .value_kind:     hidden_group_size_z
      - .offset:         98
        .size:           2
        .value_kind:     hidden_remainder_x
      - .offset:         100
        .size:           2
        .value_kind:     hidden_remainder_y
      - .offset:         102
        .size:           2
        .value_kind:     hidden_remainder_z
      - .offset:         120
        .size:           8
        .value_kind:     hidden_global_offset_x
      - .offset:         128
        .size:           8
        .value_kind:     hidden_global_offset_y
      - .offset:         136
        .size:           8
        .value_kind:     hidden_global_offset_z
      - .offset:         144
        .size:           2
        .value_kind:     hidden_grid_dims
    .group_segment_fixed_size: 0
    .kernarg_segment_align: 8
    .kernarg_segment_size: 336
    .language:       OpenCL C
    .language_version:
      - 2
      - 0
    .max_flat_workgroup_size: 80
    .name:           _ZL33flash_attn_stream_k_fixup_generalILi80ELi8ELi2EEvPfPK15HIP_vector_typeIfLj2EEiiiiS1_IjLj3EES5_S5_S5_
    .private_segment_fixed_size: 0
    .sgpr_count:     34
    .sgpr_spill_count: 0
    .symbol:         _ZL33flash_attn_stream_k_fixup_generalILi80ELi8ELi2EEvPfPK15HIP_vector_typeIfLj2EEiiiiS1_IjLj3EES5_S5_S5_.kd
    .uniform_work_group_size: 1
    .uses_dynamic_stack: false
    .vgpr_count:     19
    .vgpr_spill_count: 0
    .wavefront_size: 32
    .workgroup_processor_mode: 1
  - .args:
      - .address_space:  global
        .offset:         0
        .size:           8
        .value_kind:     global_buffer
      - .address_space:  global
        .offset:         8
        .size:           8
        .value_kind:     global_buffer
      - .address_space:  global
        .offset:         16
        .size:           8
        .value_kind:     global_buffer
      - .address_space:  global
        .offset:         24
        .size:           8
        .value_kind:     global_buffer
      - .address_space:  global
        .offset:         32
        .size:           8
        .value_kind:     global_buffer
      - .address_space:  global
        .offset:         40
        .size:           8
        .value_kind:     global_buffer
      - .address_space:  global
        .offset:         48
        .size:           8
        .value_kind:     global_buffer
      - .address_space:  global
        .offset:         56
        .size:           8
        .value_kind:     global_buffer
      - .offset:         64
        .size:           4
        .value_kind:     by_value
      - .offset:         68
        .size:           4
        .value_kind:     by_value
      - .offset:         72
        .size:           4
        .value_kind:     by_value
      - .offset:         76
        .size:           4
        .value_kind:     by_value
      - .offset:         80
        .size:           4
        .value_kind:     by_value
      - .offset:         84
        .size:           4
        .value_kind:     by_value
      - .offset:         88
        .size:           4
        .value_kind:     by_value
      - .offset:         92
        .size:           12
        .value_kind:     by_value
      - .offset:         104
        .size:           4
        .value_kind:     by_value
      - .offset:         108
        .size:           4
        .value_kind:     by_value
      - .offset:         112
        .size:           4
        .value_kind:     by_value
      - .offset:         116
        .size:           4
        .value_kind:     by_value
      - .offset:         120
        .size:           4
        .value_kind:     by_value
      - .offset:         124
        .size:           4
        .value_kind:     by_value
      - .offset:         128
        .size:           4
        .value_kind:     by_value
      - .offset:         132
        .size:           4
        .value_kind:     by_value
      - .offset:         136
        .size:           4
        .value_kind:     by_value
      - .offset:         140
        .size:           4
        .value_kind:     by_value
      - .offset:         144
        .size:           4
        .value_kind:     by_value
      - .offset:         152
        .size:           8
        .value_kind:     by_value
      - .offset:         160
        .size:           4
        .value_kind:     by_value
      - .offset:         164
        .size:           4
        .value_kind:     by_value
      - .offset:         168
        .size:           8
        .value_kind:     by_value
      - .offset:         176
        .size:           4
        .value_kind:     by_value
      - .offset:         180
        .size:           4
        .value_kind:     by_value
      - .offset:         184
        .size:           4
        .value_kind:     by_value
      - .offset:         188
        .size:           4
        .value_kind:     by_value
      - .offset:         192
        .size:           4
        .value_kind:     by_value
      - .offset:         200
        .size:           8
        .value_kind:     by_value
      - .offset:         208
        .size:           4
        .value_kind:     hidden_block_count_x
      - .offset:         212
        .size:           4
        .value_kind:     hidden_block_count_y
      - .offset:         216
        .size:           4
        .value_kind:     hidden_block_count_z
      - .offset:         220
        .size:           2
        .value_kind:     hidden_group_size_x
      - .offset:         222
        .size:           2
        .value_kind:     hidden_group_size_y
      - .offset:         224
        .size:           2
        .value_kind:     hidden_group_size_z
      - .offset:         226
        .size:           2
        .value_kind:     hidden_remainder_x
      - .offset:         228
        .size:           2
        .value_kind:     hidden_remainder_y
      - .offset:         230
        .size:           2
        .value_kind:     hidden_remainder_z
      - .offset:         248
        .size:           8
        .value_kind:     hidden_global_offset_x
      - .offset:         256
        .size:           8
        .value_kind:     hidden_global_offset_y
      - .offset:         264
        .size:           8
        .value_kind:     hidden_global_offset_z
      - .offset:         272
        .size:           2
        .value_kind:     hidden_grid_dims
    .group_segment_fixed_size: 5056
    .kernarg_segment_align: 8
    .kernarg_segment_size: 464
    .language:       OpenCL C
    .language_version:
      - 2
      - 0
    .max_flat_workgroup_size: 256
    .name:           _ZL15flash_attn_tileILi80ELi80ELi4ELi2ELb0EEvPKcS1_S1_S1_S1_PKiPfP15HIP_vector_typeIfLj2EEffffjfiS5_IjLj3EEiiiiiiiiiiiliiliiiiil
    .private_segment_fixed_size: 0
    .sgpr_count:     46
    .sgpr_spill_count: 0
    .symbol:         _ZL15flash_attn_tileILi80ELi80ELi4ELi2ELb0EEvPKcS1_S1_S1_S1_PKiPfP15HIP_vector_typeIfLj2EEffffjfiS5_IjLj3EEiiiiiiiiiiiliiliiiiil.kd
    .uniform_work_group_size: 1
    .uses_dynamic_stack: false
    .vgpr_count:     85
    .vgpr_spill_count: 0
    .wavefront_size: 32
    .workgroup_processor_mode: 1
  - .args:
      - .address_space:  global
        .offset:         0
        .size:           8
        .value_kind:     global_buffer
      - .address_space:  global
        .offset:         8
        .size:           8
        .value_kind:     global_buffer
      - .offset:         16
        .size:           4
        .value_kind:     by_value
      - .offset:         20
        .size:           4
        .value_kind:     by_value
      - .offset:         24
        .size:           4
        .value_kind:     by_value
      - .offset:         28
        .size:           4
        .value_kind:     by_value
      - .offset:         32
        .size:           4
        .value_kind:     by_value
      - .offset:         36
        .size:           4
        .value_kind:     by_value
      - .offset:         40
        .size:           12
        .value_kind:     by_value
      - .offset:         52
        .size:           12
        .value_kind:     by_value
      - .offset:         64
        .size:           12
        .value_kind:     by_value
    .group_segment_fixed_size: 0
    .kernarg_segment_align: 8
    .kernarg_segment_size: 76
    .language:       OpenCL C
    .language_version:
      - 2
      - 0
    .max_flat_workgroup_size: 80
    .name:           _ZL33flash_attn_stream_k_fixup_uniformILi80ELi4ELi2EEvPfPK15HIP_vector_typeIfLj2EEiiiiiiS1_IjLj3EES5_S5_
    .private_segment_fixed_size: 0
    .sgpr_count:     22
    .sgpr_spill_count: 0
    .symbol:         _ZL33flash_attn_stream_k_fixup_uniformILi80ELi4ELi2EEvPfPK15HIP_vector_typeIfLj2EEiiiiiiS1_IjLj3EES5_S5_.kd
    .uniform_work_group_size: 1
    .uses_dynamic_stack: false
    .vgpr_count:     15
    .vgpr_spill_count: 0
    .wavefront_size: 32
    .workgroup_processor_mode: 1
  - .args:
      - .address_space:  global
        .offset:         0
        .size:           8
        .value_kind:     global_buffer
      - .address_space:  global
        .offset:         8
        .size:           8
        .value_kind:     global_buffer
      - .offset:         16
        .size:           4
        .value_kind:     by_value
      - .offset:         20
        .size:           4
        .value_kind:     by_value
      - .offset:         24
        .size:           4
        .value_kind:     by_value
      - .offset:         28
        .size:           4
        .value_kind:     by_value
      - .offset:         32
        .size:           12
        .value_kind:     by_value
      - .offset:         44
        .size:           12
        .value_kind:     by_value
      - .offset:         56
        .size:           12
        .value_kind:     by_value
      - .offset:         68
        .size:           12
        .value_kind:     by_value
      - .offset:         80
        .size:           4
        .value_kind:     hidden_block_count_x
      - .offset:         84
        .size:           4
        .value_kind:     hidden_block_count_y
      - .offset:         88
        .size:           4
        .value_kind:     hidden_block_count_z
      - .offset:         92
        .size:           2
        .value_kind:     hidden_group_size_x
      - .offset:         94
        .size:           2
        .value_kind:     hidden_group_size_y
      - .offset:         96
        .size:           2
        .value_kind:     hidden_group_size_z
      - .offset:         98
        .size:           2
        .value_kind:     hidden_remainder_x
      - .offset:         100
        .size:           2
        .value_kind:     hidden_remainder_y
      - .offset:         102
        .size:           2
        .value_kind:     hidden_remainder_z
      - .offset:         120
        .size:           8
        .value_kind:     hidden_global_offset_x
      - .offset:         128
        .size:           8
        .value_kind:     hidden_global_offset_y
      - .offset:         136
        .size:           8
        .value_kind:     hidden_global_offset_z
      - .offset:         144
        .size:           2
        .value_kind:     hidden_grid_dims
    .group_segment_fixed_size: 0
    .kernarg_segment_align: 8
    .kernarg_segment_size: 336
    .language:       OpenCL C
    .language_version:
      - 2
      - 0
    .max_flat_workgroup_size: 80
    .name:           _ZL33flash_attn_stream_k_fixup_generalILi80ELi4ELi2EEvPfPK15HIP_vector_typeIfLj2EEiiiiS1_IjLj3EES5_S5_S5_
    .private_segment_fixed_size: 0
    .sgpr_count:     34
    .sgpr_spill_count: 0
    .symbol:         _ZL33flash_attn_stream_k_fixup_generalILi80ELi4ELi2EEvPfPK15HIP_vector_typeIfLj2EEiiiiS1_IjLj3EES5_S5_S5_.kd
    .uniform_work_group_size: 1
    .uses_dynamic_stack: false
    .vgpr_count:     19
    .vgpr_spill_count: 0
    .wavefront_size: 32
    .workgroup_processor_mode: 1
  - .args:
      - .address_space:  global
        .offset:         0
        .size:           8
        .value_kind:     global_buffer
      - .address_space:  global
        .offset:         8
        .size:           8
        .value_kind:     global_buffer
      - .address_space:  global
        .offset:         16
        .size:           8
        .value_kind:     global_buffer
      - .address_space:  global
        .offset:         24
        .size:           8
        .value_kind:     global_buffer
      - .address_space:  global
        .offset:         32
        .size:           8
        .value_kind:     global_buffer
      - .address_space:  global
        .offset:         40
        .size:           8
        .value_kind:     global_buffer
      - .address_space:  global
        .offset:         48
        .size:           8
        .value_kind:     global_buffer
      - .address_space:  global
        .offset:         56
        .size:           8
        .value_kind:     global_buffer
      - .offset:         64
        .size:           4
        .value_kind:     by_value
      - .offset:         68
        .size:           4
        .value_kind:     by_value
      - .offset:         72
        .size:           4
        .value_kind:     by_value
      - .offset:         76
        .size:           4
        .value_kind:     by_value
      - .offset:         80
        .size:           4
        .value_kind:     by_value
      - .offset:         84
        .size:           4
        .value_kind:     by_value
      - .offset:         88
        .size:           4
        .value_kind:     by_value
      - .offset:         92
        .size:           12
        .value_kind:     by_value
      - .offset:         104
        .size:           4
        .value_kind:     by_value
      - .offset:         108
        .size:           4
        .value_kind:     by_value
      - .offset:         112
        .size:           4
        .value_kind:     by_value
      - .offset:         116
        .size:           4
        .value_kind:     by_value
      - .offset:         120
        .size:           4
        .value_kind:     by_value
      - .offset:         124
        .size:           4
        .value_kind:     by_value
      - .offset:         128
        .size:           4
        .value_kind:     by_value
      - .offset:         132
        .size:           4
        .value_kind:     by_value
      - .offset:         136
        .size:           4
        .value_kind:     by_value
      - .offset:         140
        .size:           4
        .value_kind:     by_value
      - .offset:         144
        .size:           4
        .value_kind:     by_value
      - .offset:         152
        .size:           8
        .value_kind:     by_value
      - .offset:         160
        .size:           4
        .value_kind:     by_value
      - .offset:         164
        .size:           4
        .value_kind:     by_value
      - .offset:         168
        .size:           8
        .value_kind:     by_value
      - .offset:         176
        .size:           4
        .value_kind:     by_value
      - .offset:         180
        .size:           4
        .value_kind:     by_value
      - .offset:         184
        .size:           4
        .value_kind:     by_value
      - .offset:         188
        .size:           4
        .value_kind:     by_value
      - .offset:         192
        .size:           4
        .value_kind:     by_value
      - .offset:         200
        .size:           8
        .value_kind:     by_value
      - .offset:         208
        .size:           4
        .value_kind:     hidden_block_count_x
      - .offset:         212
        .size:           4
        .value_kind:     hidden_block_count_y
      - .offset:         216
        .size:           4
        .value_kind:     hidden_block_count_z
      - .offset:         220
        .size:           2
        .value_kind:     hidden_group_size_x
      - .offset:         222
        .size:           2
        .value_kind:     hidden_group_size_y
      - .offset:         224
        .size:           2
        .value_kind:     hidden_group_size_z
      - .offset:         226
        .size:           2
        .value_kind:     hidden_remainder_x
      - .offset:         228
        .size:           2
        .value_kind:     hidden_remainder_y
      - .offset:         230
        .size:           2
        .value_kind:     hidden_remainder_z
      - .offset:         248
        .size:           8
        .value_kind:     hidden_global_offset_x
      - .offset:         256
        .size:           8
        .value_kind:     hidden_global_offset_y
      - .offset:         264
        .size:           8
        .value_kind:     hidden_global_offset_z
      - .offset:         272
        .size:           2
        .value_kind:     hidden_grid_dims
    .group_segment_fixed_size: 4160
    .kernarg_segment_align: 8
    .kernarg_segment_size: 464
    .language:       OpenCL C
    .language_version:
      - 2
      - 0
    .max_flat_workgroup_size: 128
    .name:           _ZL15flash_attn_tileILi80ELi80ELi2ELi2ELb0EEvPKcS1_S1_S1_S1_PKiPfP15HIP_vector_typeIfLj2EEffffjfiS5_IjLj3EEiiiiiiiiiiiliiliiiiil
    .private_segment_fixed_size: 0
    .sgpr_count:     46
    .sgpr_spill_count: 0
    .symbol:         _ZL15flash_attn_tileILi80ELi80ELi2ELi2ELb0EEvPKcS1_S1_S1_S1_PKiPfP15HIP_vector_typeIfLj2EEffffjfiS5_IjLj3EEiiiiiiiiiiiliiliiiiil.kd
    .uniform_work_group_size: 1
    .uses_dynamic_stack: false
    .vgpr_count:     86
    .vgpr_spill_count: 0
    .wavefront_size: 32
    .workgroup_processor_mode: 1
  - .args:
      - .address_space:  global
        .offset:         0
        .size:           8
        .value_kind:     global_buffer
      - .address_space:  global
        .offset:         8
        .size:           8
        .value_kind:     global_buffer
      - .offset:         16
        .size:           4
        .value_kind:     by_value
      - .offset:         20
        .size:           4
        .value_kind:     by_value
      - .offset:         24
        .size:           4
        .value_kind:     by_value
      - .offset:         28
        .size:           4
        .value_kind:     by_value
      - .offset:         32
        .size:           4
        .value_kind:     by_value
      - .offset:         36
        .size:           4
        .value_kind:     by_value
      - .offset:         40
        .size:           12
        .value_kind:     by_value
      - .offset:         52
        .size:           12
        .value_kind:     by_value
      - .offset:         64
        .size:           12
        .value_kind:     by_value
    .group_segment_fixed_size: 0
    .kernarg_segment_align: 8
    .kernarg_segment_size: 76
    .language:       OpenCL C
    .language_version:
      - 2
      - 0
    .max_flat_workgroup_size: 80
    .name:           _ZL33flash_attn_stream_k_fixup_uniformILi80ELi2ELi2EEvPfPK15HIP_vector_typeIfLj2EEiiiiiiS1_IjLj3EES5_S5_
    .private_segment_fixed_size: 0
    .sgpr_count:     22
    .sgpr_spill_count: 0
    .symbol:         _ZL33flash_attn_stream_k_fixup_uniformILi80ELi2ELi2EEvPfPK15HIP_vector_typeIfLj2EEiiiiiiS1_IjLj3EES5_S5_.kd
    .uniform_work_group_size: 1
    .uses_dynamic_stack: false
    .vgpr_count:     15
    .vgpr_spill_count: 0
    .wavefront_size: 32
    .workgroup_processor_mode: 1
  - .args:
      - .address_space:  global
        .offset:         0
        .size:           8
        .value_kind:     global_buffer
      - .address_space:  global
        .offset:         8
        .size:           8
        .value_kind:     global_buffer
      - .offset:         16
        .size:           4
        .value_kind:     by_value
      - .offset:         20
        .size:           4
        .value_kind:     by_value
      - .offset:         24
        .size:           4
        .value_kind:     by_value
      - .offset:         28
        .size:           4
        .value_kind:     by_value
      - .offset:         32
        .size:           12
        .value_kind:     by_value
      - .offset:         44
        .size:           12
        .value_kind:     by_value
      - .offset:         56
        .size:           12
        .value_kind:     by_value
      - .offset:         68
        .size:           12
        .value_kind:     by_value
      - .offset:         80
        .size:           4
        .value_kind:     hidden_block_count_x
      - .offset:         84
        .size:           4
        .value_kind:     hidden_block_count_y
      - .offset:         88
        .size:           4
        .value_kind:     hidden_block_count_z
      - .offset:         92
        .size:           2
        .value_kind:     hidden_group_size_x
      - .offset:         94
        .size:           2
        .value_kind:     hidden_group_size_y
      - .offset:         96
        .size:           2
        .value_kind:     hidden_group_size_z
      - .offset:         98
        .size:           2
        .value_kind:     hidden_remainder_x
      - .offset:         100
        .size:           2
        .value_kind:     hidden_remainder_y
      - .offset:         102
        .size:           2
        .value_kind:     hidden_remainder_z
      - .offset:         120
        .size:           8
        .value_kind:     hidden_global_offset_x
      - .offset:         128
        .size:           8
        .value_kind:     hidden_global_offset_y
      - .offset:         136
        .size:           8
        .value_kind:     hidden_global_offset_z
      - .offset:         144
        .size:           2
        .value_kind:     hidden_grid_dims
    .group_segment_fixed_size: 0
    .kernarg_segment_align: 8
    .kernarg_segment_size: 336
    .language:       OpenCL C
    .language_version:
      - 2
      - 0
    .max_flat_workgroup_size: 80
    .name:           _ZL33flash_attn_stream_k_fixup_generalILi80ELi2ELi2EEvPfPK15HIP_vector_typeIfLj2EEiiiiS1_IjLj3EES5_S5_S5_
    .private_segment_fixed_size: 0
    .sgpr_count:     34
    .sgpr_spill_count: 0
    .symbol:         _ZL33flash_attn_stream_k_fixup_generalILi80ELi2ELi2EEvPfPK15HIP_vector_typeIfLj2EEiiiiS1_IjLj3EES5_S5_S5_.kd
    .uniform_work_group_size: 1
    .uses_dynamic_stack: false
    .vgpr_count:     19
    .vgpr_spill_count: 0
    .wavefront_size: 32
    .workgroup_processor_mode: 1
  - .args:
      - .address_space:  global
        .offset:         0
        .size:           8
        .value_kind:     global_buffer
      - .address_space:  global
        .offset:         8
        .size:           8
        .value_kind:     global_buffer
      - .address_space:  global
        .offset:         16
        .size:           8
        .value_kind:     global_buffer
      - .address_space:  global
        .offset:         24
        .size:           8
        .value_kind:     global_buffer
      - .address_space:  global
        .offset:         32
        .size:           8
        .value_kind:     global_buffer
      - .address_space:  global
        .offset:         40
        .size:           8
        .value_kind:     global_buffer
      - .address_space:  global
        .offset:         48
        .size:           8
        .value_kind:     global_buffer
      - .address_space:  global
        .offset:         56
        .size:           8
        .value_kind:     global_buffer
      - .offset:         64
        .size:           4
        .value_kind:     by_value
      - .offset:         68
        .size:           4
        .value_kind:     by_value
      - .offset:         72
        .size:           4
        .value_kind:     by_value
      - .offset:         76
        .size:           4
        .value_kind:     by_value
      - .offset:         80
        .size:           4
        .value_kind:     by_value
      - .offset:         84
        .size:           4
        .value_kind:     by_value
      - .offset:         88
        .size:           4
        .value_kind:     by_value
      - .offset:         92
        .size:           12
        .value_kind:     by_value
      - .offset:         104
        .size:           4
        .value_kind:     by_value
      - .offset:         108
        .size:           4
        .value_kind:     by_value
      - .offset:         112
        .size:           4
        .value_kind:     by_value
      - .offset:         116
        .size:           4
        .value_kind:     by_value
      - .offset:         120
        .size:           4
        .value_kind:     by_value
      - .offset:         124
        .size:           4
        .value_kind:     by_value
      - .offset:         128
        .size:           4
        .value_kind:     by_value
      - .offset:         132
        .size:           4
        .value_kind:     by_value
      - .offset:         136
        .size:           4
        .value_kind:     by_value
      - .offset:         140
        .size:           4
        .value_kind:     by_value
      - .offset:         144
        .size:           4
        .value_kind:     by_value
      - .offset:         152
        .size:           8
        .value_kind:     by_value
      - .offset:         160
        .size:           4
        .value_kind:     by_value
      - .offset:         164
        .size:           4
        .value_kind:     by_value
      - .offset:         168
        .size:           8
        .value_kind:     by_value
      - .offset:         176
        .size:           4
        .value_kind:     by_value
      - .offset:         180
        .size:           4
        .value_kind:     by_value
      - .offset:         184
        .size:           4
        .value_kind:     by_value
      - .offset:         188
        .size:           4
        .value_kind:     by_value
      - .offset:         192
        .size:           4
        .value_kind:     by_value
      - .offset:         200
        .size:           8
        .value_kind:     by_value
      - .offset:         208
        .size:           4
        .value_kind:     hidden_block_count_x
      - .offset:         212
        .size:           4
        .value_kind:     hidden_block_count_y
      - .offset:         216
        .size:           4
        .value_kind:     hidden_block_count_z
      - .offset:         220
        .size:           2
        .value_kind:     hidden_group_size_x
      - .offset:         222
        .size:           2
        .value_kind:     hidden_group_size_y
      - .offset:         224
        .size:           2
        .value_kind:     hidden_group_size_z
      - .offset:         226
        .size:           2
        .value_kind:     hidden_remainder_x
      - .offset:         228
        .size:           2
        .value_kind:     hidden_remainder_y
      - .offset:         230
        .size:           2
        .value_kind:     hidden_remainder_z
      - .offset:         248
        .size:           8
        .value_kind:     hidden_global_offset_x
      - .offset:         256
        .size:           8
        .value_kind:     hidden_global_offset_y
      - .offset:         264
        .size:           8
        .value_kind:     hidden_global_offset_z
      - .offset:         272
        .size:           2
        .value_kind:     hidden_grid_dims
    .group_segment_fixed_size: 3712
    .kernarg_segment_align: 8
    .kernarg_segment_size: 464
    .language:       OpenCL C
    .language_version:
      - 2
      - 0
    .max_flat_workgroup_size: 64
    .name:           _ZL15flash_attn_tileILi80ELi80ELi1ELi2ELb0EEvPKcS1_S1_S1_S1_PKiPfP15HIP_vector_typeIfLj2EEffffjfiS5_IjLj3EEiiiiiiiiiiiliiliiiiil
    .private_segment_fixed_size: 0
    .sgpr_count:     46
    .sgpr_spill_count: 0
    .symbol:         _ZL15flash_attn_tileILi80ELi80ELi1ELi2ELb0EEvPKcS1_S1_S1_S1_PKiPfP15HIP_vector_typeIfLj2EEffffjfiS5_IjLj3EEiiiiiiiiiiiliiliiiiil.kd
    .uniform_work_group_size: 1
    .uses_dynamic_stack: false
    .vgpr_count:     96
    .vgpr_spill_count: 0
    .wavefront_size: 32
    .workgroup_processor_mode: 1
  - .args:
      - .address_space:  global
        .offset:         0
        .size:           8
        .value_kind:     global_buffer
      - .address_space:  global
        .offset:         8
        .size:           8
        .value_kind:     global_buffer
      - .offset:         16
        .size:           4
        .value_kind:     by_value
      - .offset:         20
        .size:           4
        .value_kind:     by_value
      - .offset:         24
        .size:           4
        .value_kind:     by_value
      - .offset:         28
        .size:           4
        .value_kind:     by_value
      - .offset:         32
        .size:           4
        .value_kind:     by_value
      - .offset:         36
        .size:           4
        .value_kind:     by_value
      - .offset:         40
        .size:           12
        .value_kind:     by_value
      - .offset:         52
        .size:           12
        .value_kind:     by_value
      - .offset:         64
        .size:           12
        .value_kind:     by_value
    .group_segment_fixed_size: 0
    .kernarg_segment_align: 8
    .kernarg_segment_size: 76
    .language:       OpenCL C
    .language_version:
      - 2
      - 0
    .max_flat_workgroup_size: 80
    .name:           _ZL33flash_attn_stream_k_fixup_uniformILi80ELi1ELi2EEvPfPK15HIP_vector_typeIfLj2EEiiiiiiS1_IjLj3EES5_S5_
    .private_segment_fixed_size: 0
    .sgpr_count:     22
    .sgpr_spill_count: 0
    .symbol:         _ZL33flash_attn_stream_k_fixup_uniformILi80ELi1ELi2EEvPfPK15HIP_vector_typeIfLj2EEiiiiiiS1_IjLj3EES5_S5_.kd
    .uniform_work_group_size: 1
    .uses_dynamic_stack: false
    .vgpr_count:     15
    .vgpr_spill_count: 0
    .wavefront_size: 32
    .workgroup_processor_mode: 1
  - .args:
      - .address_space:  global
        .offset:         0
        .size:           8
        .value_kind:     global_buffer
      - .address_space:  global
        .offset:         8
        .size:           8
        .value_kind:     global_buffer
      - .offset:         16
        .size:           4
        .value_kind:     by_value
      - .offset:         20
        .size:           4
        .value_kind:     by_value
      - .offset:         24
        .size:           4
        .value_kind:     by_value
      - .offset:         28
        .size:           4
        .value_kind:     by_value
      - .offset:         32
        .size:           12
        .value_kind:     by_value
      - .offset:         44
        .size:           12
        .value_kind:     by_value
      - .offset:         56
        .size:           12
        .value_kind:     by_value
      - .offset:         68
        .size:           12
        .value_kind:     by_value
      - .offset:         80
        .size:           4
        .value_kind:     hidden_block_count_x
      - .offset:         84
        .size:           4
        .value_kind:     hidden_block_count_y
      - .offset:         88
        .size:           4
        .value_kind:     hidden_block_count_z
      - .offset:         92
        .size:           2
        .value_kind:     hidden_group_size_x
      - .offset:         94
        .size:           2
        .value_kind:     hidden_group_size_y
      - .offset:         96
        .size:           2
        .value_kind:     hidden_group_size_z
      - .offset:         98
        .size:           2
        .value_kind:     hidden_remainder_x
      - .offset:         100
        .size:           2
        .value_kind:     hidden_remainder_y
      - .offset:         102
        .size:           2
        .value_kind:     hidden_remainder_z
      - .offset:         120
        .size:           8
        .value_kind:     hidden_global_offset_x
      - .offset:         128
        .size:           8
        .value_kind:     hidden_global_offset_y
      - .offset:         136
        .size:           8
        .value_kind:     hidden_global_offset_z
      - .offset:         144
        .size:           2
        .value_kind:     hidden_grid_dims
    .group_segment_fixed_size: 0
    .kernarg_segment_align: 8
    .kernarg_segment_size: 336
    .language:       OpenCL C
    .language_version:
      - 2
      - 0
    .max_flat_workgroup_size: 80
    .name:           _ZL33flash_attn_stream_k_fixup_generalILi80ELi1ELi2EEvPfPK15HIP_vector_typeIfLj2EEiiiiS1_IjLj3EES5_S5_S5_
    .private_segment_fixed_size: 0
    .sgpr_count:     34
    .sgpr_spill_count: 0
    .symbol:         _ZL33flash_attn_stream_k_fixup_generalILi80ELi1ELi2EEvPfPK15HIP_vector_typeIfLj2EEiiiiS1_IjLj3EES5_S5_S5_.kd
    .uniform_work_group_size: 1
    .uses_dynamic_stack: false
    .vgpr_count:     19
    .vgpr_spill_count: 0
    .wavefront_size: 32
    .workgroup_processor_mode: 1
  - .args:
      - .address_space:  global
        .offset:         0
        .size:           8
        .value_kind:     global_buffer
      - .address_space:  global
        .offset:         8
        .size:           8
        .value_kind:     global_buffer
      - .address_space:  global
        .offset:         16
        .size:           8
        .value_kind:     global_buffer
      - .address_space:  global
        .offset:         24
        .size:           8
        .value_kind:     global_buffer
      - .address_space:  global
        .offset:         32
        .size:           8
        .value_kind:     global_buffer
      - .address_space:  global
        .offset:         40
        .size:           8
        .value_kind:     global_buffer
      - .address_space:  global
        .offset:         48
        .size:           8
        .value_kind:     global_buffer
      - .address_space:  global
        .offset:         56
        .size:           8
        .value_kind:     global_buffer
      - .offset:         64
        .size:           4
        .value_kind:     by_value
      - .offset:         68
        .size:           4
        .value_kind:     by_value
      - .offset:         72
        .size:           4
        .value_kind:     by_value
      - .offset:         76
        .size:           4
        .value_kind:     by_value
      - .offset:         80
        .size:           4
        .value_kind:     by_value
      - .offset:         84
        .size:           4
        .value_kind:     by_value
      - .offset:         88
        .size:           4
        .value_kind:     by_value
      - .offset:         92
        .size:           12
        .value_kind:     by_value
      - .offset:         104
        .size:           4
        .value_kind:     by_value
      - .offset:         108
        .size:           4
        .value_kind:     by_value
      - .offset:         112
        .size:           4
        .value_kind:     by_value
      - .offset:         116
        .size:           4
        .value_kind:     by_value
      - .offset:         120
        .size:           4
        .value_kind:     by_value
      - .offset:         124
        .size:           4
        .value_kind:     by_value
      - .offset:         128
        .size:           4
        .value_kind:     by_value
      - .offset:         132
        .size:           4
        .value_kind:     by_value
      - .offset:         136
        .size:           4
        .value_kind:     by_value
      - .offset:         140
        .size:           4
        .value_kind:     by_value
      - .offset:         144
        .size:           4
        .value_kind:     by_value
      - .offset:         152
        .size:           8
        .value_kind:     by_value
      - .offset:         160
        .size:           4
        .value_kind:     by_value
      - .offset:         164
        .size:           4
        .value_kind:     by_value
      - .offset:         168
        .size:           8
        .value_kind:     by_value
      - .offset:         176
        .size:           4
        .value_kind:     by_value
      - .offset:         180
        .size:           4
        .value_kind:     by_value
      - .offset:         184
        .size:           4
        .value_kind:     by_value
      - .offset:         188
        .size:           4
        .value_kind:     by_value
      - .offset:         192
        .size:           4
        .value_kind:     by_value
      - .offset:         200
        .size:           8
        .value_kind:     by_value
      - .offset:         208
        .size:           4
        .value_kind:     hidden_block_count_x
      - .offset:         212
        .size:           4
        .value_kind:     hidden_block_count_y
      - .offset:         216
        .size:           4
        .value_kind:     hidden_block_count_z
      - .offset:         220
        .size:           2
        .value_kind:     hidden_group_size_x
      - .offset:         222
        .size:           2
        .value_kind:     hidden_group_size_y
      - .offset:         224
        .size:           2
        .value_kind:     hidden_group_size_z
      - .offset:         226
        .size:           2
        .value_kind:     hidden_remainder_x
      - .offset:         228
        .size:           2
        .value_kind:     hidden_remainder_y
      - .offset:         230
        .size:           2
        .value_kind:     hidden_remainder_z
      - .offset:         248
        .size:           8
        .value_kind:     hidden_global_offset_x
      - .offset:         256
        .size:           8
        .value_kind:     hidden_global_offset_y
      - .offset:         264
        .size:           8
        .value_kind:     hidden_global_offset_z
      - .offset:         272
        .size:           2
        .value_kind:     hidden_grid_dims
    .group_segment_fixed_size: 17600
    .kernarg_segment_align: 8
    .kernarg_segment_size: 464
    .language:       OpenCL C
    .language_version:
      - 2
      - 0
    .max_flat_workgroup_size: 256
    .name:           _ZL15flash_attn_tileILi80ELi80ELi64ELi1ELb0EEvPKcS1_S1_S1_S1_PKiPfP15HIP_vector_typeIfLj2EEffffjfiS5_IjLj3EEiiiiiiiiiiiliiliiiiil
    .private_segment_fixed_size: 32
    .sgpr_count:     59
    .sgpr_spill_count: 0
    .symbol:         _ZL15flash_attn_tileILi80ELi80ELi64ELi1ELb0EEvPKcS1_S1_S1_S1_PKiPfP15HIP_vector_typeIfLj2EEffffjfiS5_IjLj3EEiiiiiiiiiiiliiliiiiil.kd
    .uniform_work_group_size: 1
    .uses_dynamic_stack: false
    .vgpr_count:     220
    .vgpr_spill_count: 0
    .wavefront_size: 32
    .workgroup_processor_mode: 1
  - .args:
      - .actual_access:  read_only
        .address_space:  global
        .offset:         0
        .size:           8
        .value_kind:     global_buffer
      - .actual_access:  write_only
        .address_space:  global
        .offset:         8
        .size:           8
        .value_kind:     global_buffer
      - .offset:         16
        .size:           4
        .value_kind:     by_value
      - .offset:         20
        .size:           4
        .value_kind:     by_value
      - .offset:         24
        .size:           4
        .value_kind:     by_value
      - .offset:         32
        .size:           4
        .value_kind:     hidden_block_count_x
      - .offset:         36
        .size:           4
        .value_kind:     hidden_block_count_y
      - .offset:         40
        .size:           4
        .value_kind:     hidden_block_count_z
      - .offset:         44
        .size:           2
        .value_kind:     hidden_group_size_x
      - .offset:         46
        .size:           2
        .value_kind:     hidden_group_size_y
      - .offset:         48
        .size:           2
        .value_kind:     hidden_group_size_z
      - .offset:         50
        .size:           2
        .value_kind:     hidden_remainder_x
      - .offset:         52
        .size:           2
        .value_kind:     hidden_remainder_y
      - .offset:         54
        .size:           2
        .value_kind:     hidden_remainder_z
      - .offset:         72
        .size:           8
        .value_kind:     hidden_global_offset_x
      - .offset:         80
        .size:           8
        .value_kind:     hidden_global_offset_y
      - .offset:         88
        .size:           8
        .value_kind:     hidden_global_offset_z
      - .offset:         96
        .size:           2
        .value_kind:     hidden_grid_dims
    .group_segment_fixed_size: 128
    .kernarg_segment_align: 8
    .kernarg_segment_size: 288
    .language:       OpenCL C
    .language_version:
      - 2
      - 0
    .max_flat_workgroup_size: 128
    .name:           _ZL25flash_attn_mask_to_KV_maxILi64EEvPK7__half2Piiii
    .private_segment_fixed_size: 0
    .sgpr_count:     107
    .sgpr_spill_count: 33
    .symbol:         _ZL25flash_attn_mask_to_KV_maxILi64EEvPK7__half2Piiii.kd
    .uniform_work_group_size: 1
    .uses_dynamic_stack: false
    .vgpr_count:     11
    .vgpr_spill_count: 0
    .wavefront_size: 32
    .workgroup_processor_mode: 1
  - .args:
      - .address_space:  global
        .offset:         0
        .size:           8
        .value_kind:     global_buffer
      - .address_space:  global
        .offset:         8
        .size:           8
        .value_kind:     global_buffer
      - .offset:         16
        .size:           4
        .value_kind:     by_value
      - .offset:         20
        .size:           4
        .value_kind:     by_value
      - .offset:         24
        .size:           4
        .value_kind:     by_value
      - .offset:         28
        .size:           4
        .value_kind:     by_value
      - .offset:         32
        .size:           4
        .value_kind:     by_value
      - .offset:         36
        .size:           4
        .value_kind:     by_value
      - .offset:         40
        .size:           12
        .value_kind:     by_value
      - .offset:         52
        .size:           12
        .value_kind:     by_value
      - .offset:         64
        .size:           12
        .value_kind:     by_value
    .group_segment_fixed_size: 0
    .kernarg_segment_align: 8
    .kernarg_segment_size: 76
    .language:       OpenCL C
    .language_version:
      - 2
      - 0
    .max_flat_workgroup_size: 80
    .name:           _ZL33flash_attn_stream_k_fixup_uniformILi80ELi64ELi1EEvPfPK15HIP_vector_typeIfLj2EEiiiiiiS1_IjLj3EES5_S5_
    .private_segment_fixed_size: 0
    .sgpr_count:     22
    .sgpr_spill_count: 0
    .symbol:         _ZL33flash_attn_stream_k_fixup_uniformILi80ELi64ELi1EEvPfPK15HIP_vector_typeIfLj2EEiiiiiiS1_IjLj3EES5_S5_.kd
    .uniform_work_group_size: 1
    .uses_dynamic_stack: false
    .vgpr_count:     15
    .vgpr_spill_count: 0
    .wavefront_size: 32
    .workgroup_processor_mode: 1
  - .args:
      - .address_space:  global
        .offset:         0
        .size:           8
        .value_kind:     global_buffer
      - .address_space:  global
        .offset:         8
        .size:           8
        .value_kind:     global_buffer
      - .offset:         16
        .size:           4
        .value_kind:     by_value
      - .offset:         20
        .size:           4
        .value_kind:     by_value
      - .offset:         24
        .size:           4
        .value_kind:     by_value
      - .offset:         28
        .size:           4
        .value_kind:     by_value
      - .offset:         32
        .size:           12
        .value_kind:     by_value
      - .offset:         44
        .size:           12
        .value_kind:     by_value
      - .offset:         56
        .size:           12
        .value_kind:     by_value
      - .offset:         68
        .size:           12
        .value_kind:     by_value
      - .offset:         80
        .size:           4
        .value_kind:     hidden_block_count_x
      - .offset:         84
        .size:           4
        .value_kind:     hidden_block_count_y
      - .offset:         88
        .size:           4
        .value_kind:     hidden_block_count_z
      - .offset:         92
        .size:           2
        .value_kind:     hidden_group_size_x
      - .offset:         94
        .size:           2
        .value_kind:     hidden_group_size_y
      - .offset:         96
        .size:           2
        .value_kind:     hidden_group_size_z
      - .offset:         98
        .size:           2
        .value_kind:     hidden_remainder_x
      - .offset:         100
        .size:           2
        .value_kind:     hidden_remainder_y
      - .offset:         102
        .size:           2
        .value_kind:     hidden_remainder_z
      - .offset:         120
        .size:           8
        .value_kind:     hidden_global_offset_x
      - .offset:         128
        .size:           8
        .value_kind:     hidden_global_offset_y
      - .offset:         136
        .size:           8
        .value_kind:     hidden_global_offset_z
      - .offset:         144
        .size:           2
        .value_kind:     hidden_grid_dims
    .group_segment_fixed_size: 0
    .kernarg_segment_align: 8
    .kernarg_segment_size: 336
    .language:       OpenCL C
    .language_version:
      - 2
      - 0
    .max_flat_workgroup_size: 80
    .name:           _ZL33flash_attn_stream_k_fixup_generalILi80ELi64ELi1EEvPfPK15HIP_vector_typeIfLj2EEiiiiS1_IjLj3EES5_S5_S5_
    .private_segment_fixed_size: 0
    .sgpr_count:     34
    .sgpr_spill_count: 0
    .symbol:         _ZL33flash_attn_stream_k_fixup_generalILi80ELi64ELi1EEvPfPK15HIP_vector_typeIfLj2EEiiiiS1_IjLj3EES5_S5_S5_.kd
    .uniform_work_group_size: 1
    .uses_dynamic_stack: false
    .vgpr_count:     19
    .vgpr_spill_count: 0
    .wavefront_size: 32
    .workgroup_processor_mode: 1
  - .args:
      - .address_space:  global
        .offset:         0
        .size:           8
        .value_kind:     global_buffer
      - .address_space:  global
        .offset:         8
        .size:           8
        .value_kind:     global_buffer
      - .address_space:  global
        .offset:         16
        .size:           8
        .value_kind:     global_buffer
      - .address_space:  global
        .offset:         24
        .size:           8
        .value_kind:     global_buffer
      - .address_space:  global
        .offset:         32
        .size:           8
        .value_kind:     global_buffer
      - .address_space:  global
        .offset:         40
        .size:           8
        .value_kind:     global_buffer
      - .address_space:  global
        .offset:         48
        .size:           8
        .value_kind:     global_buffer
      - .address_space:  global
        .offset:         56
        .size:           8
        .value_kind:     global_buffer
      - .offset:         64
        .size:           4
        .value_kind:     by_value
      - .offset:         68
        .size:           4
        .value_kind:     by_value
      - .offset:         72
        .size:           4
        .value_kind:     by_value
      - .offset:         76
        .size:           4
        .value_kind:     by_value
      - .offset:         80
        .size:           4
        .value_kind:     by_value
      - .offset:         84
        .size:           4
        .value_kind:     by_value
      - .offset:         88
        .size:           4
        .value_kind:     by_value
      - .offset:         92
        .size:           12
        .value_kind:     by_value
      - .offset:         104
        .size:           4
        .value_kind:     by_value
      - .offset:         108
        .size:           4
        .value_kind:     by_value
      - .offset:         112
        .size:           4
        .value_kind:     by_value
      - .offset:         116
        .size:           4
        .value_kind:     by_value
      - .offset:         120
        .size:           4
        .value_kind:     by_value
      - .offset:         124
        .size:           4
        .value_kind:     by_value
      - .offset:         128
        .size:           4
        .value_kind:     by_value
      - .offset:         132
        .size:           4
        .value_kind:     by_value
      - .offset:         136
        .size:           4
        .value_kind:     by_value
      - .offset:         140
        .size:           4
        .value_kind:     by_value
      - .offset:         144
        .size:           4
        .value_kind:     by_value
      - .offset:         152
        .size:           8
        .value_kind:     by_value
      - .offset:         160
        .size:           4
        .value_kind:     by_value
      - .offset:         164
        .size:           4
        .value_kind:     by_value
      - .offset:         168
        .size:           8
        .value_kind:     by_value
      - .offset:         176
        .size:           4
        .value_kind:     by_value
      - .offset:         180
        .size:           4
        .value_kind:     by_value
      - .offset:         184
        .size:           4
        .value_kind:     by_value
      - .offset:         188
        .size:           4
        .value_kind:     by_value
      - .offset:         192
        .size:           4
        .value_kind:     by_value
      - .offset:         200
        .size:           8
        .value_kind:     by_value
      - .offset:         208
        .size:           4
        .value_kind:     hidden_block_count_x
      - .offset:         212
        .size:           4
        .value_kind:     hidden_block_count_y
      - .offset:         216
        .size:           4
        .value_kind:     hidden_block_count_z
      - .offset:         220
        .size:           2
        .value_kind:     hidden_group_size_x
      - .offset:         222
        .size:           2
        .value_kind:     hidden_group_size_y
      - .offset:         224
        .size:           2
        .value_kind:     hidden_group_size_z
      - .offset:         226
        .size:           2
        .value_kind:     hidden_remainder_x
      - .offset:         228
        .size:           2
        .value_kind:     hidden_remainder_y
      - .offset:         230
        .size:           2
        .value_kind:     hidden_remainder_z
      - .offset:         248
        .size:           8
        .value_kind:     hidden_global_offset_x
      - .offset:         256
        .size:           8
        .value_kind:     hidden_global_offset_y
      - .offset:         264
        .size:           8
        .value_kind:     hidden_global_offset_z
      - .offset:         272
        .size:           2
        .value_kind:     hidden_grid_dims
    .group_segment_fixed_size: 14528
    .kernarg_segment_align: 8
    .kernarg_segment_size: 464
    .language:       OpenCL C
    .language_version:
      - 2
      - 0
    .max_flat_workgroup_size: 256
    .name:           _ZL15flash_attn_tileILi80ELi80ELi32ELi1ELb0EEvPKcS1_S1_S1_S1_PKiPfP15HIP_vector_typeIfLj2EEffffjfiS5_IjLj3EEiiiiiiiiiiiliiliiiiil
    .private_segment_fixed_size: 32
    .sgpr_count:     53
    .sgpr_spill_count: 0
    .symbol:         _ZL15flash_attn_tileILi80ELi80ELi32ELi1ELb0EEvPKcS1_S1_S1_S1_PKiPfP15HIP_vector_typeIfLj2EEffffjfiS5_IjLj3EEiiiiiiiiiiiliiliiiiil.kd
    .uniform_work_group_size: 1
    .uses_dynamic_stack: false
    .vgpr_count:     142
    .vgpr_spill_count: 0
    .wavefront_size: 32
    .workgroup_processor_mode: 1
  - .args:
      - .address_space:  global
        .offset:         0
        .size:           8
        .value_kind:     global_buffer
      - .address_space:  global
        .offset:         8
        .size:           8
        .value_kind:     global_buffer
      - .offset:         16
        .size:           4
        .value_kind:     by_value
      - .offset:         20
        .size:           4
        .value_kind:     by_value
      - .offset:         24
        .size:           4
        .value_kind:     by_value
      - .offset:         28
        .size:           4
        .value_kind:     by_value
      - .offset:         32
        .size:           4
        .value_kind:     by_value
      - .offset:         36
        .size:           4
        .value_kind:     by_value
      - .offset:         40
        .size:           12
        .value_kind:     by_value
      - .offset:         52
        .size:           12
        .value_kind:     by_value
      - .offset:         64
        .size:           12
        .value_kind:     by_value
    .group_segment_fixed_size: 0
    .kernarg_segment_align: 8
    .kernarg_segment_size: 76
    .language:       OpenCL C
    .language_version:
      - 2
      - 0
    .max_flat_workgroup_size: 80
    .name:           _ZL33flash_attn_stream_k_fixup_uniformILi80ELi32ELi1EEvPfPK15HIP_vector_typeIfLj2EEiiiiiiS1_IjLj3EES5_S5_
    .private_segment_fixed_size: 0
    .sgpr_count:     22
    .sgpr_spill_count: 0
    .symbol:         _ZL33flash_attn_stream_k_fixup_uniformILi80ELi32ELi1EEvPfPK15HIP_vector_typeIfLj2EEiiiiiiS1_IjLj3EES5_S5_.kd
    .uniform_work_group_size: 1
    .uses_dynamic_stack: false
    .vgpr_count:     15
    .vgpr_spill_count: 0
    .wavefront_size: 32
    .workgroup_processor_mode: 1
  - .args:
      - .address_space:  global
        .offset:         0
        .size:           8
        .value_kind:     global_buffer
      - .address_space:  global
        .offset:         8
        .size:           8
        .value_kind:     global_buffer
      - .offset:         16
        .size:           4
        .value_kind:     by_value
      - .offset:         20
        .size:           4
        .value_kind:     by_value
      - .offset:         24
        .size:           4
        .value_kind:     by_value
      - .offset:         28
        .size:           4
        .value_kind:     by_value
      - .offset:         32
        .size:           12
        .value_kind:     by_value
      - .offset:         44
        .size:           12
        .value_kind:     by_value
      - .offset:         56
        .size:           12
        .value_kind:     by_value
      - .offset:         68
        .size:           12
        .value_kind:     by_value
      - .offset:         80
        .size:           4
        .value_kind:     hidden_block_count_x
      - .offset:         84
        .size:           4
        .value_kind:     hidden_block_count_y
      - .offset:         88
        .size:           4
        .value_kind:     hidden_block_count_z
      - .offset:         92
        .size:           2
        .value_kind:     hidden_group_size_x
      - .offset:         94
        .size:           2
        .value_kind:     hidden_group_size_y
      - .offset:         96
        .size:           2
        .value_kind:     hidden_group_size_z
      - .offset:         98
        .size:           2
        .value_kind:     hidden_remainder_x
      - .offset:         100
        .size:           2
        .value_kind:     hidden_remainder_y
      - .offset:         102
        .size:           2
        .value_kind:     hidden_remainder_z
      - .offset:         120
        .size:           8
        .value_kind:     hidden_global_offset_x
      - .offset:         128
        .size:           8
        .value_kind:     hidden_global_offset_y
      - .offset:         136
        .size:           8
        .value_kind:     hidden_global_offset_z
      - .offset:         144
        .size:           2
        .value_kind:     hidden_grid_dims
    .group_segment_fixed_size: 0
    .kernarg_segment_align: 8
    .kernarg_segment_size: 336
    .language:       OpenCL C
    .language_version:
      - 2
      - 0
    .max_flat_workgroup_size: 80
    .name:           _ZL33flash_attn_stream_k_fixup_generalILi80ELi32ELi1EEvPfPK15HIP_vector_typeIfLj2EEiiiiS1_IjLj3EES5_S5_S5_
    .private_segment_fixed_size: 0
    .sgpr_count:     34
    .sgpr_spill_count: 0
    .symbol:         _ZL33flash_attn_stream_k_fixup_generalILi80ELi32ELi1EEvPfPK15HIP_vector_typeIfLj2EEiiiiS1_IjLj3EES5_S5_S5_.kd
    .uniform_work_group_size: 1
    .uses_dynamic_stack: false
    .vgpr_count:     19
    .vgpr_spill_count: 0
    .wavefront_size: 32
    .workgroup_processor_mode: 1
  - .args:
      - .address_space:  global
        .offset:         0
        .size:           8
        .value_kind:     global_buffer
      - .address_space:  global
        .offset:         8
        .size:           8
        .value_kind:     global_buffer
      - .address_space:  global
        .offset:         16
        .size:           8
        .value_kind:     global_buffer
      - .address_space:  global
        .offset:         24
        .size:           8
        .value_kind:     global_buffer
      - .address_space:  global
        .offset:         32
        .size:           8
        .value_kind:     global_buffer
      - .address_space:  global
        .offset:         40
        .size:           8
        .value_kind:     global_buffer
      - .address_space:  global
        .offset:         48
        .size:           8
        .value_kind:     global_buffer
      - .address_space:  global
        .offset:         56
        .size:           8
        .value_kind:     global_buffer
      - .offset:         64
        .size:           4
        .value_kind:     by_value
      - .offset:         68
        .size:           4
        .value_kind:     by_value
      - .offset:         72
        .size:           4
        .value_kind:     by_value
      - .offset:         76
        .size:           4
        .value_kind:     by_value
      - .offset:         80
        .size:           4
        .value_kind:     by_value
      - .offset:         84
        .size:           4
        .value_kind:     by_value
      - .offset:         88
        .size:           4
        .value_kind:     by_value
      - .offset:         92
        .size:           12
        .value_kind:     by_value
      - .offset:         104
        .size:           4
        .value_kind:     by_value
      - .offset:         108
        .size:           4
        .value_kind:     by_value
      - .offset:         112
        .size:           4
        .value_kind:     by_value
      - .offset:         116
        .size:           4
        .value_kind:     by_value
      - .offset:         120
        .size:           4
        .value_kind:     by_value
      - .offset:         124
        .size:           4
        .value_kind:     by_value
      - .offset:         128
        .size:           4
        .value_kind:     by_value
      - .offset:         132
        .size:           4
        .value_kind:     by_value
      - .offset:         136
        .size:           4
        .value_kind:     by_value
      - .offset:         140
        .size:           4
        .value_kind:     by_value
      - .offset:         144
        .size:           4
        .value_kind:     by_value
      - .offset:         152
        .size:           8
        .value_kind:     by_value
      - .offset:         160
        .size:           4
        .value_kind:     by_value
      - .offset:         164
        .size:           4
        .value_kind:     by_value
      - .offset:         168
        .size:           8
        .value_kind:     by_value
      - .offset:         176
        .size:           4
        .value_kind:     by_value
      - .offset:         180
        .size:           4
        .value_kind:     by_value
      - .offset:         184
        .size:           4
        .value_kind:     by_value
      - .offset:         188
        .size:           4
        .value_kind:     by_value
      - .offset:         192
        .size:           4
        .value_kind:     by_value
      - .offset:         200
        .size:           8
        .value_kind:     by_value
      - .offset:         208
        .size:           4
        .value_kind:     hidden_block_count_x
      - .offset:         212
        .size:           4
        .value_kind:     hidden_block_count_y
      - .offset:         216
        .size:           4
        .value_kind:     hidden_block_count_z
      - .offset:         220
        .size:           2
        .value_kind:     hidden_group_size_x
      - .offset:         222
        .size:           2
        .value_kind:     hidden_group_size_y
      - .offset:         224
        .size:           2
        .value_kind:     hidden_group_size_z
      - .offset:         226
        .size:           2
        .value_kind:     hidden_remainder_x
      - .offset:         228
        .size:           2
        .value_kind:     hidden_remainder_y
      - .offset:         230
        .size:           2
        .value_kind:     hidden_remainder_z
      - .offset:         248
        .size:           8
        .value_kind:     hidden_global_offset_x
      - .offset:         256
        .size:           8
        .value_kind:     hidden_global_offset_y
      - .offset:         264
        .size:           8
        .value_kind:     hidden_global_offset_z
      - .offset:         272
        .size:           2
        .value_kind:     hidden_grid_dims
    .group_segment_fixed_size: 15040
    .kernarg_segment_align: 8
    .kernarg_segment_size: 464
    .language:       OpenCL C
    .language_version:
      - 2
      - 0
    .max_flat_workgroup_size: 256
    .name:           _ZL15flash_attn_tileILi80ELi80ELi16ELi1ELb0EEvPKcS1_S1_S1_S1_PKiPfP15HIP_vector_typeIfLj2EEffffjfiS5_IjLj3EEiiiiiiiiiiiliiliiiiil
    .private_segment_fixed_size: 32
    .sgpr_count:     50
    .sgpr_spill_count: 0
    .symbol:         _ZL15flash_attn_tileILi80ELi80ELi16ELi1ELb0EEvPKcS1_S1_S1_S1_PKiPfP15HIP_vector_typeIfLj2EEffffjfiS5_IjLj3EEiiiiiiiiiiiliiliiiiil.kd
    .uniform_work_group_size: 1
    .uses_dynamic_stack: false
    .vgpr_count:     107
    .vgpr_spill_count: 0
    .wavefront_size: 32
    .workgroup_processor_mode: 1
  - .args:
      - .address_space:  global
        .offset:         0
        .size:           8
        .value_kind:     global_buffer
      - .address_space:  global
        .offset:         8
        .size:           8
        .value_kind:     global_buffer
      - .offset:         16
        .size:           4
        .value_kind:     by_value
      - .offset:         20
        .size:           4
        .value_kind:     by_value
      - .offset:         24
        .size:           4
        .value_kind:     by_value
      - .offset:         28
        .size:           4
        .value_kind:     by_value
      - .offset:         32
        .size:           4
        .value_kind:     by_value
      - .offset:         36
        .size:           4
        .value_kind:     by_value
      - .offset:         40
        .size:           12
        .value_kind:     by_value
      - .offset:         52
        .size:           12
        .value_kind:     by_value
      - .offset:         64
        .size:           12
        .value_kind:     by_value
    .group_segment_fixed_size: 0
    .kernarg_segment_align: 8
    .kernarg_segment_size: 76
    .language:       OpenCL C
    .language_version:
      - 2
      - 0
    .max_flat_workgroup_size: 80
    .name:           _ZL33flash_attn_stream_k_fixup_uniformILi80ELi16ELi1EEvPfPK15HIP_vector_typeIfLj2EEiiiiiiS1_IjLj3EES5_S5_
    .private_segment_fixed_size: 0
    .sgpr_count:     22
    .sgpr_spill_count: 0
    .symbol:         _ZL33flash_attn_stream_k_fixup_uniformILi80ELi16ELi1EEvPfPK15HIP_vector_typeIfLj2EEiiiiiiS1_IjLj3EES5_S5_.kd
    .uniform_work_group_size: 1
    .uses_dynamic_stack: false
    .vgpr_count:     15
    .vgpr_spill_count: 0
    .wavefront_size: 32
    .workgroup_processor_mode: 1
  - .args:
      - .address_space:  global
        .offset:         0
        .size:           8
        .value_kind:     global_buffer
      - .address_space:  global
        .offset:         8
        .size:           8
        .value_kind:     global_buffer
      - .offset:         16
        .size:           4
        .value_kind:     by_value
      - .offset:         20
        .size:           4
        .value_kind:     by_value
      - .offset:         24
        .size:           4
        .value_kind:     by_value
      - .offset:         28
        .size:           4
        .value_kind:     by_value
      - .offset:         32
        .size:           12
        .value_kind:     by_value
      - .offset:         44
        .size:           12
        .value_kind:     by_value
      - .offset:         56
        .size:           12
        .value_kind:     by_value
      - .offset:         68
        .size:           12
        .value_kind:     by_value
      - .offset:         80
        .size:           4
        .value_kind:     hidden_block_count_x
      - .offset:         84
        .size:           4
        .value_kind:     hidden_block_count_y
      - .offset:         88
        .size:           4
        .value_kind:     hidden_block_count_z
      - .offset:         92
        .size:           2
        .value_kind:     hidden_group_size_x
      - .offset:         94
        .size:           2
        .value_kind:     hidden_group_size_y
      - .offset:         96
        .size:           2
        .value_kind:     hidden_group_size_z
      - .offset:         98
        .size:           2
        .value_kind:     hidden_remainder_x
      - .offset:         100
        .size:           2
        .value_kind:     hidden_remainder_y
      - .offset:         102
        .size:           2
        .value_kind:     hidden_remainder_z
      - .offset:         120
        .size:           8
        .value_kind:     hidden_global_offset_x
      - .offset:         128
        .size:           8
        .value_kind:     hidden_global_offset_y
      - .offset:         136
        .size:           8
        .value_kind:     hidden_global_offset_z
      - .offset:         144
        .size:           2
        .value_kind:     hidden_grid_dims
    .group_segment_fixed_size: 0
    .kernarg_segment_align: 8
    .kernarg_segment_size: 336
    .language:       OpenCL C
    .language_version:
      - 2
      - 0
    .max_flat_workgroup_size: 80
    .name:           _ZL33flash_attn_stream_k_fixup_generalILi80ELi16ELi1EEvPfPK15HIP_vector_typeIfLj2EEiiiiS1_IjLj3EES5_S5_S5_
    .private_segment_fixed_size: 0
    .sgpr_count:     34
    .sgpr_spill_count: 0
    .symbol:         _ZL33flash_attn_stream_k_fixup_generalILi80ELi16ELi1EEvPfPK15HIP_vector_typeIfLj2EEiiiiS1_IjLj3EES5_S5_S5_.kd
    .uniform_work_group_size: 1
    .uses_dynamic_stack: false
    .vgpr_count:     19
    .vgpr_spill_count: 0
    .wavefront_size: 32
    .workgroup_processor_mode: 1
  - .args:
      - .address_space:  global
        .offset:         0
        .size:           8
        .value_kind:     global_buffer
      - .address_space:  global
        .offset:         8
        .size:           8
        .value_kind:     global_buffer
      - .address_space:  global
        .offset:         16
        .size:           8
        .value_kind:     global_buffer
      - .address_space:  global
        .offset:         24
        .size:           8
        .value_kind:     global_buffer
      - .address_space:  global
        .offset:         32
        .size:           8
        .value_kind:     global_buffer
      - .address_space:  global
        .offset:         40
        .size:           8
        .value_kind:     global_buffer
      - .address_space:  global
        .offset:         48
        .size:           8
        .value_kind:     global_buffer
      - .address_space:  global
        .offset:         56
        .size:           8
        .value_kind:     global_buffer
      - .offset:         64
        .size:           4
        .value_kind:     by_value
      - .offset:         68
        .size:           4
        .value_kind:     by_value
      - .offset:         72
        .size:           4
        .value_kind:     by_value
      - .offset:         76
        .size:           4
        .value_kind:     by_value
      - .offset:         80
        .size:           4
        .value_kind:     by_value
      - .offset:         84
        .size:           4
        .value_kind:     by_value
      - .offset:         88
        .size:           4
        .value_kind:     by_value
      - .offset:         92
        .size:           12
        .value_kind:     by_value
      - .offset:         104
        .size:           4
        .value_kind:     by_value
      - .offset:         108
        .size:           4
        .value_kind:     by_value
      - .offset:         112
        .size:           4
        .value_kind:     by_value
      - .offset:         116
        .size:           4
        .value_kind:     by_value
      - .offset:         120
        .size:           4
        .value_kind:     by_value
      - .offset:         124
        .size:           4
        .value_kind:     by_value
      - .offset:         128
        .size:           4
        .value_kind:     by_value
      - .offset:         132
        .size:           4
        .value_kind:     by_value
      - .offset:         136
        .size:           4
        .value_kind:     by_value
      - .offset:         140
        .size:           4
        .value_kind:     by_value
      - .offset:         144
        .size:           4
        .value_kind:     by_value
      - .offset:         152
        .size:           8
        .value_kind:     by_value
      - .offset:         160
        .size:           4
        .value_kind:     by_value
      - .offset:         164
        .size:           4
        .value_kind:     by_value
      - .offset:         168
        .size:           8
        .value_kind:     by_value
      - .offset:         176
        .size:           4
        .value_kind:     by_value
      - .offset:         180
        .size:           4
        .value_kind:     by_value
      - .offset:         184
        .size:           4
        .value_kind:     by_value
      - .offset:         188
        .size:           4
        .value_kind:     by_value
      - .offset:         192
        .size:           4
        .value_kind:     by_value
      - .offset:         200
        .size:           8
        .value_kind:     by_value
      - .offset:         208
        .size:           4
        .value_kind:     hidden_block_count_x
      - .offset:         212
        .size:           4
        .value_kind:     hidden_block_count_y
      - .offset:         216
        .size:           4
        .value_kind:     hidden_block_count_z
      - .offset:         220
        .size:           2
        .value_kind:     hidden_group_size_x
      - .offset:         222
        .size:           2
        .value_kind:     hidden_group_size_y
      - .offset:         224
        .size:           2
        .value_kind:     hidden_group_size_z
      - .offset:         226
        .size:           2
        .value_kind:     hidden_remainder_x
      - .offset:         228
        .size:           2
        .value_kind:     hidden_remainder_y
      - .offset:         230
        .size:           2
        .value_kind:     hidden_remainder_z
      - .offset:         248
        .size:           8
        .value_kind:     hidden_global_offset_x
      - .offset:         256
        .size:           8
        .value_kind:     hidden_global_offset_y
      - .offset:         264
        .size:           8
        .value_kind:     hidden_global_offset_z
      - .offset:         272
        .size:           2
        .value_kind:     hidden_grid_dims
    .group_segment_fixed_size: 13248
    .kernarg_segment_align: 8
    .kernarg_segment_size: 464
    .language:       OpenCL C
    .language_version:
      - 2
      - 0
    .max_flat_workgroup_size: 256
    .name:           _ZL15flash_attn_tileILi80ELi80ELi8ELi1ELb0EEvPKcS1_S1_S1_S1_PKiPfP15HIP_vector_typeIfLj2EEffffjfiS5_IjLj3EEiiiiiiiiiiiliiliiiiil
    .private_segment_fixed_size: 32
    .sgpr_count:     50
    .sgpr_spill_count: 0
    .symbol:         _ZL15flash_attn_tileILi80ELi80ELi8ELi1ELb0EEvPKcS1_S1_S1_S1_PKiPfP15HIP_vector_typeIfLj2EEffffjfiS5_IjLj3EEiiiiiiiiiiiliiliiiiil.kd
    .uniform_work_group_size: 1
    .uses_dynamic_stack: false
    .vgpr_count:     87
    .vgpr_spill_count: 0
    .wavefront_size: 32
    .workgroup_processor_mode: 1
  - .args:
      - .address_space:  global
        .offset:         0
        .size:           8
        .value_kind:     global_buffer
      - .address_space:  global
        .offset:         8
        .size:           8
        .value_kind:     global_buffer
      - .offset:         16
        .size:           4
        .value_kind:     by_value
      - .offset:         20
        .size:           4
        .value_kind:     by_value
      - .offset:         24
        .size:           4
        .value_kind:     by_value
      - .offset:         28
        .size:           4
        .value_kind:     by_value
      - .offset:         32
        .size:           4
        .value_kind:     by_value
      - .offset:         36
        .size:           4
        .value_kind:     by_value
      - .offset:         40
        .size:           12
        .value_kind:     by_value
      - .offset:         52
        .size:           12
        .value_kind:     by_value
      - .offset:         64
        .size:           12
        .value_kind:     by_value
    .group_segment_fixed_size: 0
    .kernarg_segment_align: 8
    .kernarg_segment_size: 76
    .language:       OpenCL C
    .language_version:
      - 2
      - 0
    .max_flat_workgroup_size: 80
    .name:           _ZL33flash_attn_stream_k_fixup_uniformILi80ELi8ELi1EEvPfPK15HIP_vector_typeIfLj2EEiiiiiiS1_IjLj3EES5_S5_
    .private_segment_fixed_size: 0
    .sgpr_count:     22
    .sgpr_spill_count: 0
    .symbol:         _ZL33flash_attn_stream_k_fixup_uniformILi80ELi8ELi1EEvPfPK15HIP_vector_typeIfLj2EEiiiiiiS1_IjLj3EES5_S5_.kd
    .uniform_work_group_size: 1
    .uses_dynamic_stack: false
    .vgpr_count:     15
    .vgpr_spill_count: 0
    .wavefront_size: 32
    .workgroup_processor_mode: 1
  - .args:
      - .address_space:  global
        .offset:         0
        .size:           8
        .value_kind:     global_buffer
      - .address_space:  global
        .offset:         8
        .size:           8
        .value_kind:     global_buffer
      - .offset:         16
        .size:           4
        .value_kind:     by_value
      - .offset:         20
        .size:           4
        .value_kind:     by_value
      - .offset:         24
        .size:           4
        .value_kind:     by_value
      - .offset:         28
        .size:           4
        .value_kind:     by_value
      - .offset:         32
        .size:           12
        .value_kind:     by_value
      - .offset:         44
        .size:           12
        .value_kind:     by_value
      - .offset:         56
        .size:           12
        .value_kind:     by_value
      - .offset:         68
        .size:           12
        .value_kind:     by_value
      - .offset:         80
        .size:           4
        .value_kind:     hidden_block_count_x
      - .offset:         84
        .size:           4
        .value_kind:     hidden_block_count_y
      - .offset:         88
        .size:           4
        .value_kind:     hidden_block_count_z
      - .offset:         92
        .size:           2
        .value_kind:     hidden_group_size_x
      - .offset:         94
        .size:           2
        .value_kind:     hidden_group_size_y
      - .offset:         96
        .size:           2
        .value_kind:     hidden_group_size_z
      - .offset:         98
        .size:           2
        .value_kind:     hidden_remainder_x
      - .offset:         100
        .size:           2
        .value_kind:     hidden_remainder_y
      - .offset:         102
        .size:           2
        .value_kind:     hidden_remainder_z
      - .offset:         120
        .size:           8
        .value_kind:     hidden_global_offset_x
      - .offset:         128
        .size:           8
        .value_kind:     hidden_global_offset_y
      - .offset:         136
        .size:           8
        .value_kind:     hidden_global_offset_z
      - .offset:         144
        .size:           2
        .value_kind:     hidden_grid_dims
    .group_segment_fixed_size: 0
    .kernarg_segment_align: 8
    .kernarg_segment_size: 336
    .language:       OpenCL C
    .language_version:
      - 2
      - 0
    .max_flat_workgroup_size: 80
    .name:           _ZL33flash_attn_stream_k_fixup_generalILi80ELi8ELi1EEvPfPK15HIP_vector_typeIfLj2EEiiiiS1_IjLj3EES5_S5_S5_
    .private_segment_fixed_size: 0
    .sgpr_count:     34
    .sgpr_spill_count: 0
    .symbol:         _ZL33flash_attn_stream_k_fixup_generalILi80ELi8ELi1EEvPfPK15HIP_vector_typeIfLj2EEiiiiS1_IjLj3EES5_S5_S5_.kd
    .uniform_work_group_size: 1
    .uses_dynamic_stack: false
    .vgpr_count:     19
    .vgpr_spill_count: 0
    .wavefront_size: 32
    .workgroup_processor_mode: 1
  - .args:
      - .address_space:  global
        .offset:         0
        .size:           8
        .value_kind:     global_buffer
      - .address_space:  global
        .offset:         8
        .size:           8
        .value_kind:     global_buffer
      - .address_space:  global
        .offset:         16
        .size:           8
        .value_kind:     global_buffer
      - .address_space:  global
        .offset:         24
        .size:           8
        .value_kind:     global_buffer
      - .address_space:  global
        .offset:         32
        .size:           8
        .value_kind:     global_buffer
      - .address_space:  global
        .offset:         40
        .size:           8
        .value_kind:     global_buffer
      - .address_space:  global
        .offset:         48
        .size:           8
        .value_kind:     global_buffer
      - .address_space:  global
        .offset:         56
        .size:           8
        .value_kind:     global_buffer
      - .offset:         64
        .size:           4
        .value_kind:     by_value
      - .offset:         68
        .size:           4
        .value_kind:     by_value
      - .offset:         72
        .size:           4
        .value_kind:     by_value
      - .offset:         76
        .size:           4
        .value_kind:     by_value
      - .offset:         80
        .size:           4
        .value_kind:     by_value
      - .offset:         84
        .size:           4
        .value_kind:     by_value
      - .offset:         88
        .size:           4
        .value_kind:     by_value
      - .offset:         92
        .size:           12
        .value_kind:     by_value
      - .offset:         104
        .size:           4
        .value_kind:     by_value
      - .offset:         108
        .size:           4
        .value_kind:     by_value
      - .offset:         112
        .size:           4
        .value_kind:     by_value
      - .offset:         116
        .size:           4
        .value_kind:     by_value
      - .offset:         120
        .size:           4
        .value_kind:     by_value
      - .offset:         124
        .size:           4
        .value_kind:     by_value
      - .offset:         128
        .size:           4
        .value_kind:     by_value
      - .offset:         132
        .size:           4
        .value_kind:     by_value
      - .offset:         136
        .size:           4
        .value_kind:     by_value
      - .offset:         140
        .size:           4
        .value_kind:     by_value
      - .offset:         144
        .size:           4
        .value_kind:     by_value
      - .offset:         152
        .size:           8
        .value_kind:     by_value
      - .offset:         160
        .size:           4
        .value_kind:     by_value
      - .offset:         164
        .size:           4
        .value_kind:     by_value
      - .offset:         168
        .size:           8
        .value_kind:     by_value
      - .offset:         176
        .size:           4
        .value_kind:     by_value
      - .offset:         180
        .size:           4
        .value_kind:     by_value
      - .offset:         184
        .size:           4
        .value_kind:     by_value
      - .offset:         188
        .size:           4
        .value_kind:     by_value
      - .offset:         192
        .size:           4
        .value_kind:     by_value
      - .offset:         200
        .size:           8
        .value_kind:     by_value
      - .offset:         208
        .size:           4
        .value_kind:     hidden_block_count_x
      - .offset:         212
        .size:           4
        .value_kind:     hidden_block_count_y
      - .offset:         216
        .size:           4
        .value_kind:     hidden_block_count_z
      - .offset:         220
        .size:           2
        .value_kind:     hidden_group_size_x
      - .offset:         222
        .size:           2
        .value_kind:     hidden_group_size_y
      - .offset:         224
        .size:           2
        .value_kind:     hidden_group_size_z
      - .offset:         226
        .size:           2
        .value_kind:     hidden_remainder_x
      - .offset:         228
        .size:           2
        .value_kind:     hidden_remainder_y
      - .offset:         230
        .size:           2
        .value_kind:     hidden_remainder_z
      - .offset:         248
        .size:           8
        .value_kind:     hidden_global_offset_x
      - .offset:         256
        .size:           8
        .value_kind:     hidden_global_offset_y
      - .offset:         264
        .size:           8
        .value_kind:     hidden_global_offset_z
      - .offset:         272
        .size:           2
        .value_kind:     hidden_grid_dims
    .group_segment_fixed_size: 6208
    .kernarg_segment_align: 8
    .kernarg_segment_size: 464
    .language:       OpenCL C
    .language_version:
      - 2
      - 0
    .max_flat_workgroup_size: 128
    .name:           _ZL15flash_attn_tileILi80ELi80ELi4ELi1ELb0EEvPKcS1_S1_S1_S1_PKiPfP15HIP_vector_typeIfLj2EEffffjfiS5_IjLj3EEiiiiiiiiiiiliiliiiiil
    .private_segment_fixed_size: 32
    .sgpr_count:     50
    .sgpr_spill_count: 0
    .symbol:         _ZL15flash_attn_tileILi80ELi80ELi4ELi1ELb0EEvPKcS1_S1_S1_S1_PKiPfP15HIP_vector_typeIfLj2EEffffjfiS5_IjLj3EEiiiiiiiiiiiliiliiiiil.kd
    .uniform_work_group_size: 1
    .uses_dynamic_stack: false
    .vgpr_count:     89
    .vgpr_spill_count: 0
    .wavefront_size: 32
    .workgroup_processor_mode: 1
  - .args:
      - .address_space:  global
        .offset:         0
        .size:           8
        .value_kind:     global_buffer
      - .address_space:  global
        .offset:         8
        .size:           8
        .value_kind:     global_buffer
      - .offset:         16
        .size:           4
        .value_kind:     by_value
      - .offset:         20
        .size:           4
        .value_kind:     by_value
      - .offset:         24
        .size:           4
        .value_kind:     by_value
      - .offset:         28
        .size:           4
        .value_kind:     by_value
      - .offset:         32
        .size:           4
        .value_kind:     by_value
      - .offset:         36
        .size:           4
        .value_kind:     by_value
      - .offset:         40
        .size:           12
        .value_kind:     by_value
      - .offset:         52
        .size:           12
        .value_kind:     by_value
      - .offset:         64
        .size:           12
        .value_kind:     by_value
    .group_segment_fixed_size: 0
    .kernarg_segment_align: 8
    .kernarg_segment_size: 76
    .language:       OpenCL C
    .language_version:
      - 2
      - 0
    .max_flat_workgroup_size: 80
    .name:           _ZL33flash_attn_stream_k_fixup_uniformILi80ELi4ELi1EEvPfPK15HIP_vector_typeIfLj2EEiiiiiiS1_IjLj3EES5_S5_
    .private_segment_fixed_size: 0
    .sgpr_count:     22
    .sgpr_spill_count: 0
    .symbol:         _ZL33flash_attn_stream_k_fixup_uniformILi80ELi4ELi1EEvPfPK15HIP_vector_typeIfLj2EEiiiiiiS1_IjLj3EES5_S5_.kd
    .uniform_work_group_size: 1
    .uses_dynamic_stack: false
    .vgpr_count:     15
    .vgpr_spill_count: 0
    .wavefront_size: 32
    .workgroup_processor_mode: 1
  - .args:
      - .address_space:  global
        .offset:         0
        .size:           8
        .value_kind:     global_buffer
      - .address_space:  global
        .offset:         8
        .size:           8
        .value_kind:     global_buffer
      - .offset:         16
        .size:           4
        .value_kind:     by_value
      - .offset:         20
        .size:           4
        .value_kind:     by_value
      - .offset:         24
        .size:           4
        .value_kind:     by_value
      - .offset:         28
        .size:           4
        .value_kind:     by_value
      - .offset:         32
        .size:           12
        .value_kind:     by_value
      - .offset:         44
        .size:           12
        .value_kind:     by_value
      - .offset:         56
        .size:           12
        .value_kind:     by_value
      - .offset:         68
        .size:           12
        .value_kind:     by_value
      - .offset:         80
        .size:           4
        .value_kind:     hidden_block_count_x
      - .offset:         84
        .size:           4
        .value_kind:     hidden_block_count_y
      - .offset:         88
        .size:           4
        .value_kind:     hidden_block_count_z
      - .offset:         92
        .size:           2
        .value_kind:     hidden_group_size_x
      - .offset:         94
        .size:           2
        .value_kind:     hidden_group_size_y
      - .offset:         96
        .size:           2
        .value_kind:     hidden_group_size_z
      - .offset:         98
        .size:           2
        .value_kind:     hidden_remainder_x
      - .offset:         100
        .size:           2
        .value_kind:     hidden_remainder_y
      - .offset:         102
        .size:           2
        .value_kind:     hidden_remainder_z
      - .offset:         120
        .size:           8
        .value_kind:     hidden_global_offset_x
      - .offset:         128
        .size:           8
        .value_kind:     hidden_global_offset_y
      - .offset:         136
        .size:           8
        .value_kind:     hidden_global_offset_z
      - .offset:         144
        .size:           2
        .value_kind:     hidden_grid_dims
    .group_segment_fixed_size: 0
    .kernarg_segment_align: 8
    .kernarg_segment_size: 336
    .language:       OpenCL C
    .language_version:
      - 2
      - 0
    .max_flat_workgroup_size: 80
    .name:           _ZL33flash_attn_stream_k_fixup_generalILi80ELi4ELi1EEvPfPK15HIP_vector_typeIfLj2EEiiiiS1_IjLj3EES5_S5_S5_
    .private_segment_fixed_size: 0
    .sgpr_count:     34
    .sgpr_spill_count: 0
    .symbol:         _ZL33flash_attn_stream_k_fixup_generalILi80ELi4ELi1EEvPfPK15HIP_vector_typeIfLj2EEiiiiS1_IjLj3EES5_S5_S5_.kd
    .uniform_work_group_size: 1
    .uses_dynamic_stack: false
    .vgpr_count:     19
    .vgpr_spill_count: 0
    .wavefront_size: 32
    .workgroup_processor_mode: 1
  - .args:
      - .address_space:  global
        .offset:         0
        .size:           8
        .value_kind:     global_buffer
      - .address_space:  global
        .offset:         8
        .size:           8
        .value_kind:     global_buffer
      - .address_space:  global
        .offset:         16
        .size:           8
        .value_kind:     global_buffer
      - .address_space:  global
        .offset:         24
        .size:           8
        .value_kind:     global_buffer
      - .address_space:  global
        .offset:         32
        .size:           8
        .value_kind:     global_buffer
      - .address_space:  global
        .offset:         40
        .size:           8
        .value_kind:     global_buffer
      - .address_space:  global
        .offset:         48
        .size:           8
        .value_kind:     global_buffer
      - .address_space:  global
        .offset:         56
        .size:           8
        .value_kind:     global_buffer
      - .offset:         64
        .size:           4
        .value_kind:     by_value
      - .offset:         68
        .size:           4
        .value_kind:     by_value
      - .offset:         72
        .size:           4
        .value_kind:     by_value
      - .offset:         76
        .size:           4
        .value_kind:     by_value
      - .offset:         80
        .size:           4
        .value_kind:     by_value
      - .offset:         84
        .size:           4
        .value_kind:     by_value
      - .offset:         88
        .size:           4
        .value_kind:     by_value
      - .offset:         92
        .size:           12
        .value_kind:     by_value
      - .offset:         104
        .size:           4
        .value_kind:     by_value
      - .offset:         108
        .size:           4
        .value_kind:     by_value
      - .offset:         112
        .size:           4
        .value_kind:     by_value
      - .offset:         116
        .size:           4
        .value_kind:     by_value
      - .offset:         120
        .size:           4
        .value_kind:     by_value
      - .offset:         124
        .size:           4
        .value_kind:     by_value
      - .offset:         128
        .size:           4
        .value_kind:     by_value
      - .offset:         132
        .size:           4
        .value_kind:     by_value
      - .offset:         136
        .size:           4
        .value_kind:     by_value
      - .offset:         140
        .size:           4
        .value_kind:     by_value
      - .offset:         144
        .size:           4
        .value_kind:     by_value
      - .offset:         152
        .size:           8
        .value_kind:     by_value
      - .offset:         160
        .size:           4
        .value_kind:     by_value
      - .offset:         164
        .size:           4
        .value_kind:     by_value
      - .offset:         168
        .size:           8
        .value_kind:     by_value
      - .offset:         176
        .size:           4
        .value_kind:     by_value
      - .offset:         180
        .size:           4
        .value_kind:     by_value
      - .offset:         184
        .size:           4
        .value_kind:     by_value
      - .offset:         188
        .size:           4
        .value_kind:     by_value
      - .offset:         192
        .size:           4
        .value_kind:     by_value
      - .offset:         200
        .size:           8
        .value_kind:     by_value
      - .offset:         208
        .size:           4
        .value_kind:     hidden_block_count_x
      - .offset:         212
        .size:           4
        .value_kind:     hidden_block_count_y
      - .offset:         216
        .size:           4
        .value_kind:     hidden_block_count_z
      - .offset:         220
        .size:           2
        .value_kind:     hidden_group_size_x
      - .offset:         222
        .size:           2
        .value_kind:     hidden_group_size_y
      - .offset:         224
        .size:           2
        .value_kind:     hidden_group_size_z
      - .offset:         226
        .size:           2
        .value_kind:     hidden_remainder_x
      - .offset:         228
        .size:           2
        .value_kind:     hidden_remainder_y
      - .offset:         230
        .size:           2
        .value_kind:     hidden_remainder_z
      - .offset:         248
        .size:           8
        .value_kind:     hidden_global_offset_x
      - .offset:         256
        .size:           8
        .value_kind:     hidden_global_offset_y
      - .offset:         264
        .size:           8
        .value_kind:     hidden_global_offset_z
      - .offset:         272
        .size:           2
        .value_kind:     hidden_grid_dims
    .group_segment_fixed_size: 3712
    .kernarg_segment_align: 8
    .kernarg_segment_size: 464
    .language:       OpenCL C
    .language_version:
      - 2
      - 0
    .max_flat_workgroup_size: 64
    .name:           _ZL15flash_attn_tileILi80ELi80ELi2ELi1ELb0EEvPKcS1_S1_S1_S1_PKiPfP15HIP_vector_typeIfLj2EEffffjfiS5_IjLj3EEiiiiiiiiiiiliiliiiiil
    .private_segment_fixed_size: 32
    .sgpr_count:     54
    .sgpr_spill_count: 0
    .symbol:         _ZL15flash_attn_tileILi80ELi80ELi2ELi1ELb0EEvPKcS1_S1_S1_S1_PKiPfP15HIP_vector_typeIfLj2EEffffjfiS5_IjLj3EEiiiiiiiiiiiliiliiiiil.kd
    .uniform_work_group_size: 1
    .uses_dynamic_stack: false
    .vgpr_count:     98
    .vgpr_spill_count: 0
    .wavefront_size: 32
    .workgroup_processor_mode: 1
  - .args:
      - .address_space:  global
        .offset:         0
        .size:           8
        .value_kind:     global_buffer
      - .address_space:  global
        .offset:         8
        .size:           8
        .value_kind:     global_buffer
      - .offset:         16
        .size:           4
        .value_kind:     by_value
      - .offset:         20
        .size:           4
        .value_kind:     by_value
      - .offset:         24
        .size:           4
        .value_kind:     by_value
      - .offset:         28
        .size:           4
        .value_kind:     by_value
      - .offset:         32
        .size:           4
        .value_kind:     by_value
      - .offset:         36
        .size:           4
        .value_kind:     by_value
      - .offset:         40
        .size:           12
        .value_kind:     by_value
      - .offset:         52
        .size:           12
        .value_kind:     by_value
      - .offset:         64
        .size:           12
        .value_kind:     by_value
    .group_segment_fixed_size: 0
    .kernarg_segment_align: 8
    .kernarg_segment_size: 76
    .language:       OpenCL C
    .language_version:
      - 2
      - 0
    .max_flat_workgroup_size: 80
    .name:           _ZL33flash_attn_stream_k_fixup_uniformILi80ELi2ELi1EEvPfPK15HIP_vector_typeIfLj2EEiiiiiiS1_IjLj3EES5_S5_
    .private_segment_fixed_size: 0
    .sgpr_count:     22
    .sgpr_spill_count: 0
    .symbol:         _ZL33flash_attn_stream_k_fixup_uniformILi80ELi2ELi1EEvPfPK15HIP_vector_typeIfLj2EEiiiiiiS1_IjLj3EES5_S5_.kd
    .uniform_work_group_size: 1
    .uses_dynamic_stack: false
    .vgpr_count:     15
    .vgpr_spill_count: 0
    .wavefront_size: 32
    .workgroup_processor_mode: 1
  - .args:
      - .address_space:  global
        .offset:         0
        .size:           8
        .value_kind:     global_buffer
      - .address_space:  global
        .offset:         8
        .size:           8
        .value_kind:     global_buffer
      - .offset:         16
        .size:           4
        .value_kind:     by_value
      - .offset:         20
        .size:           4
        .value_kind:     by_value
      - .offset:         24
        .size:           4
        .value_kind:     by_value
      - .offset:         28
        .size:           4
        .value_kind:     by_value
      - .offset:         32
        .size:           12
        .value_kind:     by_value
      - .offset:         44
        .size:           12
        .value_kind:     by_value
      - .offset:         56
        .size:           12
        .value_kind:     by_value
      - .offset:         68
        .size:           12
        .value_kind:     by_value
      - .offset:         80
        .size:           4
        .value_kind:     hidden_block_count_x
      - .offset:         84
        .size:           4
        .value_kind:     hidden_block_count_y
      - .offset:         88
        .size:           4
        .value_kind:     hidden_block_count_z
      - .offset:         92
        .size:           2
        .value_kind:     hidden_group_size_x
      - .offset:         94
        .size:           2
        .value_kind:     hidden_group_size_y
      - .offset:         96
        .size:           2
        .value_kind:     hidden_group_size_z
      - .offset:         98
        .size:           2
        .value_kind:     hidden_remainder_x
      - .offset:         100
        .size:           2
        .value_kind:     hidden_remainder_y
      - .offset:         102
        .size:           2
        .value_kind:     hidden_remainder_z
      - .offset:         120
        .size:           8
        .value_kind:     hidden_global_offset_x
      - .offset:         128
        .size:           8
        .value_kind:     hidden_global_offset_y
      - .offset:         136
        .size:           8
        .value_kind:     hidden_global_offset_z
      - .offset:         144
        .size:           2
        .value_kind:     hidden_grid_dims
    .group_segment_fixed_size: 0
    .kernarg_segment_align: 8
    .kernarg_segment_size: 336
    .language:       OpenCL C
    .language_version:
      - 2
      - 0
    .max_flat_workgroup_size: 80
    .name:           _ZL33flash_attn_stream_k_fixup_generalILi80ELi2ELi1EEvPfPK15HIP_vector_typeIfLj2EEiiiiS1_IjLj3EES5_S5_S5_
    .private_segment_fixed_size: 0
    .sgpr_count:     34
    .sgpr_spill_count: 0
    .symbol:         _ZL33flash_attn_stream_k_fixup_generalILi80ELi2ELi1EEvPfPK15HIP_vector_typeIfLj2EEiiiiS1_IjLj3EES5_S5_S5_.kd
    .uniform_work_group_size: 1
    .uses_dynamic_stack: false
    .vgpr_count:     19
    .vgpr_spill_count: 0
    .wavefront_size: 32
    .workgroup_processor_mode: 1
  - .args:
      - .address_space:  global
        .offset:         0
        .size:           8
        .value_kind:     global_buffer
      - .address_space:  global
        .offset:         8
        .size:           8
        .value_kind:     global_buffer
      - .address_space:  global
        .offset:         16
        .size:           8
        .value_kind:     global_buffer
      - .address_space:  global
        .offset:         24
        .size:           8
        .value_kind:     global_buffer
      - .address_space:  global
        .offset:         32
        .size:           8
        .value_kind:     global_buffer
      - .address_space:  global
        .offset:         40
        .size:           8
        .value_kind:     global_buffer
      - .address_space:  global
        .offset:         48
        .size:           8
        .value_kind:     global_buffer
      - .address_space:  global
        .offset:         56
        .size:           8
        .value_kind:     global_buffer
      - .offset:         64
        .size:           4
        .value_kind:     by_value
      - .offset:         68
        .size:           4
        .value_kind:     by_value
      - .offset:         72
        .size:           4
        .value_kind:     by_value
      - .offset:         76
        .size:           4
        .value_kind:     by_value
      - .offset:         80
        .size:           4
        .value_kind:     by_value
      - .offset:         84
        .size:           4
        .value_kind:     by_value
      - .offset:         88
        .size:           4
        .value_kind:     by_value
      - .offset:         92
        .size:           12
        .value_kind:     by_value
      - .offset:         104
        .size:           4
        .value_kind:     by_value
      - .offset:         108
        .size:           4
        .value_kind:     by_value
      - .offset:         112
        .size:           4
        .value_kind:     by_value
      - .offset:         116
        .size:           4
        .value_kind:     by_value
      - .offset:         120
        .size:           4
        .value_kind:     by_value
      - .offset:         124
        .size:           4
        .value_kind:     by_value
      - .offset:         128
        .size:           4
        .value_kind:     by_value
      - .offset:         132
        .size:           4
        .value_kind:     by_value
      - .offset:         136
        .size:           4
        .value_kind:     by_value
      - .offset:         140
        .size:           4
        .value_kind:     by_value
      - .offset:         144
        .size:           4
        .value_kind:     by_value
      - .offset:         152
        .size:           8
        .value_kind:     by_value
      - .offset:         160
        .size:           4
        .value_kind:     by_value
      - .offset:         164
        .size:           4
        .value_kind:     by_value
      - .offset:         168
        .size:           8
        .value_kind:     by_value
      - .offset:         176
        .size:           4
        .value_kind:     by_value
      - .offset:         180
        .size:           4
        .value_kind:     by_value
      - .offset:         184
        .size:           4
        .value_kind:     by_value
      - .offset:         188
        .size:           4
        .value_kind:     by_value
      - .offset:         192
        .size:           4
        .value_kind:     by_value
      - .offset:         200
        .size:           8
        .value_kind:     by_value
      - .offset:         208
        .size:           4
        .value_kind:     hidden_block_count_x
      - .offset:         212
        .size:           4
        .value_kind:     hidden_block_count_y
      - .offset:         216
        .size:           4
        .value_kind:     hidden_block_count_z
      - .offset:         220
        .size:           2
        .value_kind:     hidden_group_size_x
      - .offset:         222
        .size:           2
        .value_kind:     hidden_group_size_y
      - .offset:         224
        .size:           2
        .value_kind:     hidden_group_size_z
      - .offset:         226
        .size:           2
        .value_kind:     hidden_remainder_x
      - .offset:         228
        .size:           2
        .value_kind:     hidden_remainder_y
      - .offset:         230
        .size:           2
        .value_kind:     hidden_remainder_z
      - .offset:         248
        .size:           8
        .value_kind:     hidden_global_offset_x
      - .offset:         256
        .size:           8
        .value_kind:     hidden_global_offset_y
      - .offset:         264
        .size:           8
        .value_kind:     hidden_global_offset_z
      - .offset:         272
        .size:           2
        .value_kind:     hidden_grid_dims
      - .offset:         288
        .size:           8
        .value_kind:     hidden_hostcall_buffer
    .group_segment_fixed_size: 0
    .kernarg_segment_align: 8
    .kernarg_segment_size: 464
    .language:       OpenCL C
    .language_version:
      - 2
      - 0
    .max_flat_workgroup_size: 256
    .name:           _ZL15flash_attn_tileILi80ELi80ELi8ELi8ELb1EEvPKcS1_S1_S1_S1_PKiPfP15HIP_vector_typeIfLj2EEffffjfiS5_IjLj3EEiiiiiiiiiiiliiliiiiil
    .private_segment_fixed_size: 16
    .sgpr_count:     36
    .sgpr_spill_count: 0
    .symbol:         _ZL15flash_attn_tileILi80ELi80ELi8ELi8ELb1EEvPKcS1_S1_S1_S1_PKiPfP15HIP_vector_typeIfLj2EEffffjfiS5_IjLj3EEiiiiiiiiiiiliiliiiiil.kd
    .uniform_work_group_size: 1
    .uses_dynamic_stack: false
    .vgpr_count:     37
    .vgpr_spill_count: 0
    .wavefront_size: 32
    .workgroup_processor_mode: 1
  - .args:
      - .address_space:  global
        .offset:         0
        .size:           8
        .value_kind:     global_buffer
      - .address_space:  global
        .offset:         8
        .size:           8
        .value_kind:     global_buffer
      - .address_space:  global
        .offset:         16
        .size:           8
        .value_kind:     global_buffer
      - .address_space:  global
        .offset:         24
        .size:           8
        .value_kind:     global_buffer
      - .address_space:  global
        .offset:         32
        .size:           8
        .value_kind:     global_buffer
      - .address_space:  global
        .offset:         40
        .size:           8
        .value_kind:     global_buffer
      - .address_space:  global
        .offset:         48
        .size:           8
        .value_kind:     global_buffer
      - .address_space:  global
        .offset:         56
        .size:           8
        .value_kind:     global_buffer
      - .offset:         64
        .size:           4
        .value_kind:     by_value
      - .offset:         68
        .size:           4
        .value_kind:     by_value
      - .offset:         72
        .size:           4
        .value_kind:     by_value
      - .offset:         76
        .size:           4
        .value_kind:     by_value
      - .offset:         80
        .size:           4
        .value_kind:     by_value
      - .offset:         84
        .size:           4
        .value_kind:     by_value
      - .offset:         88
        .size:           4
        .value_kind:     by_value
      - .offset:         92
        .size:           12
        .value_kind:     by_value
      - .offset:         104
        .size:           4
        .value_kind:     by_value
      - .offset:         108
        .size:           4
        .value_kind:     by_value
      - .offset:         112
        .size:           4
        .value_kind:     by_value
      - .offset:         116
        .size:           4
        .value_kind:     by_value
      - .offset:         120
        .size:           4
        .value_kind:     by_value
      - .offset:         124
        .size:           4
        .value_kind:     by_value
      - .offset:         128
        .size:           4
        .value_kind:     by_value
      - .offset:         132
        .size:           4
        .value_kind:     by_value
      - .offset:         136
        .size:           4
        .value_kind:     by_value
      - .offset:         140
        .size:           4
        .value_kind:     by_value
      - .offset:         144
        .size:           4
        .value_kind:     by_value
      - .offset:         152
        .size:           8
        .value_kind:     by_value
      - .offset:         160
        .size:           4
        .value_kind:     by_value
      - .offset:         164
        .size:           4
        .value_kind:     by_value
      - .offset:         168
        .size:           8
        .value_kind:     by_value
      - .offset:         176
        .size:           4
        .value_kind:     by_value
      - .offset:         180
        .size:           4
        .value_kind:     by_value
      - .offset:         184
        .size:           4
        .value_kind:     by_value
      - .offset:         188
        .size:           4
        .value_kind:     by_value
      - .offset:         192
        .size:           4
        .value_kind:     by_value
      - .offset:         200
        .size:           8
        .value_kind:     by_value
      - .offset:         208
        .size:           4
        .value_kind:     hidden_block_count_x
      - .offset:         212
        .size:           4
        .value_kind:     hidden_block_count_y
      - .offset:         216
        .size:           4
        .value_kind:     hidden_block_count_z
      - .offset:         220
        .size:           2
        .value_kind:     hidden_group_size_x
      - .offset:         222
        .size:           2
        .value_kind:     hidden_group_size_y
      - .offset:         224
        .size:           2
        .value_kind:     hidden_group_size_z
      - .offset:         226
        .size:           2
        .value_kind:     hidden_remainder_x
      - .offset:         228
        .size:           2
        .value_kind:     hidden_remainder_y
      - .offset:         230
        .size:           2
        .value_kind:     hidden_remainder_z
      - .offset:         248
        .size:           8
        .value_kind:     hidden_global_offset_x
      - .offset:         256
        .size:           8
        .value_kind:     hidden_global_offset_y
      - .offset:         264
        .size:           8
        .value_kind:     hidden_global_offset_z
      - .offset:         272
        .size:           2
        .value_kind:     hidden_grid_dims
      - .offset:         288
        .size:           8
        .value_kind:     hidden_hostcall_buffer
    .group_segment_fixed_size: 0
    .kernarg_segment_align: 8
    .kernarg_segment_size: 464
    .language:       OpenCL C
    .language_version:
      - 2
      - 0
    .max_flat_workgroup_size: 256
    .name:           _ZL15flash_attn_tileILi80ELi80ELi4ELi8ELb1EEvPKcS1_S1_S1_S1_PKiPfP15HIP_vector_typeIfLj2EEffffjfiS5_IjLj3EEiiiiiiiiiiiliiliiiiil
    .private_segment_fixed_size: 16
    .sgpr_count:     36
    .sgpr_spill_count: 0
    .symbol:         _ZL15flash_attn_tileILi80ELi80ELi4ELi8ELb1EEvPKcS1_S1_S1_S1_PKiPfP15HIP_vector_typeIfLj2EEffffjfiS5_IjLj3EEiiiiiiiiiiiliiliiiiil.kd
    .uniform_work_group_size: 1
    .uses_dynamic_stack: false
    .vgpr_count:     37
    .vgpr_spill_count: 0
    .wavefront_size: 32
    .workgroup_processor_mode: 1
  - .args:
      - .address_space:  global
        .offset:         0
        .size:           8
        .value_kind:     global_buffer
      - .address_space:  global
        .offset:         8
        .size:           8
        .value_kind:     global_buffer
      - .address_space:  global
        .offset:         16
        .size:           8
        .value_kind:     global_buffer
      - .address_space:  global
        .offset:         24
        .size:           8
        .value_kind:     global_buffer
      - .address_space:  global
        .offset:         32
        .size:           8
        .value_kind:     global_buffer
      - .address_space:  global
        .offset:         40
        .size:           8
        .value_kind:     global_buffer
      - .address_space:  global
        .offset:         48
        .size:           8
        .value_kind:     global_buffer
      - .address_space:  global
        .offset:         56
        .size:           8
        .value_kind:     global_buffer
      - .offset:         64
        .size:           4
        .value_kind:     by_value
      - .offset:         68
        .size:           4
        .value_kind:     by_value
      - .offset:         72
        .size:           4
        .value_kind:     by_value
      - .offset:         76
        .size:           4
        .value_kind:     by_value
      - .offset:         80
        .size:           4
        .value_kind:     by_value
      - .offset:         84
        .size:           4
        .value_kind:     by_value
      - .offset:         88
        .size:           4
        .value_kind:     by_value
      - .offset:         92
        .size:           12
        .value_kind:     by_value
      - .offset:         104
        .size:           4
        .value_kind:     by_value
      - .offset:         108
        .size:           4
        .value_kind:     by_value
      - .offset:         112
        .size:           4
        .value_kind:     by_value
      - .offset:         116
        .size:           4
        .value_kind:     by_value
      - .offset:         120
        .size:           4
        .value_kind:     by_value
      - .offset:         124
        .size:           4
        .value_kind:     by_value
      - .offset:         128
        .size:           4
        .value_kind:     by_value
      - .offset:         132
        .size:           4
        .value_kind:     by_value
      - .offset:         136
        .size:           4
        .value_kind:     by_value
      - .offset:         140
        .size:           4
        .value_kind:     by_value
      - .offset:         144
        .size:           4
        .value_kind:     by_value
      - .offset:         152
        .size:           8
        .value_kind:     by_value
      - .offset:         160
        .size:           4
        .value_kind:     by_value
      - .offset:         164
        .size:           4
        .value_kind:     by_value
      - .offset:         168
        .size:           8
        .value_kind:     by_value
      - .offset:         176
        .size:           4
        .value_kind:     by_value
      - .offset:         180
        .size:           4
        .value_kind:     by_value
      - .offset:         184
        .size:           4
        .value_kind:     by_value
      - .offset:         188
        .size:           4
        .value_kind:     by_value
      - .offset:         192
        .size:           4
        .value_kind:     by_value
      - .offset:         200
        .size:           8
        .value_kind:     by_value
      - .offset:         208
        .size:           4
        .value_kind:     hidden_block_count_x
      - .offset:         212
        .size:           4
        .value_kind:     hidden_block_count_y
      - .offset:         216
        .size:           4
        .value_kind:     hidden_block_count_z
      - .offset:         220
        .size:           2
        .value_kind:     hidden_group_size_x
      - .offset:         222
        .size:           2
        .value_kind:     hidden_group_size_y
      - .offset:         224
        .size:           2
        .value_kind:     hidden_group_size_z
      - .offset:         226
        .size:           2
        .value_kind:     hidden_remainder_x
      - .offset:         228
        .size:           2
        .value_kind:     hidden_remainder_y
      - .offset:         230
        .size:           2
        .value_kind:     hidden_remainder_z
      - .offset:         248
        .size:           8
        .value_kind:     hidden_global_offset_x
      - .offset:         256
        .size:           8
        .value_kind:     hidden_global_offset_y
      - .offset:         264
        .size:           8
        .value_kind:     hidden_global_offset_z
      - .offset:         272
        .size:           2
        .value_kind:     hidden_grid_dims
      - .offset:         288
        .size:           8
        .value_kind:     hidden_hostcall_buffer
    .group_segment_fixed_size: 0
    .kernarg_segment_align: 8
    .kernarg_segment_size: 464
    .language:       OpenCL C
    .language_version:
      - 2
      - 0
    .max_flat_workgroup_size: 256
    .name:           _ZL15flash_attn_tileILi80ELi80ELi2ELi8ELb1EEvPKcS1_S1_S1_S1_PKiPfP15HIP_vector_typeIfLj2EEffffjfiS5_IjLj3EEiiiiiiiiiiiliiliiiiil
    .private_segment_fixed_size: 16
    .sgpr_count:     36
    .sgpr_spill_count: 0
    .symbol:         _ZL15flash_attn_tileILi80ELi80ELi2ELi8ELb1EEvPKcS1_S1_S1_S1_PKiPfP15HIP_vector_typeIfLj2EEffffjfiS5_IjLj3EEiiiiiiiiiiiliiliiiiil.kd
    .uniform_work_group_size: 1
    .uses_dynamic_stack: false
    .vgpr_count:     37
    .vgpr_spill_count: 0
    .wavefront_size: 32
    .workgroup_processor_mode: 1
  - .args:
      - .address_space:  global
        .offset:         0
        .size:           8
        .value_kind:     global_buffer
      - .address_space:  global
        .offset:         8
        .size:           8
        .value_kind:     global_buffer
      - .address_space:  global
        .offset:         16
        .size:           8
        .value_kind:     global_buffer
      - .address_space:  global
        .offset:         24
        .size:           8
        .value_kind:     global_buffer
      - .address_space:  global
        .offset:         32
        .size:           8
        .value_kind:     global_buffer
      - .address_space:  global
        .offset:         40
        .size:           8
        .value_kind:     global_buffer
      - .address_space:  global
        .offset:         48
        .size:           8
        .value_kind:     global_buffer
      - .address_space:  global
        .offset:         56
        .size:           8
        .value_kind:     global_buffer
      - .offset:         64
        .size:           4
        .value_kind:     by_value
      - .offset:         68
        .size:           4
        .value_kind:     by_value
      - .offset:         72
        .size:           4
        .value_kind:     by_value
      - .offset:         76
        .size:           4
        .value_kind:     by_value
      - .offset:         80
        .size:           4
        .value_kind:     by_value
      - .offset:         84
        .size:           4
        .value_kind:     by_value
      - .offset:         88
        .size:           4
        .value_kind:     by_value
      - .offset:         92
        .size:           12
        .value_kind:     by_value
      - .offset:         104
        .size:           4
        .value_kind:     by_value
      - .offset:         108
        .size:           4
        .value_kind:     by_value
      - .offset:         112
        .size:           4
        .value_kind:     by_value
      - .offset:         116
        .size:           4
        .value_kind:     by_value
      - .offset:         120
        .size:           4
        .value_kind:     by_value
      - .offset:         124
        .size:           4
        .value_kind:     by_value
      - .offset:         128
        .size:           4
        .value_kind:     by_value
      - .offset:         132
        .size:           4
        .value_kind:     by_value
      - .offset:         136
        .size:           4
        .value_kind:     by_value
      - .offset:         140
        .size:           4
        .value_kind:     by_value
      - .offset:         144
        .size:           4
        .value_kind:     by_value
      - .offset:         152
        .size:           8
        .value_kind:     by_value
      - .offset:         160
        .size:           4
        .value_kind:     by_value
      - .offset:         164
        .size:           4
        .value_kind:     by_value
      - .offset:         168
        .size:           8
        .value_kind:     by_value
      - .offset:         176
        .size:           4
        .value_kind:     by_value
      - .offset:         180
        .size:           4
        .value_kind:     by_value
      - .offset:         184
        .size:           4
        .value_kind:     by_value
      - .offset:         188
        .size:           4
        .value_kind:     by_value
      - .offset:         192
        .size:           4
        .value_kind:     by_value
      - .offset:         200
        .size:           8
        .value_kind:     by_value
      - .offset:         208
        .size:           4
        .value_kind:     hidden_block_count_x
      - .offset:         212
        .size:           4
        .value_kind:     hidden_block_count_y
      - .offset:         216
        .size:           4
        .value_kind:     hidden_block_count_z
      - .offset:         220
        .size:           2
        .value_kind:     hidden_group_size_x
      - .offset:         222
        .size:           2
        .value_kind:     hidden_group_size_y
      - .offset:         224
        .size:           2
        .value_kind:     hidden_group_size_z
      - .offset:         226
        .size:           2
        .value_kind:     hidden_remainder_x
      - .offset:         228
        .size:           2
        .value_kind:     hidden_remainder_y
      - .offset:         230
        .size:           2
        .value_kind:     hidden_remainder_z
      - .offset:         248
        .size:           8
        .value_kind:     hidden_global_offset_x
      - .offset:         256
        .size:           8
        .value_kind:     hidden_global_offset_y
      - .offset:         264
        .size:           8
        .value_kind:     hidden_global_offset_z
      - .offset:         272
        .size:           2
        .value_kind:     hidden_grid_dims
      - .offset:         288
        .size:           8
        .value_kind:     hidden_hostcall_buffer
    .group_segment_fixed_size: 0
    .kernarg_segment_align: 8
    .kernarg_segment_size: 464
    .language:       OpenCL C
    .language_version:
      - 2
      - 0
    .max_flat_workgroup_size: 256
    .name:           _ZL15flash_attn_tileILi80ELi80ELi1ELi8ELb1EEvPKcS1_S1_S1_S1_PKiPfP15HIP_vector_typeIfLj2EEffffjfiS5_IjLj3EEiiiiiiiiiiiliiliiiiil
    .private_segment_fixed_size: 16
    .sgpr_count:     36
    .sgpr_spill_count: 0
    .symbol:         _ZL15flash_attn_tileILi80ELi80ELi1ELi8ELb1EEvPKcS1_S1_S1_S1_PKiPfP15HIP_vector_typeIfLj2EEffffjfiS5_IjLj3EEiiiiiiiiiiiliiliiiiil.kd
    .uniform_work_group_size: 1
    .uses_dynamic_stack: false
    .vgpr_count:     37
    .vgpr_spill_count: 0
    .wavefront_size: 32
    .workgroup_processor_mode: 1
  - .args:
      - .address_space:  global
        .offset:         0
        .size:           8
        .value_kind:     global_buffer
      - .address_space:  global
        .offset:         8
        .size:           8
        .value_kind:     global_buffer
      - .address_space:  global
        .offset:         16
        .size:           8
        .value_kind:     global_buffer
      - .address_space:  global
        .offset:         24
        .size:           8
        .value_kind:     global_buffer
      - .address_space:  global
        .offset:         32
        .size:           8
        .value_kind:     global_buffer
      - .address_space:  global
        .offset:         40
        .size:           8
        .value_kind:     global_buffer
      - .address_space:  global
        .offset:         48
        .size:           8
        .value_kind:     global_buffer
      - .address_space:  global
        .offset:         56
        .size:           8
        .value_kind:     global_buffer
      - .offset:         64
        .size:           4
        .value_kind:     by_value
      - .offset:         68
        .size:           4
        .value_kind:     by_value
      - .offset:         72
        .size:           4
        .value_kind:     by_value
      - .offset:         76
        .size:           4
        .value_kind:     by_value
      - .offset:         80
        .size:           4
        .value_kind:     by_value
      - .offset:         84
        .size:           4
        .value_kind:     by_value
      - .offset:         88
        .size:           4
        .value_kind:     by_value
      - .offset:         92
        .size:           12
        .value_kind:     by_value
      - .offset:         104
        .size:           4
        .value_kind:     by_value
      - .offset:         108
        .size:           4
        .value_kind:     by_value
      - .offset:         112
        .size:           4
        .value_kind:     by_value
      - .offset:         116
        .size:           4
        .value_kind:     by_value
      - .offset:         120
        .size:           4
        .value_kind:     by_value
      - .offset:         124
        .size:           4
        .value_kind:     by_value
      - .offset:         128
        .size:           4
        .value_kind:     by_value
      - .offset:         132
        .size:           4
        .value_kind:     by_value
      - .offset:         136
        .size:           4
        .value_kind:     by_value
      - .offset:         140
        .size:           4
        .value_kind:     by_value
      - .offset:         144
        .size:           4
        .value_kind:     by_value
      - .offset:         152
        .size:           8
        .value_kind:     by_value
      - .offset:         160
        .size:           4
        .value_kind:     by_value
      - .offset:         164
        .size:           4
        .value_kind:     by_value
      - .offset:         168
        .size:           8
        .value_kind:     by_value
      - .offset:         176
        .size:           4
        .value_kind:     by_value
      - .offset:         180
        .size:           4
        .value_kind:     by_value
      - .offset:         184
        .size:           4
        .value_kind:     by_value
      - .offset:         188
        .size:           4
        .value_kind:     by_value
      - .offset:         192
        .size:           4
        .value_kind:     by_value
      - .offset:         200
        .size:           8
        .value_kind:     by_value
      - .offset:         208
        .size:           4
        .value_kind:     hidden_block_count_x
      - .offset:         212
        .size:           4
        .value_kind:     hidden_block_count_y
      - .offset:         216
        .size:           4
        .value_kind:     hidden_block_count_z
      - .offset:         220
        .size:           2
        .value_kind:     hidden_group_size_x
      - .offset:         222
        .size:           2
        .value_kind:     hidden_group_size_y
      - .offset:         224
        .size:           2
        .value_kind:     hidden_group_size_z
      - .offset:         226
        .size:           2
        .value_kind:     hidden_remainder_x
      - .offset:         228
        .size:           2
        .value_kind:     hidden_remainder_y
      - .offset:         230
        .size:           2
        .value_kind:     hidden_remainder_z
      - .offset:         248
        .size:           8
        .value_kind:     hidden_global_offset_x
      - .offset:         256
        .size:           8
        .value_kind:     hidden_global_offset_y
      - .offset:         264
        .size:           8
        .value_kind:     hidden_global_offset_z
      - .offset:         272
        .size:           2
        .value_kind:     hidden_grid_dims
      - .offset:         288
        .size:           8
        .value_kind:     hidden_hostcall_buffer
    .group_segment_fixed_size: 0
    .kernarg_segment_align: 8
    .kernarg_segment_size: 464
    .language:       OpenCL C
    .language_version:
      - 2
      - 0
    .max_flat_workgroup_size: 256
    .name:           _ZL15flash_attn_tileILi80ELi80ELi16ELi4ELb1EEvPKcS1_S1_S1_S1_PKiPfP15HIP_vector_typeIfLj2EEffffjfiS5_IjLj3EEiiiiiiiiiiiliiliiiiil
    .private_segment_fixed_size: 16
    .sgpr_count:     36
    .sgpr_spill_count: 0
    .symbol:         _ZL15flash_attn_tileILi80ELi80ELi16ELi4ELb1EEvPKcS1_S1_S1_S1_PKiPfP15HIP_vector_typeIfLj2EEffffjfiS5_IjLj3EEiiiiiiiiiiiliiliiiiil.kd
    .uniform_work_group_size: 1
    .uses_dynamic_stack: false
    .vgpr_count:     37
    .vgpr_spill_count: 0
    .wavefront_size: 32
    .workgroup_processor_mode: 1
  - .args:
      - .address_space:  global
        .offset:         0
        .size:           8
        .value_kind:     global_buffer
      - .address_space:  global
        .offset:         8
        .size:           8
        .value_kind:     global_buffer
      - .address_space:  global
        .offset:         16
        .size:           8
        .value_kind:     global_buffer
      - .address_space:  global
        .offset:         24
        .size:           8
        .value_kind:     global_buffer
      - .address_space:  global
        .offset:         32
        .size:           8
        .value_kind:     global_buffer
      - .address_space:  global
        .offset:         40
        .size:           8
        .value_kind:     global_buffer
      - .address_space:  global
        .offset:         48
        .size:           8
        .value_kind:     global_buffer
      - .address_space:  global
        .offset:         56
        .size:           8
        .value_kind:     global_buffer
      - .offset:         64
        .size:           4
        .value_kind:     by_value
      - .offset:         68
        .size:           4
        .value_kind:     by_value
      - .offset:         72
        .size:           4
        .value_kind:     by_value
      - .offset:         76
        .size:           4
        .value_kind:     by_value
      - .offset:         80
        .size:           4
        .value_kind:     by_value
      - .offset:         84
        .size:           4
        .value_kind:     by_value
      - .offset:         88
        .size:           4
        .value_kind:     by_value
      - .offset:         92
        .size:           12
        .value_kind:     by_value
      - .offset:         104
        .size:           4
        .value_kind:     by_value
      - .offset:         108
        .size:           4
        .value_kind:     by_value
      - .offset:         112
        .size:           4
        .value_kind:     by_value
      - .offset:         116
        .size:           4
        .value_kind:     by_value
      - .offset:         120
        .size:           4
        .value_kind:     by_value
      - .offset:         124
        .size:           4
        .value_kind:     by_value
      - .offset:         128
        .size:           4
        .value_kind:     by_value
      - .offset:         132
        .size:           4
        .value_kind:     by_value
      - .offset:         136
        .size:           4
        .value_kind:     by_value
      - .offset:         140
        .size:           4
        .value_kind:     by_value
      - .offset:         144
        .size:           4
        .value_kind:     by_value
      - .offset:         152
        .size:           8
        .value_kind:     by_value
      - .offset:         160
        .size:           4
        .value_kind:     by_value
      - .offset:         164
        .size:           4
        .value_kind:     by_value
      - .offset:         168
        .size:           8
        .value_kind:     by_value
      - .offset:         176
        .size:           4
        .value_kind:     by_value
      - .offset:         180
        .size:           4
        .value_kind:     by_value
      - .offset:         184
        .size:           4
        .value_kind:     by_value
      - .offset:         188
        .size:           4
        .value_kind:     by_value
      - .offset:         192
        .size:           4
        .value_kind:     by_value
      - .offset:         200
        .size:           8
        .value_kind:     by_value
      - .offset:         208
        .size:           4
        .value_kind:     hidden_block_count_x
      - .offset:         212
        .size:           4
        .value_kind:     hidden_block_count_y
      - .offset:         216
        .size:           4
        .value_kind:     hidden_block_count_z
      - .offset:         220
        .size:           2
        .value_kind:     hidden_group_size_x
      - .offset:         222
        .size:           2
        .value_kind:     hidden_group_size_y
      - .offset:         224
        .size:           2
        .value_kind:     hidden_group_size_z
      - .offset:         226
        .size:           2
        .value_kind:     hidden_remainder_x
      - .offset:         228
        .size:           2
        .value_kind:     hidden_remainder_y
      - .offset:         230
        .size:           2
        .value_kind:     hidden_remainder_z
      - .offset:         248
        .size:           8
        .value_kind:     hidden_global_offset_x
      - .offset:         256
        .size:           8
        .value_kind:     hidden_global_offset_y
      - .offset:         264
        .size:           8
        .value_kind:     hidden_global_offset_z
      - .offset:         272
        .size:           2
        .value_kind:     hidden_grid_dims
      - .offset:         288
        .size:           8
        .value_kind:     hidden_hostcall_buffer
    .group_segment_fixed_size: 0
    .kernarg_segment_align: 8
    .kernarg_segment_size: 464
    .language:       OpenCL C
    .language_version:
      - 2
      - 0
    .max_flat_workgroup_size: 256
    .name:           _ZL15flash_attn_tileILi80ELi80ELi8ELi4ELb1EEvPKcS1_S1_S1_S1_PKiPfP15HIP_vector_typeIfLj2EEffffjfiS5_IjLj3EEiiiiiiiiiiiliiliiiiil
    .private_segment_fixed_size: 16
    .sgpr_count:     36
    .sgpr_spill_count: 0
    .symbol:         _ZL15flash_attn_tileILi80ELi80ELi8ELi4ELb1EEvPKcS1_S1_S1_S1_PKiPfP15HIP_vector_typeIfLj2EEffffjfiS5_IjLj3EEiiiiiiiiiiiliiliiiiil.kd
    .uniform_work_group_size: 1
    .uses_dynamic_stack: false
    .vgpr_count:     37
    .vgpr_spill_count: 0
    .wavefront_size: 32
    .workgroup_processor_mode: 1
  - .args:
      - .address_space:  global
        .offset:         0
        .size:           8
        .value_kind:     global_buffer
      - .address_space:  global
        .offset:         8
        .size:           8
        .value_kind:     global_buffer
      - .address_space:  global
        .offset:         16
        .size:           8
        .value_kind:     global_buffer
      - .address_space:  global
        .offset:         24
        .size:           8
        .value_kind:     global_buffer
      - .address_space:  global
        .offset:         32
        .size:           8
        .value_kind:     global_buffer
      - .address_space:  global
        .offset:         40
        .size:           8
        .value_kind:     global_buffer
      - .address_space:  global
        .offset:         48
        .size:           8
        .value_kind:     global_buffer
      - .address_space:  global
        .offset:         56
        .size:           8
        .value_kind:     global_buffer
      - .offset:         64
        .size:           4
        .value_kind:     by_value
      - .offset:         68
        .size:           4
        .value_kind:     by_value
      - .offset:         72
        .size:           4
        .value_kind:     by_value
      - .offset:         76
        .size:           4
        .value_kind:     by_value
      - .offset:         80
        .size:           4
        .value_kind:     by_value
      - .offset:         84
        .size:           4
        .value_kind:     by_value
      - .offset:         88
        .size:           4
        .value_kind:     by_value
      - .offset:         92
        .size:           12
        .value_kind:     by_value
      - .offset:         104
        .size:           4
        .value_kind:     by_value
      - .offset:         108
        .size:           4
        .value_kind:     by_value
      - .offset:         112
        .size:           4
        .value_kind:     by_value
      - .offset:         116
        .size:           4
        .value_kind:     by_value
      - .offset:         120
        .size:           4
        .value_kind:     by_value
      - .offset:         124
        .size:           4
        .value_kind:     by_value
      - .offset:         128
        .size:           4
        .value_kind:     by_value
      - .offset:         132
        .size:           4
        .value_kind:     by_value
      - .offset:         136
        .size:           4
        .value_kind:     by_value
      - .offset:         140
        .size:           4
        .value_kind:     by_value
      - .offset:         144
        .size:           4
        .value_kind:     by_value
      - .offset:         152
        .size:           8
        .value_kind:     by_value
      - .offset:         160
        .size:           4
        .value_kind:     by_value
      - .offset:         164
        .size:           4
        .value_kind:     by_value
      - .offset:         168
        .size:           8
        .value_kind:     by_value
      - .offset:         176
        .size:           4
        .value_kind:     by_value
      - .offset:         180
        .size:           4
        .value_kind:     by_value
      - .offset:         184
        .size:           4
        .value_kind:     by_value
      - .offset:         188
        .size:           4
        .value_kind:     by_value
      - .offset:         192
        .size:           4
        .value_kind:     by_value
      - .offset:         200
        .size:           8
        .value_kind:     by_value
      - .offset:         208
        .size:           4
        .value_kind:     hidden_block_count_x
      - .offset:         212
        .size:           4
        .value_kind:     hidden_block_count_y
      - .offset:         216
        .size:           4
        .value_kind:     hidden_block_count_z
      - .offset:         220
        .size:           2
        .value_kind:     hidden_group_size_x
      - .offset:         222
        .size:           2
        .value_kind:     hidden_group_size_y
      - .offset:         224
        .size:           2
        .value_kind:     hidden_group_size_z
      - .offset:         226
        .size:           2
        .value_kind:     hidden_remainder_x
      - .offset:         228
        .size:           2
        .value_kind:     hidden_remainder_y
      - .offset:         230
        .size:           2
        .value_kind:     hidden_remainder_z
      - .offset:         248
        .size:           8
        .value_kind:     hidden_global_offset_x
      - .offset:         256
        .size:           8
        .value_kind:     hidden_global_offset_y
      - .offset:         264
        .size:           8
        .value_kind:     hidden_global_offset_z
      - .offset:         272
        .size:           2
        .value_kind:     hidden_grid_dims
      - .offset:         288
        .size:           8
        .value_kind:     hidden_hostcall_buffer
    .group_segment_fixed_size: 0
    .kernarg_segment_align: 8
    .kernarg_segment_size: 464
    .language:       OpenCL C
    .language_version:
      - 2
      - 0
    .max_flat_workgroup_size: 256
    .name:           _ZL15flash_attn_tileILi80ELi80ELi4ELi4ELb1EEvPKcS1_S1_S1_S1_PKiPfP15HIP_vector_typeIfLj2EEffffjfiS5_IjLj3EEiiiiiiiiiiiliiliiiiil
    .private_segment_fixed_size: 16
    .sgpr_count:     36
    .sgpr_spill_count: 0
    .symbol:         _ZL15flash_attn_tileILi80ELi80ELi4ELi4ELb1EEvPKcS1_S1_S1_S1_PKiPfP15HIP_vector_typeIfLj2EEffffjfiS5_IjLj3EEiiiiiiiiiiiliiliiiiil.kd
    .uniform_work_group_size: 1
    .uses_dynamic_stack: false
    .vgpr_count:     37
    .vgpr_spill_count: 0
    .wavefront_size: 32
    .workgroup_processor_mode: 1
  - .args:
      - .address_space:  global
        .offset:         0
        .size:           8
        .value_kind:     global_buffer
      - .address_space:  global
        .offset:         8
        .size:           8
        .value_kind:     global_buffer
      - .address_space:  global
        .offset:         16
        .size:           8
        .value_kind:     global_buffer
      - .address_space:  global
        .offset:         24
        .size:           8
        .value_kind:     global_buffer
      - .address_space:  global
        .offset:         32
        .size:           8
        .value_kind:     global_buffer
      - .address_space:  global
        .offset:         40
        .size:           8
        .value_kind:     global_buffer
      - .address_space:  global
        .offset:         48
        .size:           8
        .value_kind:     global_buffer
      - .address_space:  global
        .offset:         56
        .size:           8
        .value_kind:     global_buffer
      - .offset:         64
        .size:           4
        .value_kind:     by_value
      - .offset:         68
        .size:           4
        .value_kind:     by_value
      - .offset:         72
        .size:           4
        .value_kind:     by_value
      - .offset:         76
        .size:           4
        .value_kind:     by_value
      - .offset:         80
        .size:           4
        .value_kind:     by_value
      - .offset:         84
        .size:           4
        .value_kind:     by_value
      - .offset:         88
        .size:           4
        .value_kind:     by_value
      - .offset:         92
        .size:           12
        .value_kind:     by_value
      - .offset:         104
        .size:           4
        .value_kind:     by_value
      - .offset:         108
        .size:           4
        .value_kind:     by_value
      - .offset:         112
        .size:           4
        .value_kind:     by_value
      - .offset:         116
        .size:           4
        .value_kind:     by_value
      - .offset:         120
        .size:           4
        .value_kind:     by_value
      - .offset:         124
        .size:           4
        .value_kind:     by_value
      - .offset:         128
        .size:           4
        .value_kind:     by_value
      - .offset:         132
        .size:           4
        .value_kind:     by_value
      - .offset:         136
        .size:           4
        .value_kind:     by_value
      - .offset:         140
        .size:           4
        .value_kind:     by_value
      - .offset:         144
        .size:           4
        .value_kind:     by_value
      - .offset:         152
        .size:           8
        .value_kind:     by_value
      - .offset:         160
        .size:           4
        .value_kind:     by_value
      - .offset:         164
        .size:           4
        .value_kind:     by_value
      - .offset:         168
        .size:           8
        .value_kind:     by_value
      - .offset:         176
        .size:           4
        .value_kind:     by_value
      - .offset:         180
        .size:           4
        .value_kind:     by_value
      - .offset:         184
        .size:           4
        .value_kind:     by_value
      - .offset:         188
        .size:           4
        .value_kind:     by_value
      - .offset:         192
        .size:           4
        .value_kind:     by_value
      - .offset:         200
        .size:           8
        .value_kind:     by_value
      - .offset:         208
        .size:           4
        .value_kind:     hidden_block_count_x
      - .offset:         212
        .size:           4
        .value_kind:     hidden_block_count_y
      - .offset:         216
        .size:           4
        .value_kind:     hidden_block_count_z
      - .offset:         220
        .size:           2
        .value_kind:     hidden_group_size_x
      - .offset:         222
        .size:           2
        .value_kind:     hidden_group_size_y
      - .offset:         224
        .size:           2
        .value_kind:     hidden_group_size_z
      - .offset:         226
        .size:           2
        .value_kind:     hidden_remainder_x
      - .offset:         228
        .size:           2
        .value_kind:     hidden_remainder_y
      - .offset:         230
        .size:           2
        .value_kind:     hidden_remainder_z
      - .offset:         248
        .size:           8
        .value_kind:     hidden_global_offset_x
      - .offset:         256
        .size:           8
        .value_kind:     hidden_global_offset_y
      - .offset:         264
        .size:           8
        .value_kind:     hidden_global_offset_z
      - .offset:         272
        .size:           2
        .value_kind:     hidden_grid_dims
      - .offset:         288
        .size:           8
        .value_kind:     hidden_hostcall_buffer
    .group_segment_fixed_size: 0
    .kernarg_segment_align: 8
    .kernarg_segment_size: 464
    .language:       OpenCL C
    .language_version:
      - 2
      - 0
    .max_flat_workgroup_size: 256
    .name:           _ZL15flash_attn_tileILi80ELi80ELi2ELi4ELb1EEvPKcS1_S1_S1_S1_PKiPfP15HIP_vector_typeIfLj2EEffffjfiS5_IjLj3EEiiiiiiiiiiiliiliiiiil
    .private_segment_fixed_size: 16
    .sgpr_count:     36
    .sgpr_spill_count: 0
    .symbol:         _ZL15flash_attn_tileILi80ELi80ELi2ELi4ELb1EEvPKcS1_S1_S1_S1_PKiPfP15HIP_vector_typeIfLj2EEffffjfiS5_IjLj3EEiiiiiiiiiiiliiliiiiil.kd
    .uniform_work_group_size: 1
    .uses_dynamic_stack: false
    .vgpr_count:     37
    .vgpr_spill_count: 0
    .wavefront_size: 32
    .workgroup_processor_mode: 1
  - .args:
      - .address_space:  global
        .offset:         0
        .size:           8
        .value_kind:     global_buffer
      - .address_space:  global
        .offset:         8
        .size:           8
        .value_kind:     global_buffer
      - .address_space:  global
        .offset:         16
        .size:           8
        .value_kind:     global_buffer
      - .address_space:  global
        .offset:         24
        .size:           8
        .value_kind:     global_buffer
      - .address_space:  global
        .offset:         32
        .size:           8
        .value_kind:     global_buffer
      - .address_space:  global
        .offset:         40
        .size:           8
        .value_kind:     global_buffer
      - .address_space:  global
        .offset:         48
        .size:           8
        .value_kind:     global_buffer
      - .address_space:  global
        .offset:         56
        .size:           8
        .value_kind:     global_buffer
      - .offset:         64
        .size:           4
        .value_kind:     by_value
      - .offset:         68
        .size:           4
        .value_kind:     by_value
      - .offset:         72
        .size:           4
        .value_kind:     by_value
      - .offset:         76
        .size:           4
        .value_kind:     by_value
      - .offset:         80
        .size:           4
        .value_kind:     by_value
      - .offset:         84
        .size:           4
        .value_kind:     by_value
      - .offset:         88
        .size:           4
        .value_kind:     by_value
      - .offset:         92
        .size:           12
        .value_kind:     by_value
      - .offset:         104
        .size:           4
        .value_kind:     by_value
      - .offset:         108
        .size:           4
        .value_kind:     by_value
      - .offset:         112
        .size:           4
        .value_kind:     by_value
      - .offset:         116
        .size:           4
        .value_kind:     by_value
      - .offset:         120
        .size:           4
        .value_kind:     by_value
      - .offset:         124
        .size:           4
        .value_kind:     by_value
      - .offset:         128
        .size:           4
        .value_kind:     by_value
      - .offset:         132
        .size:           4
        .value_kind:     by_value
      - .offset:         136
        .size:           4
        .value_kind:     by_value
      - .offset:         140
        .size:           4
        .value_kind:     by_value
      - .offset:         144
        .size:           4
        .value_kind:     by_value
      - .offset:         152
        .size:           8
        .value_kind:     by_value
      - .offset:         160
        .size:           4
        .value_kind:     by_value
      - .offset:         164
        .size:           4
        .value_kind:     by_value
      - .offset:         168
        .size:           8
        .value_kind:     by_value
      - .offset:         176
        .size:           4
        .value_kind:     by_value
      - .offset:         180
        .size:           4
        .value_kind:     by_value
      - .offset:         184
        .size:           4
        .value_kind:     by_value
      - .offset:         188
        .size:           4
        .value_kind:     by_value
      - .offset:         192
        .size:           4
        .value_kind:     by_value
      - .offset:         200
        .size:           8
        .value_kind:     by_value
      - .offset:         208
        .size:           4
        .value_kind:     hidden_block_count_x
      - .offset:         212
        .size:           4
        .value_kind:     hidden_block_count_y
      - .offset:         216
        .size:           4
        .value_kind:     hidden_block_count_z
      - .offset:         220
        .size:           2
        .value_kind:     hidden_group_size_x
      - .offset:         222
        .size:           2
        .value_kind:     hidden_group_size_y
      - .offset:         224
        .size:           2
        .value_kind:     hidden_group_size_z
      - .offset:         226
        .size:           2
        .value_kind:     hidden_remainder_x
      - .offset:         228
        .size:           2
        .value_kind:     hidden_remainder_y
      - .offset:         230
        .size:           2
        .value_kind:     hidden_remainder_z
      - .offset:         248
        .size:           8
        .value_kind:     hidden_global_offset_x
      - .offset:         256
        .size:           8
        .value_kind:     hidden_global_offset_y
      - .offset:         264
        .size:           8
        .value_kind:     hidden_global_offset_z
      - .offset:         272
        .size:           2
        .value_kind:     hidden_grid_dims
      - .offset:         288
        .size:           8
        .value_kind:     hidden_hostcall_buffer
    .group_segment_fixed_size: 0
    .kernarg_segment_align: 8
    .kernarg_segment_size: 464
    .language:       OpenCL C
    .language_version:
      - 2
      - 0
    .max_flat_workgroup_size: 128
    .name:           _ZL15flash_attn_tileILi80ELi80ELi1ELi4ELb1EEvPKcS1_S1_S1_S1_PKiPfP15HIP_vector_typeIfLj2EEffffjfiS5_IjLj3EEiiiiiiiiiiiliiliiiiil
    .private_segment_fixed_size: 16
    .sgpr_count:     36
    .sgpr_spill_count: 0
    .symbol:         _ZL15flash_attn_tileILi80ELi80ELi1ELi4ELb1EEvPKcS1_S1_S1_S1_PKiPfP15HIP_vector_typeIfLj2EEffffjfiS5_IjLj3EEiiiiiiiiiiiliiliiiiil.kd
    .uniform_work_group_size: 1
    .uses_dynamic_stack: false
    .vgpr_count:     37
    .vgpr_spill_count: 0
    .wavefront_size: 32
    .workgroup_processor_mode: 1
  - .args:
      - .address_space:  global
        .offset:         0
        .size:           8
        .value_kind:     global_buffer
      - .address_space:  global
        .offset:         8
        .size:           8
        .value_kind:     global_buffer
      - .address_space:  global
        .offset:         16
        .size:           8
        .value_kind:     global_buffer
      - .address_space:  global
        .offset:         24
        .size:           8
        .value_kind:     global_buffer
      - .address_space:  global
        .offset:         32
        .size:           8
        .value_kind:     global_buffer
      - .address_space:  global
        .offset:         40
        .size:           8
        .value_kind:     global_buffer
      - .address_space:  global
        .offset:         48
        .size:           8
        .value_kind:     global_buffer
      - .address_space:  global
        .offset:         56
        .size:           8
        .value_kind:     global_buffer
      - .offset:         64
        .size:           4
        .value_kind:     by_value
      - .offset:         68
        .size:           4
        .value_kind:     by_value
      - .offset:         72
        .size:           4
        .value_kind:     by_value
      - .offset:         76
        .size:           4
        .value_kind:     by_value
      - .offset:         80
        .size:           4
        .value_kind:     by_value
      - .offset:         84
        .size:           4
        .value_kind:     by_value
      - .offset:         88
        .size:           4
        .value_kind:     by_value
      - .offset:         92
        .size:           12
        .value_kind:     by_value
      - .offset:         104
        .size:           4
        .value_kind:     by_value
      - .offset:         108
        .size:           4
        .value_kind:     by_value
      - .offset:         112
        .size:           4
        .value_kind:     by_value
      - .offset:         116
        .size:           4
        .value_kind:     by_value
      - .offset:         120
        .size:           4
        .value_kind:     by_value
      - .offset:         124
        .size:           4
        .value_kind:     by_value
      - .offset:         128
        .size:           4
        .value_kind:     by_value
      - .offset:         132
        .size:           4
        .value_kind:     by_value
      - .offset:         136
        .size:           4
        .value_kind:     by_value
      - .offset:         140
        .size:           4
        .value_kind:     by_value
      - .offset:         144
        .size:           4
        .value_kind:     by_value
      - .offset:         152
        .size:           8
        .value_kind:     by_value
      - .offset:         160
        .size:           4
        .value_kind:     by_value
      - .offset:         164
        .size:           4
        .value_kind:     by_value
      - .offset:         168
        .size:           8
        .value_kind:     by_value
      - .offset:         176
        .size:           4
        .value_kind:     by_value
      - .offset:         180
        .size:           4
        .value_kind:     by_value
      - .offset:         184
        .size:           4
        .value_kind:     by_value
      - .offset:         188
        .size:           4
        .value_kind:     by_value
      - .offset:         192
        .size:           4
        .value_kind:     by_value
      - .offset:         200
        .size:           8
        .value_kind:     by_value
      - .offset:         208
        .size:           4
        .value_kind:     hidden_block_count_x
      - .offset:         212
        .size:           4
        .value_kind:     hidden_block_count_y
      - .offset:         216
        .size:           4
        .value_kind:     hidden_block_count_z
      - .offset:         220
        .size:           2
        .value_kind:     hidden_group_size_x
      - .offset:         222
        .size:           2
        .value_kind:     hidden_group_size_y
      - .offset:         224
        .size:           2
        .value_kind:     hidden_group_size_z
      - .offset:         226
        .size:           2
        .value_kind:     hidden_remainder_x
      - .offset:         228
        .size:           2
        .value_kind:     hidden_remainder_y
      - .offset:         230
        .size:           2
        .value_kind:     hidden_remainder_z
      - .offset:         248
        .size:           8
        .value_kind:     hidden_global_offset_x
      - .offset:         256
        .size:           8
        .value_kind:     hidden_global_offset_y
      - .offset:         264
        .size:           8
        .value_kind:     hidden_global_offset_z
      - .offset:         272
        .size:           2
        .value_kind:     hidden_grid_dims
      - .offset:         288
        .size:           8
        .value_kind:     hidden_hostcall_buffer
    .group_segment_fixed_size: 0
    .kernarg_segment_align: 8
    .kernarg_segment_size: 464
    .language:       OpenCL C
    .language_version:
      - 2
      - 0
    .max_flat_workgroup_size: 256
    .name:           _ZL15flash_attn_tileILi80ELi80ELi32ELi2ELb1EEvPKcS1_S1_S1_S1_PKiPfP15HIP_vector_typeIfLj2EEffffjfiS5_IjLj3EEiiiiiiiiiiiliiliiiiil
    .private_segment_fixed_size: 16
    .sgpr_count:     36
    .sgpr_spill_count: 0
    .symbol:         _ZL15flash_attn_tileILi80ELi80ELi32ELi2ELb1EEvPKcS1_S1_S1_S1_PKiPfP15HIP_vector_typeIfLj2EEffffjfiS5_IjLj3EEiiiiiiiiiiiliiliiiiil.kd
    .uniform_work_group_size: 1
    .uses_dynamic_stack: false
    .vgpr_count:     37
    .vgpr_spill_count: 0
    .wavefront_size: 32
    .workgroup_processor_mode: 1
  - .args:
      - .address_space:  global
        .offset:         0
        .size:           8
        .value_kind:     global_buffer
      - .address_space:  global
        .offset:         8
        .size:           8
        .value_kind:     global_buffer
      - .address_space:  global
        .offset:         16
        .size:           8
        .value_kind:     global_buffer
      - .address_space:  global
        .offset:         24
        .size:           8
        .value_kind:     global_buffer
      - .address_space:  global
        .offset:         32
        .size:           8
        .value_kind:     global_buffer
      - .address_space:  global
        .offset:         40
        .size:           8
        .value_kind:     global_buffer
      - .address_space:  global
        .offset:         48
        .size:           8
        .value_kind:     global_buffer
      - .address_space:  global
        .offset:         56
        .size:           8
        .value_kind:     global_buffer
      - .offset:         64
        .size:           4
        .value_kind:     by_value
      - .offset:         68
        .size:           4
        .value_kind:     by_value
      - .offset:         72
        .size:           4
        .value_kind:     by_value
      - .offset:         76
        .size:           4
        .value_kind:     by_value
      - .offset:         80
        .size:           4
        .value_kind:     by_value
      - .offset:         84
        .size:           4
        .value_kind:     by_value
      - .offset:         88
        .size:           4
        .value_kind:     by_value
      - .offset:         92
        .size:           12
        .value_kind:     by_value
      - .offset:         104
        .size:           4
        .value_kind:     by_value
      - .offset:         108
        .size:           4
        .value_kind:     by_value
      - .offset:         112
        .size:           4
        .value_kind:     by_value
      - .offset:         116
        .size:           4
        .value_kind:     by_value
      - .offset:         120
        .size:           4
        .value_kind:     by_value
      - .offset:         124
        .size:           4
        .value_kind:     by_value
      - .offset:         128
        .size:           4
        .value_kind:     by_value
      - .offset:         132
        .size:           4
        .value_kind:     by_value
      - .offset:         136
        .size:           4
        .value_kind:     by_value
      - .offset:         140
        .size:           4
        .value_kind:     by_value
      - .offset:         144
        .size:           4
        .value_kind:     by_value
      - .offset:         152
        .size:           8
        .value_kind:     by_value
      - .offset:         160
        .size:           4
        .value_kind:     by_value
      - .offset:         164
        .size:           4
        .value_kind:     by_value
      - .offset:         168
        .size:           8
        .value_kind:     by_value
      - .offset:         176
        .size:           4
        .value_kind:     by_value
      - .offset:         180
        .size:           4
        .value_kind:     by_value
      - .offset:         184
        .size:           4
        .value_kind:     by_value
      - .offset:         188
        .size:           4
        .value_kind:     by_value
      - .offset:         192
        .size:           4
        .value_kind:     by_value
      - .offset:         200
        .size:           8
        .value_kind:     by_value
      - .offset:         208
        .size:           4
        .value_kind:     hidden_block_count_x
      - .offset:         212
        .size:           4
        .value_kind:     hidden_block_count_y
      - .offset:         216
        .size:           4
        .value_kind:     hidden_block_count_z
      - .offset:         220
        .size:           2
        .value_kind:     hidden_group_size_x
      - .offset:         222
        .size:           2
        .value_kind:     hidden_group_size_y
      - .offset:         224
        .size:           2
        .value_kind:     hidden_group_size_z
      - .offset:         226
        .size:           2
        .value_kind:     hidden_remainder_x
      - .offset:         228
        .size:           2
        .value_kind:     hidden_remainder_y
      - .offset:         230
        .size:           2
        .value_kind:     hidden_remainder_z
      - .offset:         248
        .size:           8
        .value_kind:     hidden_global_offset_x
      - .offset:         256
        .size:           8
        .value_kind:     hidden_global_offset_y
      - .offset:         264
        .size:           8
        .value_kind:     hidden_global_offset_z
      - .offset:         272
        .size:           2
        .value_kind:     hidden_grid_dims
      - .offset:         288
        .size:           8
        .value_kind:     hidden_hostcall_buffer
    .group_segment_fixed_size: 0
    .kernarg_segment_align: 8
    .kernarg_segment_size: 464
    .language:       OpenCL C
    .language_version:
      - 2
      - 0
    .max_flat_workgroup_size: 256
    .name:           _ZL15flash_attn_tileILi80ELi80ELi16ELi2ELb1EEvPKcS1_S1_S1_S1_PKiPfP15HIP_vector_typeIfLj2EEffffjfiS5_IjLj3EEiiiiiiiiiiiliiliiiiil
    .private_segment_fixed_size: 16
    .sgpr_count:     36
    .sgpr_spill_count: 0
    .symbol:         _ZL15flash_attn_tileILi80ELi80ELi16ELi2ELb1EEvPKcS1_S1_S1_S1_PKiPfP15HIP_vector_typeIfLj2EEffffjfiS5_IjLj3EEiiiiiiiiiiiliiliiiiil.kd
    .uniform_work_group_size: 1
    .uses_dynamic_stack: false
    .vgpr_count:     37
    .vgpr_spill_count: 0
    .wavefront_size: 32
    .workgroup_processor_mode: 1
  - .args:
      - .address_space:  global
        .offset:         0
        .size:           8
        .value_kind:     global_buffer
      - .address_space:  global
        .offset:         8
        .size:           8
        .value_kind:     global_buffer
      - .address_space:  global
        .offset:         16
        .size:           8
        .value_kind:     global_buffer
      - .address_space:  global
        .offset:         24
        .size:           8
        .value_kind:     global_buffer
      - .address_space:  global
        .offset:         32
        .size:           8
        .value_kind:     global_buffer
      - .address_space:  global
        .offset:         40
        .size:           8
        .value_kind:     global_buffer
      - .address_space:  global
        .offset:         48
        .size:           8
        .value_kind:     global_buffer
      - .address_space:  global
        .offset:         56
        .size:           8
        .value_kind:     global_buffer
      - .offset:         64
        .size:           4
        .value_kind:     by_value
      - .offset:         68
        .size:           4
        .value_kind:     by_value
      - .offset:         72
        .size:           4
        .value_kind:     by_value
      - .offset:         76
        .size:           4
        .value_kind:     by_value
      - .offset:         80
        .size:           4
        .value_kind:     by_value
      - .offset:         84
        .size:           4
        .value_kind:     by_value
      - .offset:         88
        .size:           4
        .value_kind:     by_value
      - .offset:         92
        .size:           12
        .value_kind:     by_value
      - .offset:         104
        .size:           4
        .value_kind:     by_value
      - .offset:         108
        .size:           4
        .value_kind:     by_value
      - .offset:         112
        .size:           4
        .value_kind:     by_value
      - .offset:         116
        .size:           4
        .value_kind:     by_value
      - .offset:         120
        .size:           4
        .value_kind:     by_value
      - .offset:         124
        .size:           4
        .value_kind:     by_value
      - .offset:         128
        .size:           4
        .value_kind:     by_value
      - .offset:         132
        .size:           4
        .value_kind:     by_value
      - .offset:         136
        .size:           4
        .value_kind:     by_value
      - .offset:         140
        .size:           4
        .value_kind:     by_value
      - .offset:         144
        .size:           4
        .value_kind:     by_value
      - .offset:         152
        .size:           8
        .value_kind:     by_value
      - .offset:         160
        .size:           4
        .value_kind:     by_value
      - .offset:         164
        .size:           4
        .value_kind:     by_value
      - .offset:         168
        .size:           8
        .value_kind:     by_value
      - .offset:         176
        .size:           4
        .value_kind:     by_value
      - .offset:         180
        .size:           4
        .value_kind:     by_value
      - .offset:         184
        .size:           4
        .value_kind:     by_value
      - .offset:         188
        .size:           4
        .value_kind:     by_value
      - .offset:         192
        .size:           4
        .value_kind:     by_value
      - .offset:         200
        .size:           8
        .value_kind:     by_value
      - .offset:         208
        .size:           4
        .value_kind:     hidden_block_count_x
      - .offset:         212
        .size:           4
        .value_kind:     hidden_block_count_y
      - .offset:         216
        .size:           4
        .value_kind:     hidden_block_count_z
      - .offset:         220
        .size:           2
        .value_kind:     hidden_group_size_x
      - .offset:         222
        .size:           2
        .value_kind:     hidden_group_size_y
      - .offset:         224
        .size:           2
        .value_kind:     hidden_group_size_z
      - .offset:         226
        .size:           2
        .value_kind:     hidden_remainder_x
      - .offset:         228
        .size:           2
        .value_kind:     hidden_remainder_y
      - .offset:         230
        .size:           2
        .value_kind:     hidden_remainder_z
      - .offset:         248
        .size:           8
        .value_kind:     hidden_global_offset_x
      - .offset:         256
        .size:           8
        .value_kind:     hidden_global_offset_y
      - .offset:         264
        .size:           8
        .value_kind:     hidden_global_offset_z
      - .offset:         272
        .size:           2
        .value_kind:     hidden_grid_dims
      - .offset:         288
        .size:           8
        .value_kind:     hidden_hostcall_buffer
    .group_segment_fixed_size: 0
    .kernarg_segment_align: 8
    .kernarg_segment_size: 464
    .language:       OpenCL C
    .language_version:
      - 2
      - 0
    .max_flat_workgroup_size: 256
    .name:           _ZL15flash_attn_tileILi80ELi80ELi8ELi2ELb1EEvPKcS1_S1_S1_S1_PKiPfP15HIP_vector_typeIfLj2EEffffjfiS5_IjLj3EEiiiiiiiiiiiliiliiiiil
    .private_segment_fixed_size: 16
    .sgpr_count:     36
    .sgpr_spill_count: 0
    .symbol:         _ZL15flash_attn_tileILi80ELi80ELi8ELi2ELb1EEvPKcS1_S1_S1_S1_PKiPfP15HIP_vector_typeIfLj2EEffffjfiS5_IjLj3EEiiiiiiiiiiiliiliiiiil.kd
    .uniform_work_group_size: 1
    .uses_dynamic_stack: false
    .vgpr_count:     37
    .vgpr_spill_count: 0
    .wavefront_size: 32
    .workgroup_processor_mode: 1
  - .args:
      - .address_space:  global
        .offset:         0
        .size:           8
        .value_kind:     global_buffer
      - .address_space:  global
        .offset:         8
        .size:           8
        .value_kind:     global_buffer
      - .address_space:  global
        .offset:         16
        .size:           8
        .value_kind:     global_buffer
      - .address_space:  global
        .offset:         24
        .size:           8
        .value_kind:     global_buffer
      - .address_space:  global
        .offset:         32
        .size:           8
        .value_kind:     global_buffer
      - .address_space:  global
        .offset:         40
        .size:           8
        .value_kind:     global_buffer
      - .address_space:  global
        .offset:         48
        .size:           8
        .value_kind:     global_buffer
      - .address_space:  global
        .offset:         56
        .size:           8
        .value_kind:     global_buffer
      - .offset:         64
        .size:           4
        .value_kind:     by_value
      - .offset:         68
        .size:           4
        .value_kind:     by_value
      - .offset:         72
        .size:           4
        .value_kind:     by_value
      - .offset:         76
        .size:           4
        .value_kind:     by_value
      - .offset:         80
        .size:           4
        .value_kind:     by_value
      - .offset:         84
        .size:           4
        .value_kind:     by_value
      - .offset:         88
        .size:           4
        .value_kind:     by_value
      - .offset:         92
        .size:           12
        .value_kind:     by_value
      - .offset:         104
        .size:           4
        .value_kind:     by_value
      - .offset:         108
        .size:           4
        .value_kind:     by_value
      - .offset:         112
        .size:           4
        .value_kind:     by_value
      - .offset:         116
        .size:           4
        .value_kind:     by_value
      - .offset:         120
        .size:           4
        .value_kind:     by_value
      - .offset:         124
        .size:           4
        .value_kind:     by_value
      - .offset:         128
        .size:           4
        .value_kind:     by_value
      - .offset:         132
        .size:           4
        .value_kind:     by_value
      - .offset:         136
        .size:           4
        .value_kind:     by_value
      - .offset:         140
        .size:           4
        .value_kind:     by_value
      - .offset:         144
        .size:           4
        .value_kind:     by_value
      - .offset:         152
        .size:           8
        .value_kind:     by_value
      - .offset:         160
        .size:           4
        .value_kind:     by_value
      - .offset:         164
        .size:           4
        .value_kind:     by_value
      - .offset:         168
        .size:           8
        .value_kind:     by_value
      - .offset:         176
        .size:           4
        .value_kind:     by_value
      - .offset:         180
        .size:           4
        .value_kind:     by_value
      - .offset:         184
        .size:           4
        .value_kind:     by_value
      - .offset:         188
        .size:           4
        .value_kind:     by_value
      - .offset:         192
        .size:           4
        .value_kind:     by_value
      - .offset:         200
        .size:           8
        .value_kind:     by_value
      - .offset:         208
        .size:           4
        .value_kind:     hidden_block_count_x
      - .offset:         212
        .size:           4
        .value_kind:     hidden_block_count_y
      - .offset:         216
        .size:           4
        .value_kind:     hidden_block_count_z
      - .offset:         220
        .size:           2
        .value_kind:     hidden_group_size_x
      - .offset:         222
        .size:           2
        .value_kind:     hidden_group_size_y
      - .offset:         224
        .size:           2
        .value_kind:     hidden_group_size_z
      - .offset:         226
        .size:           2
        .value_kind:     hidden_remainder_x
      - .offset:         228
        .size:           2
        .value_kind:     hidden_remainder_y
      - .offset:         230
        .size:           2
        .value_kind:     hidden_remainder_z
      - .offset:         248
        .size:           8
        .value_kind:     hidden_global_offset_x
      - .offset:         256
        .size:           8
        .value_kind:     hidden_global_offset_y
      - .offset:         264
        .size:           8
        .value_kind:     hidden_global_offset_z
      - .offset:         272
        .size:           2
        .value_kind:     hidden_grid_dims
      - .offset:         288
        .size:           8
        .value_kind:     hidden_hostcall_buffer
    .group_segment_fixed_size: 0
    .kernarg_segment_align: 8
    .kernarg_segment_size: 464
    .language:       OpenCL C
    .language_version:
      - 2
      - 0
    .max_flat_workgroup_size: 256
    .name:           _ZL15flash_attn_tileILi80ELi80ELi4ELi2ELb1EEvPKcS1_S1_S1_S1_PKiPfP15HIP_vector_typeIfLj2EEffffjfiS5_IjLj3EEiiiiiiiiiiiliiliiiiil
    .private_segment_fixed_size: 16
    .sgpr_count:     36
    .sgpr_spill_count: 0
    .symbol:         _ZL15flash_attn_tileILi80ELi80ELi4ELi2ELb1EEvPKcS1_S1_S1_S1_PKiPfP15HIP_vector_typeIfLj2EEffffjfiS5_IjLj3EEiiiiiiiiiiiliiliiiiil.kd
    .uniform_work_group_size: 1
    .uses_dynamic_stack: false
    .vgpr_count:     37
    .vgpr_spill_count: 0
    .wavefront_size: 32
    .workgroup_processor_mode: 1
  - .args:
      - .address_space:  global
        .offset:         0
        .size:           8
        .value_kind:     global_buffer
      - .address_space:  global
        .offset:         8
        .size:           8
        .value_kind:     global_buffer
      - .address_space:  global
        .offset:         16
        .size:           8
        .value_kind:     global_buffer
      - .address_space:  global
        .offset:         24
        .size:           8
        .value_kind:     global_buffer
      - .address_space:  global
        .offset:         32
        .size:           8
        .value_kind:     global_buffer
      - .address_space:  global
        .offset:         40
        .size:           8
        .value_kind:     global_buffer
      - .address_space:  global
        .offset:         48
        .size:           8
        .value_kind:     global_buffer
      - .address_space:  global
        .offset:         56
        .size:           8
        .value_kind:     global_buffer
      - .offset:         64
        .size:           4
        .value_kind:     by_value
      - .offset:         68
        .size:           4
        .value_kind:     by_value
      - .offset:         72
        .size:           4
        .value_kind:     by_value
      - .offset:         76
        .size:           4
        .value_kind:     by_value
      - .offset:         80
        .size:           4
        .value_kind:     by_value
      - .offset:         84
        .size:           4
        .value_kind:     by_value
      - .offset:         88
        .size:           4
        .value_kind:     by_value
      - .offset:         92
        .size:           12
        .value_kind:     by_value
      - .offset:         104
        .size:           4
        .value_kind:     by_value
      - .offset:         108
        .size:           4
        .value_kind:     by_value
      - .offset:         112
        .size:           4
        .value_kind:     by_value
      - .offset:         116
        .size:           4
        .value_kind:     by_value
      - .offset:         120
        .size:           4
        .value_kind:     by_value
      - .offset:         124
        .size:           4
        .value_kind:     by_value
      - .offset:         128
        .size:           4
        .value_kind:     by_value
      - .offset:         132
        .size:           4
        .value_kind:     by_value
      - .offset:         136
        .size:           4
        .value_kind:     by_value
      - .offset:         140
        .size:           4
        .value_kind:     by_value
      - .offset:         144
        .size:           4
        .value_kind:     by_value
      - .offset:         152
        .size:           8
        .value_kind:     by_value
      - .offset:         160
        .size:           4
        .value_kind:     by_value
      - .offset:         164
        .size:           4
        .value_kind:     by_value
      - .offset:         168
        .size:           8
        .value_kind:     by_value
      - .offset:         176
        .size:           4
        .value_kind:     by_value
      - .offset:         180
        .size:           4
        .value_kind:     by_value
      - .offset:         184
        .size:           4
        .value_kind:     by_value
      - .offset:         188
        .size:           4
        .value_kind:     by_value
      - .offset:         192
        .size:           4
        .value_kind:     by_value
      - .offset:         200
        .size:           8
        .value_kind:     by_value
      - .offset:         208
        .size:           4
        .value_kind:     hidden_block_count_x
      - .offset:         212
        .size:           4
        .value_kind:     hidden_block_count_y
      - .offset:         216
        .size:           4
        .value_kind:     hidden_block_count_z
      - .offset:         220
        .size:           2
        .value_kind:     hidden_group_size_x
      - .offset:         222
        .size:           2
        .value_kind:     hidden_group_size_y
      - .offset:         224
        .size:           2
        .value_kind:     hidden_group_size_z
      - .offset:         226
        .size:           2
        .value_kind:     hidden_remainder_x
      - .offset:         228
        .size:           2
        .value_kind:     hidden_remainder_y
      - .offset:         230
        .size:           2
        .value_kind:     hidden_remainder_z
      - .offset:         248
        .size:           8
        .value_kind:     hidden_global_offset_x
      - .offset:         256
        .size:           8
        .value_kind:     hidden_global_offset_y
      - .offset:         264
        .size:           8
        .value_kind:     hidden_global_offset_z
      - .offset:         272
        .size:           2
        .value_kind:     hidden_grid_dims
      - .offset:         288
        .size:           8
        .value_kind:     hidden_hostcall_buffer
    .group_segment_fixed_size: 0
    .kernarg_segment_align: 8
    .kernarg_segment_size: 464
    .language:       OpenCL C
    .language_version:
      - 2
      - 0
    .max_flat_workgroup_size: 128
    .name:           _ZL15flash_attn_tileILi80ELi80ELi2ELi2ELb1EEvPKcS1_S1_S1_S1_PKiPfP15HIP_vector_typeIfLj2EEffffjfiS5_IjLj3EEiiiiiiiiiiiliiliiiiil
    .private_segment_fixed_size: 16
    .sgpr_count:     36
    .sgpr_spill_count: 0
    .symbol:         _ZL15flash_attn_tileILi80ELi80ELi2ELi2ELb1EEvPKcS1_S1_S1_S1_PKiPfP15HIP_vector_typeIfLj2EEffffjfiS5_IjLj3EEiiiiiiiiiiiliiliiiiil.kd
    .uniform_work_group_size: 1
    .uses_dynamic_stack: false
    .vgpr_count:     37
    .vgpr_spill_count: 0
    .wavefront_size: 32
    .workgroup_processor_mode: 1
  - .args:
      - .address_space:  global
        .offset:         0
        .size:           8
        .value_kind:     global_buffer
      - .address_space:  global
        .offset:         8
        .size:           8
        .value_kind:     global_buffer
      - .address_space:  global
        .offset:         16
        .size:           8
        .value_kind:     global_buffer
      - .address_space:  global
        .offset:         24
        .size:           8
        .value_kind:     global_buffer
      - .address_space:  global
        .offset:         32
        .size:           8
        .value_kind:     global_buffer
      - .address_space:  global
        .offset:         40
        .size:           8
        .value_kind:     global_buffer
      - .address_space:  global
        .offset:         48
        .size:           8
        .value_kind:     global_buffer
      - .address_space:  global
        .offset:         56
        .size:           8
        .value_kind:     global_buffer
      - .offset:         64
        .size:           4
        .value_kind:     by_value
      - .offset:         68
        .size:           4
        .value_kind:     by_value
      - .offset:         72
        .size:           4
        .value_kind:     by_value
      - .offset:         76
        .size:           4
        .value_kind:     by_value
      - .offset:         80
        .size:           4
        .value_kind:     by_value
      - .offset:         84
        .size:           4
        .value_kind:     by_value
      - .offset:         88
        .size:           4
        .value_kind:     by_value
      - .offset:         92
        .size:           12
        .value_kind:     by_value
      - .offset:         104
        .size:           4
        .value_kind:     by_value
      - .offset:         108
        .size:           4
        .value_kind:     by_value
      - .offset:         112
        .size:           4
        .value_kind:     by_value
      - .offset:         116
        .size:           4
        .value_kind:     by_value
      - .offset:         120
        .size:           4
        .value_kind:     by_value
      - .offset:         124
        .size:           4
        .value_kind:     by_value
      - .offset:         128
        .size:           4
        .value_kind:     by_value
      - .offset:         132
        .size:           4
        .value_kind:     by_value
      - .offset:         136
        .size:           4
        .value_kind:     by_value
      - .offset:         140
        .size:           4
        .value_kind:     by_value
      - .offset:         144
        .size:           4
        .value_kind:     by_value
      - .offset:         152
        .size:           8
        .value_kind:     by_value
      - .offset:         160
        .size:           4
        .value_kind:     by_value
      - .offset:         164
        .size:           4
        .value_kind:     by_value
      - .offset:         168
        .size:           8
        .value_kind:     by_value
      - .offset:         176
        .size:           4
        .value_kind:     by_value
      - .offset:         180
        .size:           4
        .value_kind:     by_value
      - .offset:         184
        .size:           4
        .value_kind:     by_value
      - .offset:         188
        .size:           4
        .value_kind:     by_value
      - .offset:         192
        .size:           4
        .value_kind:     by_value
      - .offset:         200
        .size:           8
        .value_kind:     by_value
      - .offset:         208
        .size:           4
        .value_kind:     hidden_block_count_x
      - .offset:         212
        .size:           4
        .value_kind:     hidden_block_count_y
      - .offset:         216
        .size:           4
        .value_kind:     hidden_block_count_z
      - .offset:         220
        .size:           2
        .value_kind:     hidden_group_size_x
      - .offset:         222
        .size:           2
        .value_kind:     hidden_group_size_y
      - .offset:         224
        .size:           2
        .value_kind:     hidden_group_size_z
      - .offset:         226
        .size:           2
        .value_kind:     hidden_remainder_x
      - .offset:         228
        .size:           2
        .value_kind:     hidden_remainder_y
      - .offset:         230
        .size:           2
        .value_kind:     hidden_remainder_z
      - .offset:         248
        .size:           8
        .value_kind:     hidden_global_offset_x
      - .offset:         256
        .size:           8
        .value_kind:     hidden_global_offset_y
      - .offset:         264
        .size:           8
        .value_kind:     hidden_global_offset_z
      - .offset:         272
        .size:           2
        .value_kind:     hidden_grid_dims
      - .offset:         288
        .size:           8
        .value_kind:     hidden_hostcall_buffer
    .group_segment_fixed_size: 0
    .kernarg_segment_align: 8
    .kernarg_segment_size: 464
    .language:       OpenCL C
    .language_version:
      - 2
      - 0
    .max_flat_workgroup_size: 64
    .name:           _ZL15flash_attn_tileILi80ELi80ELi1ELi2ELb1EEvPKcS1_S1_S1_S1_PKiPfP15HIP_vector_typeIfLj2EEffffjfiS5_IjLj3EEiiiiiiiiiiiliiliiiiil
    .private_segment_fixed_size: 16
    .sgpr_count:     36
    .sgpr_spill_count: 0
    .symbol:         _ZL15flash_attn_tileILi80ELi80ELi1ELi2ELb1EEvPKcS1_S1_S1_S1_PKiPfP15HIP_vector_typeIfLj2EEffffjfiS5_IjLj3EEiiiiiiiiiiiliiliiiiil.kd
    .uniform_work_group_size: 1
    .uses_dynamic_stack: false
    .vgpr_count:     37
    .vgpr_spill_count: 0
    .wavefront_size: 32
    .workgroup_processor_mode: 1
  - .args:
      - .address_space:  global
        .offset:         0
        .size:           8
        .value_kind:     global_buffer
      - .address_space:  global
        .offset:         8
        .size:           8
        .value_kind:     global_buffer
      - .address_space:  global
        .offset:         16
        .size:           8
        .value_kind:     global_buffer
      - .address_space:  global
        .offset:         24
        .size:           8
        .value_kind:     global_buffer
      - .address_space:  global
        .offset:         32
        .size:           8
        .value_kind:     global_buffer
      - .address_space:  global
        .offset:         40
        .size:           8
        .value_kind:     global_buffer
      - .address_space:  global
        .offset:         48
        .size:           8
        .value_kind:     global_buffer
      - .address_space:  global
        .offset:         56
        .size:           8
        .value_kind:     global_buffer
      - .offset:         64
        .size:           4
        .value_kind:     by_value
      - .offset:         68
        .size:           4
        .value_kind:     by_value
      - .offset:         72
        .size:           4
        .value_kind:     by_value
      - .offset:         76
        .size:           4
        .value_kind:     by_value
      - .offset:         80
        .size:           4
        .value_kind:     by_value
      - .offset:         84
        .size:           4
        .value_kind:     by_value
      - .offset:         88
        .size:           4
        .value_kind:     by_value
      - .offset:         92
        .size:           12
        .value_kind:     by_value
      - .offset:         104
        .size:           4
        .value_kind:     by_value
      - .offset:         108
        .size:           4
        .value_kind:     by_value
      - .offset:         112
        .size:           4
        .value_kind:     by_value
      - .offset:         116
        .size:           4
        .value_kind:     by_value
      - .offset:         120
        .size:           4
        .value_kind:     by_value
      - .offset:         124
        .size:           4
        .value_kind:     by_value
      - .offset:         128
        .size:           4
        .value_kind:     by_value
      - .offset:         132
        .size:           4
        .value_kind:     by_value
      - .offset:         136
        .size:           4
        .value_kind:     by_value
      - .offset:         140
        .size:           4
        .value_kind:     by_value
      - .offset:         144
        .size:           4
        .value_kind:     by_value
      - .offset:         152
        .size:           8
        .value_kind:     by_value
      - .offset:         160
        .size:           4
        .value_kind:     by_value
      - .offset:         164
        .size:           4
        .value_kind:     by_value
      - .offset:         168
        .size:           8
        .value_kind:     by_value
      - .offset:         176
        .size:           4
        .value_kind:     by_value
      - .offset:         180
        .size:           4
        .value_kind:     by_value
      - .offset:         184
        .size:           4
        .value_kind:     by_value
      - .offset:         188
        .size:           4
        .value_kind:     by_value
      - .offset:         192
        .size:           4
        .value_kind:     by_value
      - .offset:         200
        .size:           8
        .value_kind:     by_value
      - .offset:         208
        .size:           4
        .value_kind:     hidden_block_count_x
      - .offset:         212
        .size:           4
        .value_kind:     hidden_block_count_y
      - .offset:         216
        .size:           4
        .value_kind:     hidden_block_count_z
      - .offset:         220
        .size:           2
        .value_kind:     hidden_group_size_x
      - .offset:         222
        .size:           2
        .value_kind:     hidden_group_size_y
      - .offset:         224
        .size:           2
        .value_kind:     hidden_group_size_z
      - .offset:         226
        .size:           2
        .value_kind:     hidden_remainder_x
      - .offset:         228
        .size:           2
        .value_kind:     hidden_remainder_y
      - .offset:         230
        .size:           2
        .value_kind:     hidden_remainder_z
      - .offset:         248
        .size:           8
        .value_kind:     hidden_global_offset_x
      - .offset:         256
        .size:           8
        .value_kind:     hidden_global_offset_y
      - .offset:         264
        .size:           8
        .value_kind:     hidden_global_offset_z
      - .offset:         272
        .size:           2
        .value_kind:     hidden_grid_dims
      - .offset:         288
        .size:           8
        .value_kind:     hidden_hostcall_buffer
    .group_segment_fixed_size: 0
    .kernarg_segment_align: 8
    .kernarg_segment_size: 464
    .language:       OpenCL C
    .language_version:
      - 2
      - 0
    .max_flat_workgroup_size: 256
    .name:           _ZL15flash_attn_tileILi80ELi80ELi64ELi1ELb1EEvPKcS1_S1_S1_S1_PKiPfP15HIP_vector_typeIfLj2EEffffjfiS5_IjLj3EEiiiiiiiiiiiliiliiiiil
    .private_segment_fixed_size: 16
    .sgpr_count:     36
    .sgpr_spill_count: 0
    .symbol:         _ZL15flash_attn_tileILi80ELi80ELi64ELi1ELb1EEvPKcS1_S1_S1_S1_PKiPfP15HIP_vector_typeIfLj2EEffffjfiS5_IjLj3EEiiiiiiiiiiiliiliiiiil.kd
    .uniform_work_group_size: 1
    .uses_dynamic_stack: false
    .vgpr_count:     37
    .vgpr_spill_count: 0
    .wavefront_size: 32
    .workgroup_processor_mode: 1
  - .args:
      - .address_space:  global
        .offset:         0
        .size:           8
        .value_kind:     global_buffer
      - .address_space:  global
        .offset:         8
        .size:           8
        .value_kind:     global_buffer
      - .address_space:  global
        .offset:         16
        .size:           8
        .value_kind:     global_buffer
      - .address_space:  global
        .offset:         24
        .size:           8
        .value_kind:     global_buffer
      - .address_space:  global
        .offset:         32
        .size:           8
        .value_kind:     global_buffer
      - .address_space:  global
        .offset:         40
        .size:           8
        .value_kind:     global_buffer
      - .address_space:  global
        .offset:         48
        .size:           8
        .value_kind:     global_buffer
      - .address_space:  global
        .offset:         56
        .size:           8
        .value_kind:     global_buffer
      - .offset:         64
        .size:           4
        .value_kind:     by_value
      - .offset:         68
        .size:           4
        .value_kind:     by_value
      - .offset:         72
        .size:           4
        .value_kind:     by_value
      - .offset:         76
        .size:           4
        .value_kind:     by_value
      - .offset:         80
        .size:           4
        .value_kind:     by_value
      - .offset:         84
        .size:           4
        .value_kind:     by_value
      - .offset:         88
        .size:           4
        .value_kind:     by_value
      - .offset:         92
        .size:           12
        .value_kind:     by_value
      - .offset:         104
        .size:           4
        .value_kind:     by_value
      - .offset:         108
        .size:           4
        .value_kind:     by_value
      - .offset:         112
        .size:           4
        .value_kind:     by_value
      - .offset:         116
        .size:           4
        .value_kind:     by_value
      - .offset:         120
        .size:           4
        .value_kind:     by_value
      - .offset:         124
        .size:           4
        .value_kind:     by_value
      - .offset:         128
        .size:           4
        .value_kind:     by_value
      - .offset:         132
        .size:           4
        .value_kind:     by_value
      - .offset:         136
        .size:           4
        .value_kind:     by_value
      - .offset:         140
        .size:           4
        .value_kind:     by_value
      - .offset:         144
        .size:           4
        .value_kind:     by_value
      - .offset:         152
        .size:           8
        .value_kind:     by_value
      - .offset:         160
        .size:           4
        .value_kind:     by_value
      - .offset:         164
        .size:           4
        .value_kind:     by_value
      - .offset:         168
        .size:           8
        .value_kind:     by_value
      - .offset:         176
        .size:           4
        .value_kind:     by_value
      - .offset:         180
        .size:           4
        .value_kind:     by_value
      - .offset:         184
        .size:           4
        .value_kind:     by_value
      - .offset:         188
        .size:           4
        .value_kind:     by_value
      - .offset:         192
        .size:           4
        .value_kind:     by_value
      - .offset:         200
        .size:           8
        .value_kind:     by_value
      - .offset:         208
        .size:           4
        .value_kind:     hidden_block_count_x
      - .offset:         212
        .size:           4
        .value_kind:     hidden_block_count_y
      - .offset:         216
        .size:           4
        .value_kind:     hidden_block_count_z
      - .offset:         220
        .size:           2
        .value_kind:     hidden_group_size_x
      - .offset:         222
        .size:           2
        .value_kind:     hidden_group_size_y
      - .offset:         224
        .size:           2
        .value_kind:     hidden_group_size_z
      - .offset:         226
        .size:           2
        .value_kind:     hidden_remainder_x
      - .offset:         228
        .size:           2
        .value_kind:     hidden_remainder_y
      - .offset:         230
        .size:           2
        .value_kind:     hidden_remainder_z
      - .offset:         248
        .size:           8
        .value_kind:     hidden_global_offset_x
      - .offset:         256
        .size:           8
        .value_kind:     hidden_global_offset_y
      - .offset:         264
        .size:           8
        .value_kind:     hidden_global_offset_z
      - .offset:         272
        .size:           2
        .value_kind:     hidden_grid_dims
      - .offset:         288
        .size:           8
        .value_kind:     hidden_hostcall_buffer
    .group_segment_fixed_size: 0
    .kernarg_segment_align: 8
    .kernarg_segment_size: 464
    .language:       OpenCL C
    .language_version:
      - 2
      - 0
    .max_flat_workgroup_size: 256
    .name:           _ZL15flash_attn_tileILi80ELi80ELi32ELi1ELb1EEvPKcS1_S1_S1_S1_PKiPfP15HIP_vector_typeIfLj2EEffffjfiS5_IjLj3EEiiiiiiiiiiiliiliiiiil
    .private_segment_fixed_size: 16
    .sgpr_count:     36
    .sgpr_spill_count: 0
    .symbol:         _ZL15flash_attn_tileILi80ELi80ELi32ELi1ELb1EEvPKcS1_S1_S1_S1_PKiPfP15HIP_vector_typeIfLj2EEffffjfiS5_IjLj3EEiiiiiiiiiiiliiliiiiil.kd
    .uniform_work_group_size: 1
    .uses_dynamic_stack: false
    .vgpr_count:     37
    .vgpr_spill_count: 0
    .wavefront_size: 32
    .workgroup_processor_mode: 1
  - .args:
      - .address_space:  global
        .offset:         0
        .size:           8
        .value_kind:     global_buffer
      - .address_space:  global
        .offset:         8
        .size:           8
        .value_kind:     global_buffer
      - .address_space:  global
        .offset:         16
        .size:           8
        .value_kind:     global_buffer
      - .address_space:  global
        .offset:         24
        .size:           8
        .value_kind:     global_buffer
      - .address_space:  global
        .offset:         32
        .size:           8
        .value_kind:     global_buffer
      - .address_space:  global
        .offset:         40
        .size:           8
        .value_kind:     global_buffer
      - .address_space:  global
        .offset:         48
        .size:           8
        .value_kind:     global_buffer
      - .address_space:  global
        .offset:         56
        .size:           8
        .value_kind:     global_buffer
      - .offset:         64
        .size:           4
        .value_kind:     by_value
      - .offset:         68
        .size:           4
        .value_kind:     by_value
      - .offset:         72
        .size:           4
        .value_kind:     by_value
      - .offset:         76
        .size:           4
        .value_kind:     by_value
      - .offset:         80
        .size:           4
        .value_kind:     by_value
      - .offset:         84
        .size:           4
        .value_kind:     by_value
      - .offset:         88
        .size:           4
        .value_kind:     by_value
      - .offset:         92
        .size:           12
        .value_kind:     by_value
      - .offset:         104
        .size:           4
        .value_kind:     by_value
      - .offset:         108
        .size:           4
        .value_kind:     by_value
      - .offset:         112
        .size:           4
        .value_kind:     by_value
      - .offset:         116
        .size:           4
        .value_kind:     by_value
      - .offset:         120
        .size:           4
        .value_kind:     by_value
      - .offset:         124
        .size:           4
        .value_kind:     by_value
      - .offset:         128
        .size:           4
        .value_kind:     by_value
      - .offset:         132
        .size:           4
        .value_kind:     by_value
      - .offset:         136
        .size:           4
        .value_kind:     by_value
      - .offset:         140
        .size:           4
        .value_kind:     by_value
      - .offset:         144
        .size:           4
        .value_kind:     by_value
      - .offset:         152
        .size:           8
        .value_kind:     by_value
      - .offset:         160
        .size:           4
        .value_kind:     by_value
      - .offset:         164
        .size:           4
        .value_kind:     by_value
      - .offset:         168
        .size:           8
        .value_kind:     by_value
      - .offset:         176
        .size:           4
        .value_kind:     by_value
      - .offset:         180
        .size:           4
        .value_kind:     by_value
      - .offset:         184
        .size:           4
        .value_kind:     by_value
      - .offset:         188
        .size:           4
        .value_kind:     by_value
      - .offset:         192
        .size:           4
        .value_kind:     by_value
      - .offset:         200
        .size:           8
        .value_kind:     by_value
      - .offset:         208
        .size:           4
        .value_kind:     hidden_block_count_x
      - .offset:         212
        .size:           4
        .value_kind:     hidden_block_count_y
      - .offset:         216
        .size:           4
        .value_kind:     hidden_block_count_z
      - .offset:         220
        .size:           2
        .value_kind:     hidden_group_size_x
      - .offset:         222
        .size:           2
        .value_kind:     hidden_group_size_y
      - .offset:         224
        .size:           2
        .value_kind:     hidden_group_size_z
      - .offset:         226
        .size:           2
        .value_kind:     hidden_remainder_x
      - .offset:         228
        .size:           2
        .value_kind:     hidden_remainder_y
      - .offset:         230
        .size:           2
        .value_kind:     hidden_remainder_z
      - .offset:         248
        .size:           8
        .value_kind:     hidden_global_offset_x
      - .offset:         256
        .size:           8
        .value_kind:     hidden_global_offset_y
      - .offset:         264
        .size:           8
        .value_kind:     hidden_global_offset_z
      - .offset:         272
        .size:           2
        .value_kind:     hidden_grid_dims
      - .offset:         288
        .size:           8
        .value_kind:     hidden_hostcall_buffer
    .group_segment_fixed_size: 0
    .kernarg_segment_align: 8
    .kernarg_segment_size: 464
    .language:       OpenCL C
    .language_version:
      - 2
      - 0
    .max_flat_workgroup_size: 256
    .name:           _ZL15flash_attn_tileILi80ELi80ELi16ELi1ELb1EEvPKcS1_S1_S1_S1_PKiPfP15HIP_vector_typeIfLj2EEffffjfiS5_IjLj3EEiiiiiiiiiiiliiliiiiil
    .private_segment_fixed_size: 16
    .sgpr_count:     36
    .sgpr_spill_count: 0
    .symbol:         _ZL15flash_attn_tileILi80ELi80ELi16ELi1ELb1EEvPKcS1_S1_S1_S1_PKiPfP15HIP_vector_typeIfLj2EEffffjfiS5_IjLj3EEiiiiiiiiiiiliiliiiiil.kd
    .uniform_work_group_size: 1
    .uses_dynamic_stack: false
    .vgpr_count:     37
    .vgpr_spill_count: 0
    .wavefront_size: 32
    .workgroup_processor_mode: 1
  - .args:
      - .address_space:  global
        .offset:         0
        .size:           8
        .value_kind:     global_buffer
      - .address_space:  global
        .offset:         8
        .size:           8
        .value_kind:     global_buffer
      - .address_space:  global
        .offset:         16
        .size:           8
        .value_kind:     global_buffer
      - .address_space:  global
        .offset:         24
        .size:           8
        .value_kind:     global_buffer
      - .address_space:  global
        .offset:         32
        .size:           8
        .value_kind:     global_buffer
      - .address_space:  global
        .offset:         40
        .size:           8
        .value_kind:     global_buffer
      - .address_space:  global
        .offset:         48
        .size:           8
        .value_kind:     global_buffer
      - .address_space:  global
        .offset:         56
        .size:           8
        .value_kind:     global_buffer
      - .offset:         64
        .size:           4
        .value_kind:     by_value
      - .offset:         68
        .size:           4
        .value_kind:     by_value
      - .offset:         72
        .size:           4
        .value_kind:     by_value
      - .offset:         76
        .size:           4
        .value_kind:     by_value
      - .offset:         80
        .size:           4
        .value_kind:     by_value
      - .offset:         84
        .size:           4
        .value_kind:     by_value
      - .offset:         88
        .size:           4
        .value_kind:     by_value
      - .offset:         92
        .size:           12
        .value_kind:     by_value
      - .offset:         104
        .size:           4
        .value_kind:     by_value
      - .offset:         108
        .size:           4
        .value_kind:     by_value
      - .offset:         112
        .size:           4
        .value_kind:     by_value
      - .offset:         116
        .size:           4
        .value_kind:     by_value
      - .offset:         120
        .size:           4
        .value_kind:     by_value
      - .offset:         124
        .size:           4
        .value_kind:     by_value
      - .offset:         128
        .size:           4
        .value_kind:     by_value
      - .offset:         132
        .size:           4
        .value_kind:     by_value
      - .offset:         136
        .size:           4
        .value_kind:     by_value
      - .offset:         140
        .size:           4
        .value_kind:     by_value
      - .offset:         144
        .size:           4
        .value_kind:     by_value
      - .offset:         152
        .size:           8
        .value_kind:     by_value
      - .offset:         160
        .size:           4
        .value_kind:     by_value
      - .offset:         164
        .size:           4
        .value_kind:     by_value
      - .offset:         168
        .size:           8
        .value_kind:     by_value
      - .offset:         176
        .size:           4
        .value_kind:     by_value
      - .offset:         180
        .size:           4
        .value_kind:     by_value
      - .offset:         184
        .size:           4
        .value_kind:     by_value
      - .offset:         188
        .size:           4
        .value_kind:     by_value
      - .offset:         192
        .size:           4
        .value_kind:     by_value
      - .offset:         200
        .size:           8
        .value_kind:     by_value
      - .offset:         208
        .size:           4
        .value_kind:     hidden_block_count_x
      - .offset:         212
        .size:           4
        .value_kind:     hidden_block_count_y
      - .offset:         216
        .size:           4
        .value_kind:     hidden_block_count_z
      - .offset:         220
        .size:           2
        .value_kind:     hidden_group_size_x
      - .offset:         222
        .size:           2
        .value_kind:     hidden_group_size_y
      - .offset:         224
        .size:           2
        .value_kind:     hidden_group_size_z
      - .offset:         226
        .size:           2
        .value_kind:     hidden_remainder_x
      - .offset:         228
        .size:           2
        .value_kind:     hidden_remainder_y
      - .offset:         230
        .size:           2
        .value_kind:     hidden_remainder_z
      - .offset:         248
        .size:           8
        .value_kind:     hidden_global_offset_x
      - .offset:         256
        .size:           8
        .value_kind:     hidden_global_offset_y
      - .offset:         264
        .size:           8
        .value_kind:     hidden_global_offset_z
      - .offset:         272
        .size:           2
        .value_kind:     hidden_grid_dims
      - .offset:         288
        .size:           8
        .value_kind:     hidden_hostcall_buffer
    .group_segment_fixed_size: 0
    .kernarg_segment_align: 8
    .kernarg_segment_size: 464
    .language:       OpenCL C
    .language_version:
      - 2
      - 0
    .max_flat_workgroup_size: 256
    .name:           _ZL15flash_attn_tileILi80ELi80ELi8ELi1ELb1EEvPKcS1_S1_S1_S1_PKiPfP15HIP_vector_typeIfLj2EEffffjfiS5_IjLj3EEiiiiiiiiiiiliiliiiiil
    .private_segment_fixed_size: 16
    .sgpr_count:     36
    .sgpr_spill_count: 0
    .symbol:         _ZL15flash_attn_tileILi80ELi80ELi8ELi1ELb1EEvPKcS1_S1_S1_S1_PKiPfP15HIP_vector_typeIfLj2EEffffjfiS5_IjLj3EEiiiiiiiiiiiliiliiiiil.kd
    .uniform_work_group_size: 1
    .uses_dynamic_stack: false
    .vgpr_count:     37
    .vgpr_spill_count: 0
    .wavefront_size: 32
    .workgroup_processor_mode: 1
  - .args:
      - .address_space:  global
        .offset:         0
        .size:           8
        .value_kind:     global_buffer
      - .address_space:  global
        .offset:         8
        .size:           8
        .value_kind:     global_buffer
      - .address_space:  global
        .offset:         16
        .size:           8
        .value_kind:     global_buffer
      - .address_space:  global
        .offset:         24
        .size:           8
        .value_kind:     global_buffer
      - .address_space:  global
        .offset:         32
        .size:           8
        .value_kind:     global_buffer
      - .address_space:  global
        .offset:         40
        .size:           8
        .value_kind:     global_buffer
      - .address_space:  global
        .offset:         48
        .size:           8
        .value_kind:     global_buffer
      - .address_space:  global
        .offset:         56
        .size:           8
        .value_kind:     global_buffer
      - .offset:         64
        .size:           4
        .value_kind:     by_value
      - .offset:         68
        .size:           4
        .value_kind:     by_value
      - .offset:         72
        .size:           4
        .value_kind:     by_value
      - .offset:         76
        .size:           4
        .value_kind:     by_value
      - .offset:         80
        .size:           4
        .value_kind:     by_value
      - .offset:         84
        .size:           4
        .value_kind:     by_value
      - .offset:         88
        .size:           4
        .value_kind:     by_value
      - .offset:         92
        .size:           12
        .value_kind:     by_value
      - .offset:         104
        .size:           4
        .value_kind:     by_value
      - .offset:         108
        .size:           4
        .value_kind:     by_value
      - .offset:         112
        .size:           4
        .value_kind:     by_value
      - .offset:         116
        .size:           4
        .value_kind:     by_value
      - .offset:         120
        .size:           4
        .value_kind:     by_value
      - .offset:         124
        .size:           4
        .value_kind:     by_value
      - .offset:         128
        .size:           4
        .value_kind:     by_value
      - .offset:         132
        .size:           4
        .value_kind:     by_value
      - .offset:         136
        .size:           4
        .value_kind:     by_value
      - .offset:         140
        .size:           4
        .value_kind:     by_value
      - .offset:         144
        .size:           4
        .value_kind:     by_value
      - .offset:         152
        .size:           8
        .value_kind:     by_value
      - .offset:         160
        .size:           4
        .value_kind:     by_value
      - .offset:         164
        .size:           4
        .value_kind:     by_value
      - .offset:         168
        .size:           8
        .value_kind:     by_value
      - .offset:         176
        .size:           4
        .value_kind:     by_value
      - .offset:         180
        .size:           4
        .value_kind:     by_value
      - .offset:         184
        .size:           4
        .value_kind:     by_value
      - .offset:         188
        .size:           4
        .value_kind:     by_value
      - .offset:         192
        .size:           4
        .value_kind:     by_value
      - .offset:         200
        .size:           8
        .value_kind:     by_value
      - .offset:         208
        .size:           4
        .value_kind:     hidden_block_count_x
      - .offset:         212
        .size:           4
        .value_kind:     hidden_block_count_y
      - .offset:         216
        .size:           4
        .value_kind:     hidden_block_count_z
      - .offset:         220
        .size:           2
        .value_kind:     hidden_group_size_x
      - .offset:         222
        .size:           2
        .value_kind:     hidden_group_size_y
      - .offset:         224
        .size:           2
        .value_kind:     hidden_group_size_z
      - .offset:         226
        .size:           2
        .value_kind:     hidden_remainder_x
      - .offset:         228
        .size:           2
        .value_kind:     hidden_remainder_y
      - .offset:         230
        .size:           2
        .value_kind:     hidden_remainder_z
      - .offset:         248
        .size:           8
        .value_kind:     hidden_global_offset_x
      - .offset:         256
        .size:           8
        .value_kind:     hidden_global_offset_y
      - .offset:         264
        .size:           8
        .value_kind:     hidden_global_offset_z
      - .offset:         272
        .size:           2
        .value_kind:     hidden_grid_dims
      - .offset:         288
        .size:           8
        .value_kind:     hidden_hostcall_buffer
    .group_segment_fixed_size: 0
    .kernarg_segment_align: 8
    .kernarg_segment_size: 464
    .language:       OpenCL C
    .language_version:
      - 2
      - 0
    .max_flat_workgroup_size: 128
    .name:           _ZL15flash_attn_tileILi80ELi80ELi4ELi1ELb1EEvPKcS1_S1_S1_S1_PKiPfP15HIP_vector_typeIfLj2EEffffjfiS5_IjLj3EEiiiiiiiiiiiliiliiiiil
    .private_segment_fixed_size: 16
    .sgpr_count:     36
    .sgpr_spill_count: 0
    .symbol:         _ZL15flash_attn_tileILi80ELi80ELi4ELi1ELb1EEvPKcS1_S1_S1_S1_PKiPfP15HIP_vector_typeIfLj2EEffffjfiS5_IjLj3EEiiiiiiiiiiiliiliiiiil.kd
    .uniform_work_group_size: 1
    .uses_dynamic_stack: false
    .vgpr_count:     37
    .vgpr_spill_count: 0
    .wavefront_size: 32
    .workgroup_processor_mode: 1
  - .args:
      - .address_space:  global
        .offset:         0
        .size:           8
        .value_kind:     global_buffer
      - .address_space:  global
        .offset:         8
        .size:           8
        .value_kind:     global_buffer
      - .address_space:  global
        .offset:         16
        .size:           8
        .value_kind:     global_buffer
      - .address_space:  global
        .offset:         24
        .size:           8
        .value_kind:     global_buffer
      - .address_space:  global
        .offset:         32
        .size:           8
        .value_kind:     global_buffer
      - .address_space:  global
        .offset:         40
        .size:           8
        .value_kind:     global_buffer
      - .address_space:  global
        .offset:         48
        .size:           8
        .value_kind:     global_buffer
      - .address_space:  global
        .offset:         56
        .size:           8
        .value_kind:     global_buffer
      - .offset:         64
        .size:           4
        .value_kind:     by_value
      - .offset:         68
        .size:           4
        .value_kind:     by_value
      - .offset:         72
        .size:           4
        .value_kind:     by_value
      - .offset:         76
        .size:           4
        .value_kind:     by_value
      - .offset:         80
        .size:           4
        .value_kind:     by_value
      - .offset:         84
        .size:           4
        .value_kind:     by_value
      - .offset:         88
        .size:           4
        .value_kind:     by_value
      - .offset:         92
        .size:           12
        .value_kind:     by_value
      - .offset:         104
        .size:           4
        .value_kind:     by_value
      - .offset:         108
        .size:           4
        .value_kind:     by_value
      - .offset:         112
        .size:           4
        .value_kind:     by_value
      - .offset:         116
        .size:           4
        .value_kind:     by_value
      - .offset:         120
        .size:           4
        .value_kind:     by_value
      - .offset:         124
        .size:           4
        .value_kind:     by_value
      - .offset:         128
        .size:           4
        .value_kind:     by_value
      - .offset:         132
        .size:           4
        .value_kind:     by_value
      - .offset:         136
        .size:           4
        .value_kind:     by_value
      - .offset:         140
        .size:           4
        .value_kind:     by_value
      - .offset:         144
        .size:           4
        .value_kind:     by_value
      - .offset:         152
        .size:           8
        .value_kind:     by_value
      - .offset:         160
        .size:           4
        .value_kind:     by_value
      - .offset:         164
        .size:           4
        .value_kind:     by_value
      - .offset:         168
        .size:           8
        .value_kind:     by_value
      - .offset:         176
        .size:           4
        .value_kind:     by_value
      - .offset:         180
        .size:           4
        .value_kind:     by_value
      - .offset:         184
        .size:           4
        .value_kind:     by_value
      - .offset:         188
        .size:           4
        .value_kind:     by_value
      - .offset:         192
        .size:           4
        .value_kind:     by_value
      - .offset:         200
        .size:           8
        .value_kind:     by_value
      - .offset:         208
        .size:           4
        .value_kind:     hidden_block_count_x
      - .offset:         212
        .size:           4
        .value_kind:     hidden_block_count_y
      - .offset:         216
        .size:           4
        .value_kind:     hidden_block_count_z
      - .offset:         220
        .size:           2
        .value_kind:     hidden_group_size_x
      - .offset:         222
        .size:           2
        .value_kind:     hidden_group_size_y
      - .offset:         224
        .size:           2
        .value_kind:     hidden_group_size_z
      - .offset:         226
        .size:           2
        .value_kind:     hidden_remainder_x
      - .offset:         228
        .size:           2
        .value_kind:     hidden_remainder_y
      - .offset:         230
        .size:           2
        .value_kind:     hidden_remainder_z
      - .offset:         248
        .size:           8
        .value_kind:     hidden_global_offset_x
      - .offset:         256
        .size:           8
        .value_kind:     hidden_global_offset_y
      - .offset:         264
        .size:           8
        .value_kind:     hidden_global_offset_z
      - .offset:         272
        .size:           2
        .value_kind:     hidden_grid_dims
      - .offset:         288
        .size:           8
        .value_kind:     hidden_hostcall_buffer
    .group_segment_fixed_size: 0
    .kernarg_segment_align: 8
    .kernarg_segment_size: 464
    .language:       OpenCL C
    .language_version:
      - 2
      - 0
    .max_flat_workgroup_size: 64
    .name:           _ZL15flash_attn_tileILi80ELi80ELi2ELi1ELb1EEvPKcS1_S1_S1_S1_PKiPfP15HIP_vector_typeIfLj2EEffffjfiS5_IjLj3EEiiiiiiiiiiiliiliiiiil
    .private_segment_fixed_size: 16
    .sgpr_count:     36
    .sgpr_spill_count: 0
    .symbol:         _ZL15flash_attn_tileILi80ELi80ELi2ELi1ELb1EEvPKcS1_S1_S1_S1_PKiPfP15HIP_vector_typeIfLj2EEffffjfiS5_IjLj3EEiiiiiiiiiiiliiliiiiil.kd
    .uniform_work_group_size: 1
    .uses_dynamic_stack: false
    .vgpr_count:     37
    .vgpr_spill_count: 0
    .wavefront_size: 32
    .workgroup_processor_mode: 1
amdhsa.target:   amdgcn-amd-amdhsa--gfx1100
amdhsa.version:
  - 1
  - 2
...

	.end_amdgpu_metadata
